;; amdgpu-corpus repo=ROCm/rocSPARSE kind=compiled arch=gfx1201 opt=O3
	.amdgcn_target "amdgcn-amd-amdhsa--gfx1201"
	.amdhsa_code_object_version 6
	.section	.text._ZN9rocsparseL18bsrxmvn_4x4_kernelILj128ELj4EfiifffEEvT3_20rocsparse_direction_NS_24const_host_device_scalarIT1_EES1_PKS1_PKT2_SA_S7_PKT4_PKT5_S5_PT6_21rocsparse_index_base_b,"axG",@progbits,_ZN9rocsparseL18bsrxmvn_4x4_kernelILj128ELj4EfiifffEEvT3_20rocsparse_direction_NS_24const_host_device_scalarIT1_EES1_PKS1_PKT2_SA_S7_PKT4_PKT5_S5_PT6_21rocsparse_index_base_b,comdat
	.globl	_ZN9rocsparseL18bsrxmvn_4x4_kernelILj128ELj4EfiifffEEvT3_20rocsparse_direction_NS_24const_host_device_scalarIT1_EES1_PKS1_PKT2_SA_S7_PKT4_PKT5_S5_PT6_21rocsparse_index_base_b ; -- Begin function _ZN9rocsparseL18bsrxmvn_4x4_kernelILj128ELj4EfiifffEEvT3_20rocsparse_direction_NS_24const_host_device_scalarIT1_EES1_PKS1_PKT2_SA_S7_PKT4_PKT5_S5_PT6_21rocsparse_index_base_b
	.p2align	8
	.type	_ZN9rocsparseL18bsrxmvn_4x4_kernelILj128ELj4EfiifffEEvT3_20rocsparse_direction_NS_24const_host_device_scalarIT1_EES1_PKS1_PKT2_SA_S7_PKT4_PKT5_S5_PT6_21rocsparse_index_base_b,@function
_ZN9rocsparseL18bsrxmvn_4x4_kernelILj128ELj4EfiifffEEvT3_20rocsparse_direction_NS_24const_host_device_scalarIT1_EES1_PKS1_PKT2_SA_S7_PKT4_PKT5_S5_PT6_21rocsparse_index_base_b: ; @_ZN9rocsparseL18bsrxmvn_4x4_kernelILj128ELj4EfiifffEEvT3_20rocsparse_direction_NS_24const_host_device_scalarIT1_EES1_PKS1_PKT2_SA_S7_PKT4_PKT5_S5_PT6_21rocsparse_index_base_b
; %bb.0:
	s_clause 0x2
	s_load_b64 s[16:17], s[0:1], 0x58
	s_load_b64 s[14:15], s[0:1], 0x8
	;; [unrolled: 1-line block ×3, first 2 shown]
	s_wait_kmcnt 0x0
	s_bitcmp1_b32 s17, 0
	s_cselect_b32 s2, -1, 0
	s_delay_alu instid0(SALU_CYCLE_1)
	s_and_b32 vcc_lo, exec_lo, s2
	s_xor_b32 s2, s2, -1
	s_cbranch_vccnz .LBB0_2
; %bb.1:
	s_load_b32 s14, s[14:15], 0x0
.LBB0_2:
	s_and_not1_b32 vcc_lo, exec_lo, s2
	s_cbranch_vccnz .LBB0_4
; %bb.3:
	s_load_b32 s12, s[12:13], 0x0
.LBB0_4:
	s_wait_kmcnt 0x0
	s_cmp_neq_f32 s14, 0
	s_mov_b32 s6, 0
	s_cselect_b32 s2, -1, 0
	s_cmp_neq_f32 s12, 1.0
	s_cselect_b32 s3, -1, 0
	s_delay_alu instid0(SALU_CYCLE_1) | instskip(NEXT) | instid1(SALU_CYCLE_1)
	s_or_b32 s2, s2, s3
	s_and_not1_b32 vcc_lo, exec_lo, s2
	s_cbranch_vccnz .LBB0_10
; %bb.5:
	s_clause 0x1
	s_load_b64 s[4:5], s[0:1], 0x18
	s_load_b64 s[2:3], s[0:1], 0x0
	v_lshrrev_b32_e32 v1, 2, v0
	s_delay_alu instid0(VALU_DEP_1)
	v_lshl_or_b32 v4, ttmp9, 5, v1
	s_wait_kmcnt 0x0
	s_cmp_lg_u64 s[4:5], 0
	s_cbranch_scc0 .LBB0_11
; %bb.6:
	s_load_b32 s6, s[0:1], 0x10
	s_mov_b32 s7, 0
                                        ; implicit-def: $vgpr1
	s_wait_kmcnt 0x0
	v_cmp_gt_i32_e32 vcc_lo, s6, v4
	s_mov_b32 s6, 0
	s_and_saveexec_b32 s8, vcc_lo
	s_delay_alu instid0(SALU_CYCLE_1)
	s_xor_b32 s8, exec_lo, s8
	s_cbranch_execz .LBB0_8
; %bb.7:
	v_ashrrev_i32_e32 v5, 31, v4
	s_mov_b32 s6, exec_lo
	s_delay_alu instid0(VALU_DEP_1) | instskip(NEXT) | instid1(VALU_DEP_1)
	v_lshlrev_b64_e32 v[1:2], 2, v[4:5]
	v_add_co_u32 v1, vcc_lo, s4, v1
	s_delay_alu instid0(VALU_DEP_1)
	v_add_co_ci_u32_e64 v2, null, s5, v2, vcc_lo
	global_load_b32 v1, v[1:2], off
	s_wait_loadcnt 0x0
	v_subrev_nc_u32_e32 v1, s16, v1
.LBB0_8:
	s_or_b32 exec_lo, exec_lo, s8
	s_delay_alu instid0(SALU_CYCLE_1)
	s_and_b32 vcc_lo, exec_lo, s7
	s_wait_alu 0xfffe
	s_cbranch_vccz .LBB0_12
.LBB0_9:
	v_cmp_gt_i32_e32 vcc_lo, s2, v4
	s_and_not1_b32 s2, s6, exec_lo
	s_and_b32 s4, vcc_lo, exec_lo
	s_wait_alu 0xfffe
	s_or_b32 s6, s2, s4
	s_wait_alu 0xfffe
	s_and_saveexec_b32 s2, s6
	s_cbranch_execnz .LBB0_13
.LBB0_10:
	s_endpgm
.LBB0_11:
                                        ; implicit-def: $vgpr1
	s_cbranch_execnz .LBB0_9
.LBB0_12:
	v_mov_b32_e32 v4, v1
	s_and_saveexec_b32 s2, s6
	s_cbranch_execz .LBB0_10
.LBB0_13:
	s_load_b256 s[4:11], s[0:1], 0x20
	s_delay_alu instid0(VALU_DEP_1) | instskip(SKIP_1) | instid1(VALU_DEP_2)
	v_ashrrev_i32_e32 v5, 31, v4
	v_and_b32_e32 v9, 3, v0
	v_lshlrev_b64_e32 v[1:2], 2, v[4:5]
	s_wait_kmcnt 0x0
	s_delay_alu instid0(VALU_DEP_1) | instskip(SKIP_1) | instid1(VALU_DEP_2)
	v_add_co_u32 v5, vcc_lo, s4, v1
	s_wait_alu 0xfffd
	v_add_co_ci_u32_e64 v6, null, s5, v2, vcc_lo
	v_add_co_u32 v1, vcc_lo, s6, v1
	s_wait_alu 0xfffd
	v_add_co_ci_u32_e64 v2, null, s7, v2, vcc_lo
	global_load_b32 v15, v[5:6], off
	v_add_co_u32 v3, vcc_lo, v5, 4
	s_wait_alu 0xfffd
	v_add_co_ci_u32_e64 v5, null, 0, v6, vcc_lo
	s_cmp_eq_u64 s[6:7], 0
	s_load_b64 s[4:5], s[0:1], 0x40
	s_cselect_b32 vcc_lo, -1, 0
	s_cmp_eq_u32 s3, 1
	s_wait_alu 0xfffe
	v_dual_cndmask_b32 v2, v2, v5 :: v_dual_cndmask_b32 v1, v1, v3
	global_load_b32 v5, v[1:2], off
	s_wait_loadcnt 0x1
	v_subrev_nc_u32_e32 v0, s16, v15
	s_delay_alu instid0(VALU_DEP_1) | instskip(NEXT) | instid1(VALU_DEP_1)
	v_add_nc_u32_e32 v0, v0, v9
	v_ashrrev_i32_e32 v1, 31, v0
	s_wait_loadcnt 0x0
	v_subrev_nc_u32_e32 v10, s16, v5
	s_delay_alu instid0(VALU_DEP_2) | instskip(NEXT) | instid1(VALU_DEP_2)
	v_lshlrev_b64_e32 v[2:3], 6, v[0:1]
	v_cmp_lt_i32_e64 s2, v0, v10
	s_delay_alu instid0(VALU_DEP_2) | instskip(SKIP_1) | instid1(VALU_DEP_3)
	v_add_co_u32 v2, vcc_lo, s10, v2
	s_wait_alu 0xfffd
	v_add_co_ci_u32_e64 v3, null, s11, v3, vcc_lo
	s_cbranch_scc1 .LBB0_25
; %bb.14:
	v_dual_mov_b32 v11, 0 :: v_dual_mov_b32 v14, 0
	v_dual_mov_b32 v13, 0 :: v_dual_mov_b32 v12, 0
	s_and_saveexec_b32 s3, s2
	s_cbranch_execz .LBB0_24
; %bb.15:
	v_dual_mov_b32 v12, 0 :: v_dual_add_nc_u32 v1, v15, v9
	v_not_b32_e32 v5, v15
	v_dual_mov_b32 v11, 0 :: v_dual_mov_b32 v8, v3
	s_delay_alu instid0(VALU_DEP_3) | instskip(SKIP_3) | instid1(VALU_DEP_3)
	v_subrev_nc_u32_e32 v1, s16, v1
	v_mov_b32_e32 v7, v2
	s_mov_b32 s6, exec_lo
	v_dual_mov_b32 v14, 0 :: v_dual_mov_b32 v13, 0
	v_add_nc_u32_e32 v1, 4, v1
	s_delay_alu instid0(VALU_DEP_1) | instskip(NEXT) | instid1(VALU_DEP_1)
	v_max_i32_e32 v1, v1, v10
	v_add3_u32 v1, s16, v1, v5
	v_mov_b32_e32 v5, v0
	s_delay_alu instid0(VALU_DEP_2) | instskip(NEXT) | instid1(VALU_DEP_1)
	v_sub_nc_u32_e32 v1, v1, v9
	v_and_b32_e32 v6, 12, v1
	s_delay_alu instid0(VALU_DEP_1)
	v_cmpx_ne_u32_e32 12, v6
	s_cbranch_execz .LBB0_19
; %bb.16:
	v_lshrrev_b32_e32 v5, 2, v1
	v_mov_b32_e32 v13, 0
	s_mov_b32 s7, 0
	v_dual_mov_b32 v8, v3 :: v_dual_mov_b32 v7, v2
	s_delay_alu instid0(VALU_DEP_3) | instskip(SKIP_1) | instid1(VALU_DEP_2)
	v_dual_mov_b32 v14, 0 :: v_dual_add_nc_u32 v5, 1, v5
	v_dual_mov_b32 v11, 0 :: v_dual_mov_b32 v12, 0
	v_dual_mov_b32 v5, v0 :: v_dual_and_b32 v6, 3, v5
	s_delay_alu instid0(VALU_DEP_1)
	v_sub_nc_u32_e32 v16, 0, v6
.LBB0_17:                               ; =>This Inner Loop Header: Depth=1
	s_delay_alu instid0(VALU_DEP_2) | instskip(NEXT) | instid1(VALU_DEP_2)
	v_ashrrev_i32_e32 v6, 31, v5
	v_add_co_u32 v16, s10, v16, 1
	s_wait_alu 0xfffe
	s_or_b32 s7, s10, s7
	s_delay_alu instid0(VALU_DEP_2) | instskip(SKIP_1) | instid1(VALU_DEP_2)
	v_lshlrev_b64_e32 v[17:18], 2, v[5:6]
	v_add_nc_u32_e32 v5, 4, v5
	v_add_co_u32 v17, vcc_lo, s8, v17
	s_wait_alu 0xfffd
	s_delay_alu instid0(VALU_DEP_3)
	v_add_co_ci_u32_e64 v18, null, s9, v18, vcc_lo
	global_load_b32 v6, v[17:18], off
	s_clause 0x3
	global_load_b128 v[17:20], v[7:8], off offset:48
	global_load_b128 v[21:24], v[7:8], off offset:32
	;; [unrolled: 1-line block ×3, first 2 shown]
	global_load_b128 v[29:32], v[7:8], off
	s_wait_loadcnt 0x4
	v_subrev_nc_u32_e32 v6, s16, v6
	s_delay_alu instid0(VALU_DEP_1) | instskip(NEXT) | instid1(VALU_DEP_1)
	v_lshlrev_b32_e32 v33, 2, v6
	v_ashrrev_i32_e32 v34, 31, v33
	s_delay_alu instid0(VALU_DEP_1) | instskip(SKIP_1) | instid1(VALU_DEP_1)
	v_lshlrev_b64_e32 v[33:34], 2, v[33:34]
	s_wait_kmcnt 0x0
	v_add_co_u32 v33, vcc_lo, s4, v33
	s_wait_alu 0xfffd
	s_delay_alu instid0(VALU_DEP_2)
	v_add_co_ci_u32_e64 v34, null, s5, v34, vcc_lo
	v_add_co_u32 v7, vcc_lo, 0x100, v7
	s_wait_alu 0xfffd
	v_add_co_ci_u32_e64 v8, null, 0, v8, vcc_lo
	global_load_b128 v[33:36], v[33:34], off
	s_wait_loadcnt 0x0
	v_fmac_f32_e32 v13, v21, v33
	v_fmac_f32_e32 v12, v29, v33
	;; [unrolled: 1-line block ×3, first 2 shown]
	s_delay_alu instid0(VALU_DEP_3) | instskip(NEXT) | instid1(VALU_DEP_3)
	v_dual_fmac_f32 v14, v25, v33 :: v_dual_fmac_f32 v13, v22, v34
	v_fmac_f32_e32 v12, v30, v34
	s_delay_alu instid0(VALU_DEP_3) | instskip(NEXT) | instid1(VALU_DEP_3)
	v_fmac_f32_e32 v11, v18, v34
	v_fmac_f32_e32 v14, v26, v34
	s_delay_alu instid0(VALU_DEP_3) | instskip(SKIP_1) | instid1(VALU_DEP_3)
	v_fmac_f32_e32 v12, v31, v35
	v_fmac_f32_e32 v13, v23, v35
	;; [unrolled: 1-line block ×3, first 2 shown]
	s_delay_alu instid0(VALU_DEP_3) | instskip(NEXT) | instid1(VALU_DEP_3)
	v_dual_fmac_f32 v11, v19, v35 :: v_dual_fmac_f32 v12, v32, v36
	v_fmac_f32_e32 v13, v24, v36
	s_delay_alu instid0(VALU_DEP_3) | instskip(NEXT) | instid1(VALU_DEP_3)
	v_fmac_f32_e32 v14, v28, v36
	v_fmac_f32_e32 v11, v20, v36
	s_wait_alu 0xfffe
	s_and_not1_b32 exec_lo, exec_lo, s7
	s_cbranch_execnz .LBB0_17
; %bb.18:
	s_or_b32 exec_lo, exec_lo, s7
.LBB0_19:
	s_wait_alu 0xfffe
	s_or_b32 exec_lo, exec_lo, s6
	s_delay_alu instid0(SALU_CYCLE_1)
	s_mov_b32 s6, exec_lo
	v_cmpx_lt_u32_e32 11, v1
	s_cbranch_execz .LBB0_23
; %bb.20:
	s_mov_b32 s7, 0
.LBB0_21:                               ; =>This Inner Loop Header: Depth=1
	v_ashrrev_i32_e32 v6, 31, v5
	s_delay_alu instid0(VALU_DEP_1) | instskip(SKIP_1) | instid1(VALU_DEP_2)
	v_lshlrev_b64_e32 v[16:17], 2, v[5:6]
	v_add_nc_u32_e32 v5, 16, v5
	v_add_co_u32 v16, vcc_lo, s8, v16
	s_wait_alu 0xfffd
	s_delay_alu instid0(VALU_DEP_3)
	v_add_co_ci_u32_e64 v17, null, s9, v17, vcc_lo
	s_clause 0x3
	global_load_b32 v1, v[16:17], off
	global_load_b32 v6, v[16:17], off offset:16
	global_load_b32 v80, v[16:17], off offset:32
	;; [unrolled: 1-line block ×3, first 2 shown]
	s_clause 0xf
	global_load_b128 v[16:19], v[7:8], off offset:48
	global_load_b128 v[20:23], v[7:8], off offset:32
	;; [unrolled: 1-line block ×3, first 2 shown]
	global_load_b128 v[28:31], v[7:8], off
	global_load_b128 v[32:35], v[7:8], off offset:304
	global_load_b128 v[36:39], v[7:8], off offset:288
	;; [unrolled: 1-line block ×12, first 2 shown]
	s_wait_loadcnt 0x13
	v_subrev_nc_u32_e32 v1, s16, v1
	s_wait_loadcnt 0x12
	v_subrev_nc_u32_e32 v6, s16, v6
	;; [unrolled: 2-line block ×4, first 2 shown]
	v_lshlrev_b32_e32 v80, 2, v1
	s_delay_alu instid0(VALU_DEP_3) | instskip(NEXT) | instid1(VALU_DEP_3)
	v_lshlrev_b32_e32 v88, 2, v82
	v_lshlrev_b32_e32 v92, 2, v81
	s_delay_alu instid0(VALU_DEP_3) | instskip(NEXT) | instid1(VALU_DEP_1)
	v_ashrrev_i32_e32 v81, 31, v80
	v_lshlrev_b64_e32 v[80:81], 2, v[80:81]
	s_wait_kmcnt 0x0
	s_delay_alu instid0(VALU_DEP_1) | instskip(SKIP_1) | instid1(VALU_DEP_2)
	v_add_co_u32 v80, vcc_lo, s4, v80
	s_wait_alu 0xfffd
	v_add_co_ci_u32_e64 v81, null, s5, v81, vcc_lo
	global_load_b128 v[80:83], v[80:81], off
	v_lshlrev_b32_e32 v84, 2, v6
	s_delay_alu instid0(VALU_DEP_1) | instskip(NEXT) | instid1(VALU_DEP_1)
	v_ashrrev_i32_e32 v85, 31, v84
	v_lshlrev_b64_e32 v[84:85], 2, v[84:85]
	s_delay_alu instid0(VALU_DEP_1) | instskip(SKIP_1) | instid1(VALU_DEP_2)
	v_add_co_u32 v84, vcc_lo, s4, v84
	s_wait_alu 0xfffd
	v_add_co_ci_u32_e64 v85, null, s5, v85, vcc_lo
	global_load_b128 v[84:87], v[84:85], off
	s_wait_loadcnt 0x1
	v_fmac_f32_e32 v11, v16, v80
	v_ashrrev_i32_e32 v89, 31, v88
	v_fmac_f32_e32 v14, v24, v80
	v_fmac_f32_e32 v13, v20, v80
	s_delay_alu instid0(VALU_DEP_4) | instskip(NEXT) | instid1(VALU_DEP_4)
	v_dual_fmac_f32 v12, v28, v80 :: v_dual_fmac_f32 v11, v17, v81
	v_lshlrev_b64_e32 v[88:89], 2, v[88:89]
	s_delay_alu instid0(VALU_DEP_3) | instskip(NEXT) | instid1(VALU_DEP_3)
	v_fmac_f32_e32 v13, v21, v81
	v_fmac_f32_e32 v11, v18, v82
	v_ashrrev_i32_e32 v93, 31, v92
	s_delay_alu instid0(VALU_DEP_4) | instskip(SKIP_2) | instid1(VALU_DEP_3)
	v_add_co_u32 v88, vcc_lo, s4, v88
	s_wait_alu 0xfffd
	v_add_co_ci_u32_e64 v89, null, s5, v89, vcc_lo
	v_lshlrev_b64_e32 v[92:93], 2, v[92:93]
	v_dual_fmac_f32 v14, v25, v81 :: v_dual_fmac_f32 v11, v19, v83
	global_load_b128 v[88:91], v[88:89], off
	v_dual_fmac_f32 v13, v22, v82 :: v_dual_fmac_f32 v12, v29, v81
	v_add_co_u32 v92, vcc_lo, s4, v92
	s_wait_alu 0xfffd
	v_add_co_ci_u32_e64 v93, null, s5, v93, vcc_lo
	s_wait_loadcnt 0x1
	v_dual_fmac_f32 v14, v26, v82 :: v_dual_fmac_f32 v11, v32, v84
	v_fmac_f32_e32 v13, v23, v83
	global_load_b128 v[92:95], v[92:93], off
	v_fmac_f32_e32 v12, v30, v82
	v_dual_fmac_f32 v14, v27, v83 :: v_dual_fmac_f32 v11, v33, v85
	v_fmac_f32_e32 v13, v36, v84
	v_add_co_u32 v7, vcc_lo, 0x400, v7
	s_delay_alu instid0(VALU_DEP_4) | instskip(NEXT) | instid1(VALU_DEP_4)
	v_fmac_f32_e32 v12, v31, v83
	v_dual_fmac_f32 v14, v40, v84 :: v_dual_fmac_f32 v11, v34, v86
	s_delay_alu instid0(VALU_DEP_4)
	v_fmac_f32_e32 v13, v37, v85
	s_wait_alu 0xfffd
	v_add_co_ci_u32_e64 v8, null, 0, v8, vcc_lo
	v_fmac_f32_e32 v12, v44, v84
	v_dual_fmac_f32 v14, v41, v85 :: v_dual_fmac_f32 v11, v35, v87
	v_fmac_f32_e32 v13, v38, v86
	v_cmp_ge_i32_e32 vcc_lo, v5, v10
	s_delay_alu instid0(VALU_DEP_4) | instskip(NEXT) | instid1(VALU_DEP_3)
	v_fmac_f32_e32 v12, v45, v85
	v_dual_fmac_f32 v14, v42, v86 :: v_dual_fmac_f32 v13, v39, v87
	s_wait_alu 0xfffe
	s_or_b32 s7, vcc_lo, s7
	s_wait_loadcnt 0x1
	s_delay_alu instid0(VALU_DEP_1) | instskip(NEXT) | instid1(VALU_DEP_1)
	v_dual_fmac_f32 v12, v46, v86 :: v_dual_fmac_f32 v13, v52, v88
	v_dual_fmac_f32 v12, v47, v87 :: v_dual_fmac_f32 v11, v48, v88
	s_delay_alu instid0(VALU_DEP_2) | instskip(NEXT) | instid1(VALU_DEP_2)
	v_dual_fmac_f32 v14, v43, v87 :: v_dual_fmac_f32 v13, v53, v89
	v_dual_fmac_f32 v12, v60, v88 :: v_dual_fmac_f32 v11, v49, v89
	s_delay_alu instid0(VALU_DEP_2) | instskip(NEXT) | instid1(VALU_DEP_2)
	;; [unrolled: 3-line block ×3, first 2 shown]
	v_dual_fmac_f32 v14, v57, v89 :: v_dual_fmac_f32 v13, v55, v91
	v_dual_fmac_f32 v12, v62, v90 :: v_dual_fmac_f32 v11, v51, v91
	s_wait_loadcnt 0x0
	s_delay_alu instid0(VALU_DEP_2) | instskip(NEXT) | instid1(VALU_DEP_2)
	v_dual_fmac_f32 v14, v58, v90 :: v_dual_fmac_f32 v13, v68, v92
	v_dual_fmac_f32 v12, v63, v91 :: v_dual_fmac_f32 v11, v64, v92
	s_delay_alu instid0(VALU_DEP_2) | instskip(NEXT) | instid1(VALU_DEP_2)
	v_dual_fmac_f32 v14, v59, v91 :: v_dual_fmac_f32 v13, v69, v93
	v_dual_fmac_f32 v12, v76, v92 :: v_dual_fmac_f32 v11, v65, v93
	;; [unrolled: 3-line block ×4, first 2 shown]
	s_delay_alu instid0(VALU_DEP_2) | instskip(NEXT) | instid1(VALU_DEP_2)
	v_fmac_f32_e32 v14, v74, v94
	v_fmac_f32_e32 v12, v79, v95
	s_delay_alu instid0(VALU_DEP_2)
	v_fmac_f32_e32 v14, v75, v95
	s_wait_alu 0xfffe
	s_and_not1_b32 exec_lo, exec_lo, s7
	s_cbranch_execnz .LBB0_21
; %bb.22:
	s_or_b32 exec_lo, exec_lo, s7
.LBB0_23:
	s_wait_alu 0xfffe
	s_or_b32 exec_lo, exec_lo, s6
.LBB0_24:
	s_wait_alu 0xfffe
	s_or_b32 exec_lo, exec_lo, s3
	s_cbranch_execz .LBB0_26
	s_branch .LBB0_37
.LBB0_25:
                                        ; implicit-def: $vgpr11
                                        ; implicit-def: $vgpr13
                                        ; implicit-def: $vgpr14
                                        ; implicit-def: $vgpr12
.LBB0_26:
	v_dual_mov_b32 v11, 0 :: v_dual_mov_b32 v14, 0
	v_dual_mov_b32 v13, 0 :: v_dual_mov_b32 v12, 0
	s_and_saveexec_b32 s3, s2
	s_cbranch_execz .LBB0_36
; %bb.27:
	v_dual_mov_b32 v12, 0 :: v_dual_add_nc_u32 v1, v15, v9
	v_not_b32_e32 v5, v15
	v_mov_b32_e32 v13, 0
	v_mov_b32_e32 v11, 0
	s_delay_alu instid0(VALU_DEP_4) | instskip(SKIP_1) | instid1(VALU_DEP_1)
	v_subrev_nc_u32_e32 v1, s16, v1
	s_mov_b32 s2, exec_lo
	v_dual_mov_b32 v14, 0 :: v_dual_add_nc_u32 v1, 4, v1
	s_delay_alu instid0(VALU_DEP_1) | instskip(NEXT) | instid1(VALU_DEP_1)
	v_max_i32_e32 v1, v1, v10
	v_add3_u32 v1, s16, v1, v5
	s_delay_alu instid0(VALU_DEP_1) | instskip(NEXT) | instid1(VALU_DEP_1)
	v_sub_nc_u32_e32 v5, v1, v9
	v_and_b32_e32 v1, 12, v5
	s_delay_alu instid0(VALU_DEP_1)
	v_cmpx_ne_u32_e32 12, v1
	s_cbranch_execz .LBB0_31
; %bb.28:
	v_lshrrev_b32_e32 v1, 2, v5
	v_mov_b32_e32 v11, 0
	v_mov_b32_e32 v13, 0
	s_mov_b32 s6, 0
	s_delay_alu instid0(VALU_DEP_3) | instskip(NEXT) | instid1(VALU_DEP_1)
	v_dual_mov_b32 v14, 0 :: v_dual_add_nc_u32 v1, 1, v1
	v_dual_mov_b32 v12, 0 :: v_dual_and_b32 v1, 3, v1
	s_delay_alu instid0(VALU_DEP_1)
	v_sub_nc_u32_e32 v6, 0, v1
.LBB0_29:                               ; =>This Inner Loop Header: Depth=1
	v_ashrrev_i32_e32 v1, 31, v0
	s_delay_alu instid0(VALU_DEP_2) | instskip(SKIP_2) | instid1(VALU_DEP_2)
	v_add_co_u32 v6, s7, v6, 1
	s_wait_alu 0xfffe
	s_or_b32 s6, s7, s6
	v_lshlrev_b64_e32 v[7:8], 2, v[0:1]
	v_add_nc_u32_e32 v0, 4, v0
	s_delay_alu instid0(VALU_DEP_2) | instskip(SKIP_1) | instid1(VALU_DEP_3)
	v_add_co_u32 v7, vcc_lo, s8, v7
	s_wait_alu 0xfffd
	v_add_co_ci_u32_e64 v8, null, s9, v8, vcc_lo
	global_load_b32 v1, v[7:8], off
	s_clause 0x1
	global_load_b128 v[15:18], v[2:3], off offset:16
	global_load_b128 v[19:22], v[2:3], off
	s_wait_loadcnt 0x2
	v_subrev_nc_u32_e32 v1, s16, v1
	s_delay_alu instid0(VALU_DEP_1) | instskip(NEXT) | instid1(VALU_DEP_1)
	v_lshlrev_b32_e32 v7, 2, v1
	v_ashrrev_i32_e32 v8, 31, v7
	s_delay_alu instid0(VALU_DEP_1) | instskip(SKIP_1) | instid1(VALU_DEP_1)
	v_lshlrev_b64_e32 v[7:8], 2, v[7:8]
	s_wait_kmcnt 0x0
	v_add_co_u32 v7, vcc_lo, s4, v7
	s_wait_alu 0xfffd
	s_delay_alu instid0(VALU_DEP_2)
	v_add_co_ci_u32_e64 v8, null, s5, v8, vcc_lo
	global_load_b128 v[23:26], v[7:8], off
	s_clause 0x1
	global_load_b128 v[27:30], v[2:3], off offset:32
	global_load_b128 v[31:34], v[2:3], off offset:48
	v_add_co_u32 v2, vcc_lo, 0x100, v2
	s_wait_alu 0xfffd
	v_add_co_ci_u32_e64 v3, null, 0, v3, vcc_lo
	s_wait_loadcnt 0x2
	v_fmac_f32_e32 v12, v19, v23
	s_delay_alu instid0(VALU_DEP_1) | instskip(NEXT) | instid1(VALU_DEP_1)
	v_dual_fmac_f32 v13, v21, v23 :: v_dual_fmac_f32 v12, v15, v24
	v_dual_fmac_f32 v14, v20, v23 :: v_dual_fmac_f32 v13, v17, v24
	s_wait_loadcnt 0x1
	s_delay_alu instid0(VALU_DEP_2) | instskip(NEXT) | instid1(VALU_DEP_2)
	v_dual_fmac_f32 v11, v22, v23 :: v_dual_fmac_f32 v12, v27, v25
	v_dual_fmac_f32 v14, v16, v24 :: v_dual_fmac_f32 v13, v29, v25
	s_wait_loadcnt 0x0
	s_delay_alu instid0(VALU_DEP_2) | instskip(NEXT) | instid1(VALU_DEP_2)
	v_dual_fmac_f32 v11, v18, v24 :: v_dual_fmac_f32 v12, v31, v26
	v_dual_fmac_f32 v14, v28, v25 :: v_dual_fmac_f32 v13, v33, v26
	s_delay_alu instid0(VALU_DEP_1) | instskip(NEXT) | instid1(VALU_DEP_1)
	v_dual_fmac_f32 v11, v30, v25 :: v_dual_fmac_f32 v14, v32, v26
	v_fmac_f32_e32 v11, v34, v26
	s_wait_alu 0xfffe
	s_and_not1_b32 exec_lo, exec_lo, s6
	s_cbranch_execnz .LBB0_29
; %bb.30:
	s_or_b32 exec_lo, exec_lo, s6
.LBB0_31:
	s_wait_alu 0xfffe
	s_or_b32 exec_lo, exec_lo, s2
	s_delay_alu instid0(SALU_CYCLE_1)
	s_mov_b32 s2, exec_lo
	v_cmpx_lt_u32_e32 11, v5
	s_cbranch_execz .LBB0_35
; %bb.32:
	s_mov_b32 s6, 0
.LBB0_33:                               ; =>This Inner Loop Header: Depth=1
	v_ashrrev_i32_e32 v1, 31, v0
	s_delay_alu instid0(VALU_DEP_1) | instskip(SKIP_1) | instid1(VALU_DEP_2)
	v_lshlrev_b64_e32 v[5:6], 2, v[0:1]
	v_add_nc_u32_e32 v0, 16, v0
	v_add_co_u32 v5, vcc_lo, s8, v5
	s_wait_alu 0xfffd
	s_delay_alu instid0(VALU_DEP_3)
	v_add_co_ci_u32_e64 v6, null, s9, v6, vcc_lo
	s_clause 0x3
	global_load_b32 v1, v[5:6], off
	global_load_b32 v67, v[5:6], off offset:16
	global_load_b32 v68, v[5:6], off offset:32
	;; [unrolled: 1-line block ×3, first 2 shown]
	s_clause 0xd
	global_load_b128 v[5:8], v[2:3], off offset:48
	global_load_b128 v[15:18], v[2:3], off offset:32
	;; [unrolled: 1-line block ×3, first 2 shown]
	global_load_b128 v[23:26], v[2:3], off
	global_load_b128 v[27:30], v[2:3], off offset:304
	global_load_b128 v[31:34], v[2:3], off offset:288
	;; [unrolled: 1-line block ×10, first 2 shown]
	s_wait_loadcnt 0x11
	v_subrev_nc_u32_e32 v1, s16, v1
	s_wait_loadcnt 0x10
	v_subrev_nc_u32_e32 v70, s16, v67
	;; [unrolled: 2-line block ×4, first 2 shown]
	v_lshlrev_b32_e32 v67, 2, v1
	v_lshlrev_b32_e32 v71, 2, v70
	;; [unrolled: 1-line block ×3, first 2 shown]
	s_delay_alu instid0(VALU_DEP_4) | instskip(NEXT) | instid1(VALU_DEP_4)
	v_lshlrev_b32_e32 v79, 2, v69
	v_ashrrev_i32_e32 v68, 31, v67
	s_delay_alu instid0(VALU_DEP_4) | instskip(NEXT) | instid1(VALU_DEP_2)
	v_ashrrev_i32_e32 v72, 31, v71
	v_lshlrev_b64_e32 v[67:68], 2, v[67:68]
	s_delay_alu instid0(VALU_DEP_2) | instskip(SKIP_1) | instid1(VALU_DEP_2)
	v_lshlrev_b64_e32 v[71:72], 2, v[71:72]
	s_wait_kmcnt 0x0
	v_add_co_u32 v67, vcc_lo, s4, v67
	s_wait_alu 0xfffd
	s_delay_alu instid0(VALU_DEP_3) | instskip(NEXT) | instid1(VALU_DEP_3)
	v_add_co_ci_u32_e64 v68, null, s5, v68, vcc_lo
	v_add_co_u32 v71, vcc_lo, s4, v71
	s_wait_alu 0xfffd
	v_add_co_ci_u32_e64 v72, null, s5, v72, vcc_lo
	s_clause 0x1
	global_load_b128 v[67:70], v[67:68], off
	global_load_b128 v[71:74], v[71:72], off
	s_wait_loadcnt 0x1
	v_fmac_f32_e32 v14, v24, v67
	v_ashrrev_i32_e32 v76, 31, v75
	v_fmac_f32_e32 v12, v23, v67
	s_delay_alu instid0(VALU_DEP_3) | instskip(NEXT) | instid1(VALU_DEP_3)
	v_fmac_f32_e32 v14, v20, v68
	v_lshlrev_b64_e32 v[75:76], 2, v[75:76]
	v_ashrrev_i32_e32 v80, 31, v79
	s_delay_alu instid0(VALU_DEP_4) | instskip(NEXT) | instid1(VALU_DEP_4)
	v_dual_fmac_f32 v11, v26, v67 :: v_dual_fmac_f32 v12, v19, v68
	v_dual_fmac_f32 v13, v25, v67 :: v_dual_fmac_f32 v14, v16, v69
	s_delay_alu instid0(VALU_DEP_4)
	v_add_co_u32 v75, vcc_lo, s4, v75
	s_wait_alu 0xfffd
	v_add_co_ci_u32_e64 v76, null, s5, v76, vcc_lo
	v_lshlrev_b64_e32 v[79:80], 2, v[79:80]
	v_dual_fmac_f32 v12, v15, v69 :: v_dual_fmac_f32 v13, v21, v68
	v_fmac_f32_e32 v14, v6, v70
	global_load_b128 v[75:78], v[75:76], off
	v_dual_fmac_f32 v11, v22, v68 :: v_dual_fmac_f32 v12, v5, v70
	v_add_co_u32 v79, vcc_lo, s4, v79
	s_wait_alu 0xfffd
	v_add_co_ci_u32_e64 v80, null, s5, v80, vcc_lo
	global_load_b128 v[79:82], v[79:80], off
	s_clause 0x1
	global_load_b128 v[83:86], v[2:3], off offset:800
	global_load_b128 v[87:90], v[2:3], off offset:816
	s_wait_loadcnt 0x4
	v_dual_fmac_f32 v13, v17, v69 :: v_dual_fmac_f32 v12, v39, v71
	v_dual_fmac_f32 v11, v18, v69 :: v_dual_fmac_f32 v14, v40, v71
	v_add_co_u32 v2, vcc_lo, 0x400, v2
	s_delay_alu instid0(VALU_DEP_3) | instskip(NEXT) | instid1(VALU_DEP_3)
	v_fmac_f32_e32 v13, v7, v70
	v_dual_fmac_f32 v11, v8, v70 :: v_dual_fmac_f32 v12, v35, v72
	s_delay_alu instid0(VALU_DEP_4) | instskip(SKIP_2) | instid1(VALU_DEP_3)
	v_fmac_f32_e32 v14, v36, v72
	s_wait_alu 0xfffd
	v_add_co_ci_u32_e64 v3, null, 0, v3, vcc_lo
	v_dual_fmac_f32 v13, v41, v71 :: v_dual_fmac_f32 v12, v31, v73
	s_delay_alu instid0(VALU_DEP_3) | instskip(SKIP_1) | instid1(VALU_DEP_3)
	v_dual_fmac_f32 v11, v42, v71 :: v_dual_fmac_f32 v14, v32, v73
	v_cmp_ge_i32_e32 vcc_lo, v0, v10
	v_dual_fmac_f32 v13, v37, v72 :: v_dual_fmac_f32 v12, v27, v74
	s_delay_alu instid0(VALU_DEP_3) | instskip(SKIP_2) | instid1(VALU_DEP_2)
	v_dual_fmac_f32 v11, v38, v72 :: v_dual_fmac_f32 v14, v28, v74
	s_wait_alu 0xfffe
	s_or_b32 s6, vcc_lo, s6
	v_fmac_f32_e32 v13, v33, v73
	s_wait_loadcnt 0x3
	v_dual_fmac_f32 v11, v34, v73 :: v_dual_fmac_f32 v14, v56, v75
	s_delay_alu instid0(VALU_DEP_1) | instskip(NEXT) | instid1(VALU_DEP_2)
	v_dual_fmac_f32 v11, v30, v74 :: v_dual_fmac_f32 v12, v55, v75
	v_dual_fmac_f32 v13, v29, v74 :: v_dual_fmac_f32 v14, v52, v76
	s_delay_alu instid0(VALU_DEP_2) | instskip(NEXT) | instid1(VALU_DEP_2)
	v_dual_fmac_f32 v11, v58, v75 :: v_dual_fmac_f32 v12, v51, v76
	v_dual_fmac_f32 v13, v57, v75 :: v_dual_fmac_f32 v14, v48, v77
	s_delay_alu instid0(VALU_DEP_2) | instskip(NEXT) | instid1(VALU_DEP_2)
	v_dual_fmac_f32 v11, v54, v76 :: v_dual_fmac_f32 v12, v47, v77
	v_dual_fmac_f32 v13, v53, v76 :: v_dual_fmac_f32 v14, v44, v78
	s_delay_alu instid0(VALU_DEP_2) | instskip(SKIP_1) | instid1(VALU_DEP_2)
	v_dual_fmac_f32 v11, v50, v77 :: v_dual_fmac_f32 v12, v43, v78
	s_wait_loadcnt 0x2
	v_dual_fmac_f32 v13, v49, v77 :: v_dual_fmac_f32 v14, v64, v79
	s_delay_alu instid0(VALU_DEP_2) | instskip(NEXT) | instid1(VALU_DEP_2)
	v_dual_fmac_f32 v11, v46, v78 :: v_dual_fmac_f32 v12, v63, v79
	v_dual_fmac_f32 v13, v45, v78 :: v_dual_fmac_f32 v14, v60, v80
	s_delay_alu instid0(VALU_DEP_1) | instskip(SKIP_1) | instid1(VALU_DEP_2)
	v_dual_fmac_f32 v12, v59, v80 :: v_dual_fmac_f32 v13, v65, v79
	s_wait_loadcnt 0x1
	v_dual_fmac_f32 v11, v66, v79 :: v_dual_fmac_f32 v14, v84, v81
	s_delay_alu instid0(VALU_DEP_2) | instskip(SKIP_1) | instid1(VALU_DEP_2)
	v_dual_fmac_f32 v12, v83, v81 :: v_dual_fmac_f32 v13, v61, v80
	s_wait_loadcnt 0x0
	v_dual_fmac_f32 v11, v62, v80 :: v_dual_fmac_f32 v14, v88, v82
	s_delay_alu instid0(VALU_DEP_2) | instskip(NEXT) | instid1(VALU_DEP_2)
	v_dual_fmac_f32 v12, v87, v82 :: v_dual_fmac_f32 v13, v85, v81
	v_fmac_f32_e32 v11, v86, v81
	s_delay_alu instid0(VALU_DEP_2) | instskip(NEXT) | instid1(VALU_DEP_2)
	v_fmac_f32_e32 v13, v89, v82
	v_fmac_f32_e32 v11, v90, v82
	s_wait_alu 0xfffe
	s_and_not1_b32 exec_lo, exec_lo, s6
	s_cbranch_execnz .LBB0_33
; %bb.34:
	s_or_b32 exec_lo, exec_lo, s6
.LBB0_35:
	s_wait_alu 0xfffe
	s_or_b32 exec_lo, exec_lo, s2
.LBB0_36:
	s_wait_alu 0xfffe
	s_or_b32 exec_lo, exec_lo, s3
.LBB0_37:
	v_mbcnt_lo_u32_b32 v0, -1, 0
	s_mov_b32 s2, -1
	s_delay_alu instid0(VALU_DEP_1) | instskip(NEXT) | instid1(VALU_DEP_1)
	v_xor_b32_e32 v1, 2, v0
	v_cmp_gt_i32_e32 vcc_lo, 32, v1
	s_wait_alu 0xfffd
	v_cndmask_b32_e32 v1, v0, v1, vcc_lo
	s_delay_alu instid0(VALU_DEP_1)
	v_lshlrev_b32_e32 v1, 2, v1
	ds_bpermute_b32 v2, v1, v12
	ds_bpermute_b32 v3, v1, v14
	ds_bpermute_b32 v5, v1, v13
	ds_bpermute_b32 v6, v1, v11
	v_xor_b32_e32 v1, 1, v0
	s_delay_alu instid0(VALU_DEP_1) | instskip(SKIP_4) | instid1(VALU_DEP_2)
	v_cmp_gt_i32_e32 vcc_lo, 32, v1
	s_wait_alu 0xfffd
	v_cndmask_b32_e32 v0, v0, v1, vcc_lo
	v_cmp_eq_u32_e32 vcc_lo, 3, v9
	s_wait_dscnt 0x2
	v_dual_add_f32 v1, v14, v3 :: v_dual_lshlrev_b32 v8, 2, v0
	v_add_f32_e32 v0, v12, v2
	s_wait_dscnt 0x0
	v_dual_add_f32 v2, v13, v5 :: v_dual_add_f32 v3, v11, v6
	ds_bpermute_b32 v6, v8, v1
	ds_bpermute_b32 v5, v8, v0
	;; [unrolled: 1-line block ×4, first 2 shown]
	s_and_b32 exec_lo, exec_lo, vcc_lo
	s_cbranch_execz .LBB0_10
; %bb.38:
	s_load_b64 s[0:1], s[0:1], 0x50
	s_wait_dscnt 0x2
	v_dual_add_f32 v0, v0, v5 :: v_dual_add_f32 v1, v1, v6
	s_wait_dscnt 0x0
	v_dual_add_f32 v2, v2, v7 :: v_dual_add_f32 v3, v3, v8
	v_lshlrev_b32_e32 v4, 2, v4
	s_delay_alu instid0(VALU_DEP_3) | instskip(NEXT) | instid1(VALU_DEP_3)
	v_dual_mul_f32 v0, s14, v0 :: v_dual_mul_f32 v1, s14, v1
	v_dual_mul_f32 v2, s14, v2 :: v_dual_mul_f32 v3, s14, v3
	s_cmp_eq_f32 s12, 0
	s_cbranch_scc0 .LBB0_40
; %bb.39:
	v_ashrrev_i32_e32 v5, 31, v4
	s_mov_b32 s2, 0
	s_delay_alu instid0(VALU_DEP_1) | instskip(SKIP_1) | instid1(VALU_DEP_1)
	v_lshlrev_b64_e32 v[5:6], 2, v[4:5]
	s_wait_kmcnt 0x0
	v_add_co_u32 v5, vcc_lo, s0, v5
	s_wait_alu 0xfffd
	s_delay_alu instid0(VALU_DEP_2)
	v_add_co_ci_u32_e64 v6, null, s1, v6, vcc_lo
	global_store_b128 v[5:6], v[0:3], off
.LBB0_40:
	s_wait_alu 0xfffe
	s_and_not1_b32 vcc_lo, exec_lo, s2
	s_wait_alu 0xfffe
	s_cbranch_vccnz .LBB0_10
; %bb.41:
	v_ashrrev_i32_e32 v5, 31, v4
	s_delay_alu instid0(VALU_DEP_1) | instskip(SKIP_1) | instid1(VALU_DEP_1)
	v_lshlrev_b64_e32 v[4:5], 2, v[4:5]
	s_wait_kmcnt 0x0
	v_add_co_u32 v8, vcc_lo, s0, v4
	s_wait_alu 0xfffd
	s_delay_alu instid0(VALU_DEP_2)
	v_add_co_ci_u32_e64 v9, null, s1, v5, vcc_lo
	global_load_b128 v[4:7], v[8:9], off
	s_wait_loadcnt 0x0
	v_dual_fmac_f32 v0, s12, v4 :: v_dual_fmac_f32 v1, s12, v5
	v_dual_fmac_f32 v2, s12, v6 :: v_dual_fmac_f32 v3, s12, v7
	global_store_b128 v[8:9], v[0:3], off
	s_endpgm
	.section	.rodata,"a",@progbits
	.p2align	6, 0x0
	.amdhsa_kernel _ZN9rocsparseL18bsrxmvn_4x4_kernelILj128ELj4EfiifffEEvT3_20rocsparse_direction_NS_24const_host_device_scalarIT1_EES1_PKS1_PKT2_SA_S7_PKT4_PKT5_S5_PT6_21rocsparse_index_base_b
		.amdhsa_group_segment_fixed_size 0
		.amdhsa_private_segment_fixed_size 0
		.amdhsa_kernarg_size 96
		.amdhsa_user_sgpr_count 2
		.amdhsa_user_sgpr_dispatch_ptr 0
		.amdhsa_user_sgpr_queue_ptr 0
		.amdhsa_user_sgpr_kernarg_segment_ptr 1
		.amdhsa_user_sgpr_dispatch_id 0
		.amdhsa_user_sgpr_private_segment_size 0
		.amdhsa_wavefront_size32 1
		.amdhsa_uses_dynamic_stack 0
		.amdhsa_enable_private_segment 0
		.amdhsa_system_sgpr_workgroup_id_x 1
		.amdhsa_system_sgpr_workgroup_id_y 0
		.amdhsa_system_sgpr_workgroup_id_z 0
		.amdhsa_system_sgpr_workgroup_info 0
		.amdhsa_system_vgpr_workitem_id 0
		.amdhsa_next_free_vgpr 96
		.amdhsa_next_free_sgpr 18
		.amdhsa_reserve_vcc 1
		.amdhsa_float_round_mode_32 0
		.amdhsa_float_round_mode_16_64 0
		.amdhsa_float_denorm_mode_32 3
		.amdhsa_float_denorm_mode_16_64 3
		.amdhsa_fp16_overflow 0
		.amdhsa_workgroup_processor_mode 1
		.amdhsa_memory_ordered 1
		.amdhsa_forward_progress 1
		.amdhsa_inst_pref_size 30
		.amdhsa_round_robin_scheduling 0
		.amdhsa_exception_fp_ieee_invalid_op 0
		.amdhsa_exception_fp_denorm_src 0
		.amdhsa_exception_fp_ieee_div_zero 0
		.amdhsa_exception_fp_ieee_overflow 0
		.amdhsa_exception_fp_ieee_underflow 0
		.amdhsa_exception_fp_ieee_inexact 0
		.amdhsa_exception_int_div_zero 0
	.end_amdhsa_kernel
	.section	.text._ZN9rocsparseL18bsrxmvn_4x4_kernelILj128ELj4EfiifffEEvT3_20rocsparse_direction_NS_24const_host_device_scalarIT1_EES1_PKS1_PKT2_SA_S7_PKT4_PKT5_S5_PT6_21rocsparse_index_base_b,"axG",@progbits,_ZN9rocsparseL18bsrxmvn_4x4_kernelILj128ELj4EfiifffEEvT3_20rocsparse_direction_NS_24const_host_device_scalarIT1_EES1_PKS1_PKT2_SA_S7_PKT4_PKT5_S5_PT6_21rocsparse_index_base_b,comdat
.Lfunc_end0:
	.size	_ZN9rocsparseL18bsrxmvn_4x4_kernelILj128ELj4EfiifffEEvT3_20rocsparse_direction_NS_24const_host_device_scalarIT1_EES1_PKS1_PKT2_SA_S7_PKT4_PKT5_S5_PT6_21rocsparse_index_base_b, .Lfunc_end0-_ZN9rocsparseL18bsrxmvn_4x4_kernelILj128ELj4EfiifffEEvT3_20rocsparse_direction_NS_24const_host_device_scalarIT1_EES1_PKS1_PKT2_SA_S7_PKT4_PKT5_S5_PT6_21rocsparse_index_base_b
                                        ; -- End function
	.set _ZN9rocsparseL18bsrxmvn_4x4_kernelILj128ELj4EfiifffEEvT3_20rocsparse_direction_NS_24const_host_device_scalarIT1_EES1_PKS1_PKT2_SA_S7_PKT4_PKT5_S5_PT6_21rocsparse_index_base_b.num_vgpr, 96
	.set _ZN9rocsparseL18bsrxmvn_4x4_kernelILj128ELj4EfiifffEEvT3_20rocsparse_direction_NS_24const_host_device_scalarIT1_EES1_PKS1_PKT2_SA_S7_PKT4_PKT5_S5_PT6_21rocsparse_index_base_b.num_agpr, 0
	.set _ZN9rocsparseL18bsrxmvn_4x4_kernelILj128ELj4EfiifffEEvT3_20rocsparse_direction_NS_24const_host_device_scalarIT1_EES1_PKS1_PKT2_SA_S7_PKT4_PKT5_S5_PT6_21rocsparse_index_base_b.numbered_sgpr, 18
	.set _ZN9rocsparseL18bsrxmvn_4x4_kernelILj128ELj4EfiifffEEvT3_20rocsparse_direction_NS_24const_host_device_scalarIT1_EES1_PKS1_PKT2_SA_S7_PKT4_PKT5_S5_PT6_21rocsparse_index_base_b.num_named_barrier, 0
	.set _ZN9rocsparseL18bsrxmvn_4x4_kernelILj128ELj4EfiifffEEvT3_20rocsparse_direction_NS_24const_host_device_scalarIT1_EES1_PKS1_PKT2_SA_S7_PKT4_PKT5_S5_PT6_21rocsparse_index_base_b.private_seg_size, 0
	.set _ZN9rocsparseL18bsrxmvn_4x4_kernelILj128ELj4EfiifffEEvT3_20rocsparse_direction_NS_24const_host_device_scalarIT1_EES1_PKS1_PKT2_SA_S7_PKT4_PKT5_S5_PT6_21rocsparse_index_base_b.uses_vcc, 1
	.set _ZN9rocsparseL18bsrxmvn_4x4_kernelILj128ELj4EfiifffEEvT3_20rocsparse_direction_NS_24const_host_device_scalarIT1_EES1_PKS1_PKT2_SA_S7_PKT4_PKT5_S5_PT6_21rocsparse_index_base_b.uses_flat_scratch, 0
	.set _ZN9rocsparseL18bsrxmvn_4x4_kernelILj128ELj4EfiifffEEvT3_20rocsparse_direction_NS_24const_host_device_scalarIT1_EES1_PKS1_PKT2_SA_S7_PKT4_PKT5_S5_PT6_21rocsparse_index_base_b.has_dyn_sized_stack, 0
	.set _ZN9rocsparseL18bsrxmvn_4x4_kernelILj128ELj4EfiifffEEvT3_20rocsparse_direction_NS_24const_host_device_scalarIT1_EES1_PKS1_PKT2_SA_S7_PKT4_PKT5_S5_PT6_21rocsparse_index_base_b.has_recursion, 0
	.set _ZN9rocsparseL18bsrxmvn_4x4_kernelILj128ELj4EfiifffEEvT3_20rocsparse_direction_NS_24const_host_device_scalarIT1_EES1_PKS1_PKT2_SA_S7_PKT4_PKT5_S5_PT6_21rocsparse_index_base_b.has_indirect_call, 0
	.section	.AMDGPU.csdata,"",@progbits
; Kernel info:
; codeLenInByte = 3832
; TotalNumSgprs: 20
; NumVgprs: 96
; ScratchSize: 0
; MemoryBound: 0
; FloatMode: 240
; IeeeMode: 1
; LDSByteSize: 0 bytes/workgroup (compile time only)
; SGPRBlocks: 0
; VGPRBlocks: 11
; NumSGPRsForWavesPerEU: 20
; NumVGPRsForWavesPerEU: 96
; Occupancy: 16
; WaveLimiterHint : 1
; COMPUTE_PGM_RSRC2:SCRATCH_EN: 0
; COMPUTE_PGM_RSRC2:USER_SGPR: 2
; COMPUTE_PGM_RSRC2:TRAP_HANDLER: 0
; COMPUTE_PGM_RSRC2:TGID_X_EN: 1
; COMPUTE_PGM_RSRC2:TGID_Y_EN: 0
; COMPUTE_PGM_RSRC2:TGID_Z_EN: 0
; COMPUTE_PGM_RSRC2:TIDIG_COMP_CNT: 0
	.section	.text._ZN9rocsparseL18bsrxmvn_4x4_kernelILj128ELj8EfiifffEEvT3_20rocsparse_direction_NS_24const_host_device_scalarIT1_EES1_PKS1_PKT2_SA_S7_PKT4_PKT5_S5_PT6_21rocsparse_index_base_b,"axG",@progbits,_ZN9rocsparseL18bsrxmvn_4x4_kernelILj128ELj8EfiifffEEvT3_20rocsparse_direction_NS_24const_host_device_scalarIT1_EES1_PKS1_PKT2_SA_S7_PKT4_PKT5_S5_PT6_21rocsparse_index_base_b,comdat
	.globl	_ZN9rocsparseL18bsrxmvn_4x4_kernelILj128ELj8EfiifffEEvT3_20rocsparse_direction_NS_24const_host_device_scalarIT1_EES1_PKS1_PKT2_SA_S7_PKT4_PKT5_S5_PT6_21rocsparse_index_base_b ; -- Begin function _ZN9rocsparseL18bsrxmvn_4x4_kernelILj128ELj8EfiifffEEvT3_20rocsparse_direction_NS_24const_host_device_scalarIT1_EES1_PKS1_PKT2_SA_S7_PKT4_PKT5_S5_PT6_21rocsparse_index_base_b
	.p2align	8
	.type	_ZN9rocsparseL18bsrxmvn_4x4_kernelILj128ELj8EfiifffEEvT3_20rocsparse_direction_NS_24const_host_device_scalarIT1_EES1_PKS1_PKT2_SA_S7_PKT4_PKT5_S5_PT6_21rocsparse_index_base_b,@function
_ZN9rocsparseL18bsrxmvn_4x4_kernelILj128ELj8EfiifffEEvT3_20rocsparse_direction_NS_24const_host_device_scalarIT1_EES1_PKS1_PKT2_SA_S7_PKT4_PKT5_S5_PT6_21rocsparse_index_base_b: ; @_ZN9rocsparseL18bsrxmvn_4x4_kernelILj128ELj8EfiifffEEvT3_20rocsparse_direction_NS_24const_host_device_scalarIT1_EES1_PKS1_PKT2_SA_S7_PKT4_PKT5_S5_PT6_21rocsparse_index_base_b
; %bb.0:
	s_clause 0x2
	s_load_b64 s[16:17], s[0:1], 0x58
	s_load_b64 s[14:15], s[0:1], 0x8
	;; [unrolled: 1-line block ×3, first 2 shown]
	s_wait_kmcnt 0x0
	s_bitcmp1_b32 s17, 0
	s_cselect_b32 s2, -1, 0
	s_delay_alu instid0(SALU_CYCLE_1)
	s_and_b32 vcc_lo, exec_lo, s2
	s_xor_b32 s2, s2, -1
	s_cbranch_vccnz .LBB1_2
; %bb.1:
	s_load_b32 s14, s[14:15], 0x0
.LBB1_2:
	s_and_not1_b32 vcc_lo, exec_lo, s2
	s_cbranch_vccnz .LBB1_4
; %bb.3:
	s_load_b32 s12, s[12:13], 0x0
.LBB1_4:
	s_wait_kmcnt 0x0
	s_cmp_neq_f32 s14, 0
	s_mov_b32 s6, 0
	s_cselect_b32 s2, -1, 0
	s_cmp_neq_f32 s12, 1.0
	s_cselect_b32 s3, -1, 0
	s_delay_alu instid0(SALU_CYCLE_1) | instskip(NEXT) | instid1(SALU_CYCLE_1)
	s_or_b32 s2, s2, s3
	s_and_not1_b32 vcc_lo, exec_lo, s2
	s_cbranch_vccnz .LBB1_10
; %bb.5:
	s_clause 0x1
	s_load_b64 s[4:5], s[0:1], 0x18
	s_load_b64 s[2:3], s[0:1], 0x0
	v_lshrrev_b32_e32 v1, 3, v0
	s_delay_alu instid0(VALU_DEP_1)
	v_lshl_or_b32 v4, ttmp9, 4, v1
	s_wait_kmcnt 0x0
	s_cmp_lg_u64 s[4:5], 0
	s_cbranch_scc0 .LBB1_11
; %bb.6:
	s_load_b32 s6, s[0:1], 0x10
	s_mov_b32 s7, 0
                                        ; implicit-def: $vgpr1
	s_wait_kmcnt 0x0
	v_cmp_gt_i32_e32 vcc_lo, s6, v4
	s_mov_b32 s6, 0
	s_and_saveexec_b32 s8, vcc_lo
	s_delay_alu instid0(SALU_CYCLE_1)
	s_xor_b32 s8, exec_lo, s8
	s_cbranch_execz .LBB1_8
; %bb.7:
	v_ashrrev_i32_e32 v5, 31, v4
	s_mov_b32 s6, exec_lo
	s_delay_alu instid0(VALU_DEP_1) | instskip(NEXT) | instid1(VALU_DEP_1)
	v_lshlrev_b64_e32 v[1:2], 2, v[4:5]
	v_add_co_u32 v1, vcc_lo, s4, v1
	s_delay_alu instid0(VALU_DEP_1)
	v_add_co_ci_u32_e64 v2, null, s5, v2, vcc_lo
	global_load_b32 v1, v[1:2], off
	s_wait_loadcnt 0x0
	v_subrev_nc_u32_e32 v1, s16, v1
.LBB1_8:
	s_or_b32 exec_lo, exec_lo, s8
	s_delay_alu instid0(SALU_CYCLE_1)
	s_and_b32 vcc_lo, exec_lo, s7
	s_wait_alu 0xfffe
	s_cbranch_vccz .LBB1_12
.LBB1_9:
	v_cmp_gt_i32_e32 vcc_lo, s2, v4
	s_and_not1_b32 s2, s6, exec_lo
	s_and_b32 s4, vcc_lo, exec_lo
	s_wait_alu 0xfffe
	s_or_b32 s6, s2, s4
	s_wait_alu 0xfffe
	s_and_saveexec_b32 s2, s6
	s_cbranch_execnz .LBB1_13
.LBB1_10:
	s_endpgm
.LBB1_11:
                                        ; implicit-def: $vgpr1
	s_cbranch_execnz .LBB1_9
.LBB1_12:
	v_mov_b32_e32 v4, v1
	s_and_saveexec_b32 s2, s6
	s_cbranch_execz .LBB1_10
.LBB1_13:
	s_load_b256 s[4:11], s[0:1], 0x20
	s_delay_alu instid0(VALU_DEP_1) | instskip(SKIP_1) | instid1(VALU_DEP_2)
	v_ashrrev_i32_e32 v5, 31, v4
	v_and_b32_e32 v9, 7, v0
	v_lshlrev_b64_e32 v[1:2], 2, v[4:5]
	s_wait_kmcnt 0x0
	s_delay_alu instid0(VALU_DEP_1) | instskip(SKIP_1) | instid1(VALU_DEP_2)
	v_add_co_u32 v5, vcc_lo, s4, v1
	s_wait_alu 0xfffd
	v_add_co_ci_u32_e64 v6, null, s5, v2, vcc_lo
	v_add_co_u32 v1, vcc_lo, s6, v1
	s_wait_alu 0xfffd
	v_add_co_ci_u32_e64 v2, null, s7, v2, vcc_lo
	global_load_b32 v15, v[5:6], off
	v_add_co_u32 v3, vcc_lo, v5, 4
	s_wait_alu 0xfffd
	v_add_co_ci_u32_e64 v5, null, 0, v6, vcc_lo
	s_cmp_eq_u64 s[6:7], 0
	s_load_b64 s[4:5], s[0:1], 0x40
	s_cselect_b32 vcc_lo, -1, 0
	s_cmp_eq_u32 s3, 1
	s_wait_alu 0xfffe
	v_dual_cndmask_b32 v2, v2, v5 :: v_dual_cndmask_b32 v1, v1, v3
	global_load_b32 v5, v[1:2], off
	s_wait_loadcnt 0x1
	v_subrev_nc_u32_e32 v0, s16, v15
	s_delay_alu instid0(VALU_DEP_1) | instskip(NEXT) | instid1(VALU_DEP_1)
	v_add_nc_u32_e32 v0, v0, v9
	v_ashrrev_i32_e32 v1, 31, v0
	s_wait_loadcnt 0x0
	v_subrev_nc_u32_e32 v11, s16, v5
	s_delay_alu instid0(VALU_DEP_2) | instskip(NEXT) | instid1(VALU_DEP_2)
	v_lshlrev_b64_e32 v[2:3], 6, v[0:1]
	v_cmp_lt_i32_e64 s2, v0, v11
	s_delay_alu instid0(VALU_DEP_2) | instskip(SKIP_1) | instid1(VALU_DEP_3)
	v_add_co_u32 v2, vcc_lo, s10, v2
	s_wait_alu 0xfffd
	v_add_co_ci_u32_e64 v3, null, s11, v3, vcc_lo
	s_cbranch_scc1 .LBB1_25
; %bb.14:
	v_dual_mov_b32 v10, 0 :: v_dual_mov_b32 v13, 0
	v_mov_b32_e32 v14, 0
	v_mov_b32_e32 v12, 0
	s_and_saveexec_b32 s3, s2
	s_cbranch_execz .LBB1_24
; %bb.15:
	v_dual_mov_b32 v12, 0 :: v_dual_add_nc_u32 v1, v15, v9
	v_not_b32_e32 v5, v15
	v_mov_b32_e32 v10, 0
	v_dual_mov_b32 v8, v3 :: v_dual_mov_b32 v7, v2
	s_delay_alu instid0(VALU_DEP_4) | instskip(SKIP_2) | instid1(VALU_DEP_2)
	v_subrev_nc_u32_e32 v1, s16, v1
	s_mov_b32 s6, exec_lo
	v_dual_mov_b32 v14, 0 :: v_dual_mov_b32 v13, 0
	v_add_nc_u32_e32 v1, 8, v1
	s_delay_alu instid0(VALU_DEP_1) | instskip(NEXT) | instid1(VALU_DEP_1)
	v_max_i32_e32 v1, v1, v11
	v_add3_u32 v1, s16, v1, v5
	v_mov_b32_e32 v5, v0
	s_delay_alu instid0(VALU_DEP_2) | instskip(NEXT) | instid1(VALU_DEP_1)
	v_sub_nc_u32_e32 v1, v1, v9
	v_and_b32_e32 v6, 24, v1
	s_delay_alu instid0(VALU_DEP_1)
	v_cmpx_ne_u32_e32 24, v6
	s_cbranch_execz .LBB1_19
; %bb.16:
	v_lshrrev_b32_e32 v5, 3, v1
	v_dual_mov_b32 v8, v3 :: v_dual_mov_b32 v13, 0
	v_mov_b32_e32 v14, 0
	s_delay_alu instid0(VALU_DEP_3) | instskip(SKIP_2) | instid1(VALU_DEP_2)
	v_dual_mov_b32 v12, 0 :: v_dual_add_nc_u32 v5, 1, v5
	v_mov_b32_e32 v10, 0
	s_mov_b32 s7, 0
	v_dual_mov_b32 v7, v2 :: v_dual_and_b32 v6, 3, v5
	v_mov_b32_e32 v5, v0
	s_delay_alu instid0(VALU_DEP_2)
	v_sub_nc_u32_e32 v16, 0, v6
.LBB1_17:                               ; =>This Inner Loop Header: Depth=1
	s_delay_alu instid0(VALU_DEP_2) | instskip(NEXT) | instid1(VALU_DEP_2)
	v_ashrrev_i32_e32 v6, 31, v5
	v_add_co_u32 v16, s10, v16, 1
	s_wait_alu 0xfffe
	s_or_b32 s7, s10, s7
	s_delay_alu instid0(VALU_DEP_2) | instskip(SKIP_1) | instid1(VALU_DEP_2)
	v_lshlrev_b64_e32 v[17:18], 2, v[5:6]
	v_add_nc_u32_e32 v5, 8, v5
	v_add_co_u32 v17, vcc_lo, s8, v17
	s_wait_alu 0xfffd
	s_delay_alu instid0(VALU_DEP_3)
	v_add_co_ci_u32_e64 v18, null, s9, v18, vcc_lo
	global_load_b32 v6, v[17:18], off
	s_clause 0x3
	global_load_b128 v[17:20], v[7:8], off offset:48
	global_load_b128 v[21:24], v[7:8], off offset:32
	;; [unrolled: 1-line block ×3, first 2 shown]
	global_load_b128 v[29:32], v[7:8], off
	s_wait_loadcnt 0x4
	v_subrev_nc_u32_e32 v6, s16, v6
	s_delay_alu instid0(VALU_DEP_1) | instskip(NEXT) | instid1(VALU_DEP_1)
	v_lshlrev_b32_e32 v33, 2, v6
	v_ashrrev_i32_e32 v34, 31, v33
	s_delay_alu instid0(VALU_DEP_1) | instskip(SKIP_1) | instid1(VALU_DEP_1)
	v_lshlrev_b64_e32 v[33:34], 2, v[33:34]
	s_wait_kmcnt 0x0
	v_add_co_u32 v33, vcc_lo, s4, v33
	s_wait_alu 0xfffd
	s_delay_alu instid0(VALU_DEP_2)
	v_add_co_ci_u32_e64 v34, null, s5, v34, vcc_lo
	v_add_co_u32 v7, vcc_lo, 0x200, v7
	s_wait_alu 0xfffd
	v_add_co_ci_u32_e64 v8, null, 0, v8, vcc_lo
	global_load_b128 v[33:36], v[33:34], off
	s_wait_loadcnt 0x0
	v_fmac_f32_e32 v13, v21, v33
	s_delay_alu instid0(VALU_DEP_1) | instskip(SKIP_1) | instid1(VALU_DEP_2)
	v_dual_fmac_f32 v12, v29, v33 :: v_dual_fmac_f32 v13, v22, v34
	v_fmac_f32_e32 v14, v25, v33
	v_dual_fmac_f32 v12, v30, v34 :: v_dual_fmac_f32 v13, v23, v35
	v_fmac_f32_e32 v10, v17, v33
	s_delay_alu instid0(VALU_DEP_3) | instskip(NEXT) | instid1(VALU_DEP_3)
	v_fmac_f32_e32 v14, v26, v34
	v_dual_fmac_f32 v12, v31, v35 :: v_dual_fmac_f32 v13, v24, v36
	s_delay_alu instid0(VALU_DEP_3) | instskip(NEXT) | instid1(VALU_DEP_3)
	v_fmac_f32_e32 v10, v18, v34
	v_fmac_f32_e32 v14, v27, v35
	s_delay_alu instid0(VALU_DEP_3) | instskip(NEXT) | instid1(VALU_DEP_3)
	v_fmac_f32_e32 v12, v32, v36
	v_fmac_f32_e32 v10, v19, v35
	s_delay_alu instid0(VALU_DEP_3) | instskip(NEXT) | instid1(VALU_DEP_2)
	v_fmac_f32_e32 v14, v28, v36
	v_fmac_f32_e32 v10, v20, v36
	s_wait_alu 0xfffe
	s_and_not1_b32 exec_lo, exec_lo, s7
	s_cbranch_execnz .LBB1_17
; %bb.18:
	s_or_b32 exec_lo, exec_lo, s7
.LBB1_19:
	s_wait_alu 0xfffe
	s_or_b32 exec_lo, exec_lo, s6
	s_delay_alu instid0(SALU_CYCLE_1)
	s_mov_b32 s6, exec_lo
	v_cmpx_lt_u32_e32 23, v1
	s_cbranch_execz .LBB1_23
; %bb.20:
	s_mov_b32 s7, 0
.LBB1_21:                               ; =>This Inner Loop Header: Depth=1
	v_ashrrev_i32_e32 v6, 31, v5
	s_delay_alu instid0(VALU_DEP_1) | instskip(SKIP_1) | instid1(VALU_DEP_2)
	v_lshlrev_b64_e32 v[16:17], 2, v[5:6]
	v_add_nc_u32_e32 v5, 32, v5
	v_add_co_u32 v16, vcc_lo, s8, v16
	s_wait_alu 0xfffd
	s_delay_alu instid0(VALU_DEP_3)
	v_add_co_ci_u32_e64 v17, null, s9, v17, vcc_lo
	s_clause 0x3
	global_load_b32 v1, v[16:17], off
	global_load_b32 v6, v[16:17], off offset:32
	global_load_b32 v80, v[16:17], off offset:64
	;; [unrolled: 1-line block ×3, first 2 shown]
	s_clause 0xf
	global_load_b128 v[16:19], v[7:8], off offset:48
	global_load_b128 v[20:23], v[7:8], off offset:32
	;; [unrolled: 1-line block ×3, first 2 shown]
	global_load_b128 v[28:31], v[7:8], off
	global_load_b128 v[32:35], v[7:8], off offset:560
	global_load_b128 v[36:39], v[7:8], off offset:544
	;; [unrolled: 1-line block ×12, first 2 shown]
	s_wait_loadcnt 0x13
	v_subrev_nc_u32_e32 v1, s16, v1
	s_wait_loadcnt 0x12
	v_subrev_nc_u32_e32 v6, s16, v6
	;; [unrolled: 2-line block ×4, first 2 shown]
	v_lshlrev_b32_e32 v80, 2, v1
	s_delay_alu instid0(VALU_DEP_3) | instskip(NEXT) | instid1(VALU_DEP_3)
	v_lshlrev_b32_e32 v88, 2, v82
	v_lshlrev_b32_e32 v92, 2, v81
	s_delay_alu instid0(VALU_DEP_3) | instskip(NEXT) | instid1(VALU_DEP_1)
	v_ashrrev_i32_e32 v81, 31, v80
	v_lshlrev_b64_e32 v[80:81], 2, v[80:81]
	s_wait_kmcnt 0x0
	s_delay_alu instid0(VALU_DEP_1) | instskip(SKIP_1) | instid1(VALU_DEP_2)
	v_add_co_u32 v80, vcc_lo, s4, v80
	s_wait_alu 0xfffd
	v_add_co_ci_u32_e64 v81, null, s5, v81, vcc_lo
	global_load_b128 v[80:83], v[80:81], off
	v_lshlrev_b32_e32 v84, 2, v6
	s_delay_alu instid0(VALU_DEP_1) | instskip(NEXT) | instid1(VALU_DEP_1)
	v_ashrrev_i32_e32 v85, 31, v84
	v_lshlrev_b64_e32 v[84:85], 2, v[84:85]
	s_delay_alu instid0(VALU_DEP_1) | instskip(SKIP_1) | instid1(VALU_DEP_2)
	v_add_co_u32 v84, vcc_lo, s4, v84
	s_wait_alu 0xfffd
	v_add_co_ci_u32_e64 v85, null, s5, v85, vcc_lo
	global_load_b128 v[84:87], v[84:85], off
	s_wait_loadcnt 0x1
	v_fmac_f32_e32 v13, v20, v80
	s_delay_alu instid0(VALU_DEP_1) | instskip(SKIP_1) | instid1(VALU_DEP_2)
	v_fmac_f32_e32 v13, v21, v81
	v_ashrrev_i32_e32 v89, 31, v88
	v_fmac_f32_e32 v13, v22, v82
	s_delay_alu instid0(VALU_DEP_2) | instskip(NEXT) | instid1(VALU_DEP_2)
	v_lshlrev_b64_e32 v[88:89], 2, v[88:89]
	v_fmac_f32_e32 v13, v23, v83
	v_ashrrev_i32_e32 v93, 31, v92
	s_delay_alu instid0(VALU_DEP_3) | instskip(SKIP_1) | instid1(VALU_DEP_4)
	v_add_co_u32 v88, vcc_lo, s4, v88
	s_wait_alu 0xfffd
	v_add_co_ci_u32_e64 v89, null, s5, v89, vcc_lo
	s_delay_alu instid0(VALU_DEP_3)
	v_lshlrev_b64_e32 v[92:93], 2, v[92:93]
	global_load_b128 v[88:91], v[88:89], off
	s_wait_loadcnt 0x1
	v_fmac_f32_e32 v13, v36, v84
	v_fmac_f32_e32 v12, v28, v80
	v_add_co_u32 v92, vcc_lo, s4, v92
	s_wait_alu 0xfffd
	v_add_co_ci_u32_e64 v93, null, s5, v93, vcc_lo
	v_dual_fmac_f32 v13, v37, v85 :: v_dual_fmac_f32 v14, v24, v80
	v_add_co_u32 v7, vcc_lo, 0x800, v7
	global_load_b128 v[92:95], v[92:93], off
	v_dual_fmac_f32 v13, v38, v86 :: v_dual_fmac_f32 v10, v16, v80
	s_wait_alu 0xfffd
	v_add_co_ci_u32_e64 v8, null, 0, v8, vcc_lo
	v_cmp_ge_i32_e32 vcc_lo, v5, v11
	s_delay_alu instid0(VALU_DEP_3) | instskip(SKIP_3) | instid1(VALU_DEP_1)
	v_dual_fmac_f32 v13, v39, v87 :: v_dual_fmac_f32 v12, v29, v81
	s_wait_alu 0xfffe
	s_or_b32 s7, vcc_lo, s7
	s_wait_loadcnt 0x1
	v_dual_fmac_f32 v13, v52, v88 :: v_dual_fmac_f32 v12, v30, v82
	s_delay_alu instid0(VALU_DEP_1) | instskip(SKIP_1) | instid1(VALU_DEP_2)
	v_fmac_f32_e32 v13, v53, v89
	v_fmac_f32_e32 v14, v25, v81
	v_dual_fmac_f32 v12, v31, v83 :: v_dual_fmac_f32 v13, v54, v90
	s_delay_alu instid0(VALU_DEP_1) | instskip(SKIP_1) | instid1(VALU_DEP_1)
	v_dual_fmac_f32 v10, v17, v81 :: v_dual_fmac_f32 v13, v55, v91
	s_wait_loadcnt 0x0
	v_dual_fmac_f32 v14, v26, v82 :: v_dual_fmac_f32 v13, v68, v92
	s_delay_alu instid0(VALU_DEP_1) | instskip(NEXT) | instid1(VALU_DEP_2)
	v_dual_fmac_f32 v10, v18, v82 :: v_dual_fmac_f32 v13, v69, v93
	v_fmac_f32_e32 v14, v27, v83
	s_delay_alu instid0(VALU_DEP_2) | instskip(SKIP_1) | instid1(VALU_DEP_3)
	v_dual_fmac_f32 v10, v19, v83 :: v_dual_fmac_f32 v13, v70, v94
	v_fmac_f32_e32 v12, v44, v84
	v_fmac_f32_e32 v14, v40, v84
	s_delay_alu instid0(VALU_DEP_3) | instskip(NEXT) | instid1(VALU_DEP_3)
	v_dual_fmac_f32 v10, v32, v84 :: v_dual_fmac_f32 v13, v71, v95
	v_fmac_f32_e32 v12, v45, v85
	s_delay_alu instid0(VALU_DEP_3) | instskip(NEXT) | instid1(VALU_DEP_3)
	v_fmac_f32_e32 v14, v41, v85
	v_fmac_f32_e32 v10, v33, v85
	s_delay_alu instid0(VALU_DEP_3) | instskip(NEXT) | instid1(VALU_DEP_3)
	v_fmac_f32_e32 v12, v46, v86
	;; [unrolled: 3-line block ×16, first 2 shown]
	v_fmac_f32_e32 v10, v67, v95
	s_wait_alu 0xfffe
	s_and_not1_b32 exec_lo, exec_lo, s7
	s_cbranch_execnz .LBB1_21
; %bb.22:
	s_or_b32 exec_lo, exec_lo, s7
.LBB1_23:
	s_wait_alu 0xfffe
	s_or_b32 exec_lo, exec_lo, s6
.LBB1_24:
	s_wait_alu 0xfffe
	s_or_b32 exec_lo, exec_lo, s3
	s_cbranch_execz .LBB1_26
	s_branch .LBB1_37
.LBB1_25:
                                        ; implicit-def: $vgpr10
                                        ; implicit-def: $vgpr13
                                        ; implicit-def: $vgpr14
                                        ; implicit-def: $vgpr12
.LBB1_26:
	v_dual_mov_b32 v10, 0 :: v_dual_mov_b32 v13, 0
	v_mov_b32_e32 v14, 0
	v_mov_b32_e32 v12, 0
	s_and_saveexec_b32 s3, s2
	s_cbranch_execz .LBB1_36
; %bb.27:
	v_dual_mov_b32 v12, 0 :: v_dual_add_nc_u32 v1, v15, v9
	v_not_b32_e32 v5, v15
	v_mov_b32_e32 v13, 0
	s_mov_b32 s2, exec_lo
	s_delay_alu instid0(VALU_DEP_3) | instskip(SKIP_1) | instid1(VALU_DEP_2)
	v_subrev_nc_u32_e32 v1, s16, v1
	v_mov_b32_e32 v14, 0
	v_dual_mov_b32 v10, 0 :: v_dual_add_nc_u32 v1, 8, v1
	s_delay_alu instid0(VALU_DEP_1) | instskip(NEXT) | instid1(VALU_DEP_1)
	v_max_i32_e32 v1, v1, v11
	v_add3_u32 v1, s16, v1, v5
	s_delay_alu instid0(VALU_DEP_1) | instskip(NEXT) | instid1(VALU_DEP_1)
	v_sub_nc_u32_e32 v5, v1, v9
	v_and_b32_e32 v1, 24, v5
	s_delay_alu instid0(VALU_DEP_1)
	v_cmpx_ne_u32_e32 24, v1
	s_cbranch_execz .LBB1_31
; %bb.28:
	v_lshrrev_b32_e32 v1, 3, v5
	v_dual_mov_b32 v13, 0 :: v_dual_mov_b32 v12, 0
	s_mov_b32 s6, 0
	s_delay_alu instid0(VALU_DEP_2) | instskip(NEXT) | instid1(VALU_DEP_1)
	v_dual_mov_b32 v10, 0 :: v_dual_add_nc_u32 v1, 1, v1
	v_dual_mov_b32 v14, 0 :: v_dual_and_b32 v1, 3, v1
	s_delay_alu instid0(VALU_DEP_1)
	v_sub_nc_u32_e32 v6, 0, v1
.LBB1_29:                               ; =>This Inner Loop Header: Depth=1
	v_ashrrev_i32_e32 v1, 31, v0
	s_delay_alu instid0(VALU_DEP_2) | instskip(SKIP_2) | instid1(VALU_DEP_2)
	v_add_co_u32 v6, s7, v6, 1
	s_wait_alu 0xfffe
	s_or_b32 s6, s7, s6
	v_lshlrev_b64_e32 v[7:8], 2, v[0:1]
	v_add_nc_u32_e32 v0, 8, v0
	s_delay_alu instid0(VALU_DEP_2) | instskip(SKIP_1) | instid1(VALU_DEP_3)
	v_add_co_u32 v7, vcc_lo, s8, v7
	s_wait_alu 0xfffd
	v_add_co_ci_u32_e64 v8, null, s9, v8, vcc_lo
	global_load_b32 v1, v[7:8], off
	s_clause 0x1
	global_load_b128 v[15:18], v[2:3], off offset:16
	global_load_b128 v[19:22], v[2:3], off
	s_wait_loadcnt 0x2
	v_subrev_nc_u32_e32 v1, s16, v1
	s_delay_alu instid0(VALU_DEP_1) | instskip(NEXT) | instid1(VALU_DEP_1)
	v_lshlrev_b32_e32 v7, 2, v1
	v_ashrrev_i32_e32 v8, 31, v7
	s_delay_alu instid0(VALU_DEP_1) | instskip(SKIP_1) | instid1(VALU_DEP_1)
	v_lshlrev_b64_e32 v[7:8], 2, v[7:8]
	s_wait_kmcnt 0x0
	v_add_co_u32 v7, vcc_lo, s4, v7
	s_wait_alu 0xfffd
	s_delay_alu instid0(VALU_DEP_2)
	v_add_co_ci_u32_e64 v8, null, s5, v8, vcc_lo
	global_load_b128 v[23:26], v[7:8], off
	s_clause 0x1
	global_load_b128 v[27:30], v[2:3], off offset:32
	global_load_b128 v[31:34], v[2:3], off offset:48
	v_add_co_u32 v2, vcc_lo, 0x200, v2
	s_wait_alu 0xfffd
	v_add_co_ci_u32_e64 v3, null, 0, v3, vcc_lo
	s_wait_loadcnt 0x2
	v_fmac_f32_e32 v12, v19, v23
	s_delay_alu instid0(VALU_DEP_1) | instskip(NEXT) | instid1(VALU_DEP_1)
	v_dual_fmac_f32 v13, v21, v23 :: v_dual_fmac_f32 v12, v15, v24
	v_dual_fmac_f32 v14, v20, v23 :: v_dual_fmac_f32 v13, v17, v24
	v_fmac_f32_e32 v10, v22, v23
	s_wait_loadcnt 0x1
	s_delay_alu instid0(VALU_DEP_3) | instskip(NEXT) | instid1(VALU_DEP_3)
	v_fmac_f32_e32 v12, v27, v25
	v_dual_fmac_f32 v13, v29, v25 :: v_dual_fmac_f32 v14, v16, v24
	s_delay_alu instid0(VALU_DEP_3) | instskip(SKIP_1) | instid1(VALU_DEP_3)
	v_fmac_f32_e32 v10, v18, v24
	s_wait_loadcnt 0x0
	v_fmac_f32_e32 v12, v31, v26
	s_delay_alu instid0(VALU_DEP_3) | instskip(NEXT) | instid1(VALU_DEP_3)
	v_dual_fmac_f32 v13, v33, v26 :: v_dual_fmac_f32 v14, v28, v25
	v_fmac_f32_e32 v10, v30, v25
	s_delay_alu instid0(VALU_DEP_2) | instskip(NEXT) | instid1(VALU_DEP_2)
	v_fmac_f32_e32 v14, v32, v26
	v_fmac_f32_e32 v10, v34, v26
	s_wait_alu 0xfffe
	s_and_not1_b32 exec_lo, exec_lo, s6
	s_cbranch_execnz .LBB1_29
; %bb.30:
	s_or_b32 exec_lo, exec_lo, s6
.LBB1_31:
	s_wait_alu 0xfffe
	s_or_b32 exec_lo, exec_lo, s2
	s_delay_alu instid0(SALU_CYCLE_1)
	s_mov_b32 s2, exec_lo
	v_cmpx_lt_u32_e32 23, v5
	s_cbranch_execz .LBB1_35
; %bb.32:
	s_mov_b32 s6, 0
.LBB1_33:                               ; =>This Inner Loop Header: Depth=1
	v_ashrrev_i32_e32 v1, 31, v0
	s_delay_alu instid0(VALU_DEP_1) | instskip(SKIP_1) | instid1(VALU_DEP_2)
	v_lshlrev_b64_e32 v[5:6], 2, v[0:1]
	v_add_nc_u32_e32 v0, 32, v0
	v_add_co_u32 v5, vcc_lo, s8, v5
	s_wait_alu 0xfffd
	s_delay_alu instid0(VALU_DEP_3)
	v_add_co_ci_u32_e64 v6, null, s9, v6, vcc_lo
	s_clause 0x3
	global_load_b32 v1, v[5:6], off
	global_load_b32 v67, v[5:6], off offset:32
	global_load_b32 v68, v[5:6], off offset:64
	;; [unrolled: 1-line block ×3, first 2 shown]
	s_clause 0xd
	global_load_b128 v[5:8], v[2:3], off offset:48
	global_load_b128 v[15:18], v[2:3], off offset:32
	;; [unrolled: 1-line block ×3, first 2 shown]
	global_load_b128 v[23:26], v[2:3], off
	global_load_b128 v[27:30], v[2:3], off offset:560
	global_load_b128 v[31:34], v[2:3], off offset:544
	;; [unrolled: 1-line block ×10, first 2 shown]
	s_wait_loadcnt 0x11
	v_subrev_nc_u32_e32 v1, s16, v1
	s_wait_loadcnt 0x10
	v_subrev_nc_u32_e32 v70, s16, v67
	;; [unrolled: 2-line block ×4, first 2 shown]
	v_lshlrev_b32_e32 v67, 2, v1
	v_lshlrev_b32_e32 v71, 2, v70
	;; [unrolled: 1-line block ×3, first 2 shown]
	s_delay_alu instid0(VALU_DEP_4) | instskip(NEXT) | instid1(VALU_DEP_4)
	v_lshlrev_b32_e32 v79, 2, v69
	v_ashrrev_i32_e32 v68, 31, v67
	s_delay_alu instid0(VALU_DEP_4) | instskip(NEXT) | instid1(VALU_DEP_2)
	v_ashrrev_i32_e32 v72, 31, v71
	v_lshlrev_b64_e32 v[67:68], 2, v[67:68]
	s_delay_alu instid0(VALU_DEP_2) | instskip(SKIP_1) | instid1(VALU_DEP_2)
	v_lshlrev_b64_e32 v[71:72], 2, v[71:72]
	s_wait_kmcnt 0x0
	v_add_co_u32 v67, vcc_lo, s4, v67
	s_wait_alu 0xfffd
	s_delay_alu instid0(VALU_DEP_3) | instskip(NEXT) | instid1(VALU_DEP_3)
	v_add_co_ci_u32_e64 v68, null, s5, v68, vcc_lo
	v_add_co_u32 v71, vcc_lo, s4, v71
	s_wait_alu 0xfffd
	v_add_co_ci_u32_e64 v72, null, s5, v72, vcc_lo
	s_clause 0x1
	global_load_b128 v[67:70], v[67:68], off
	global_load_b128 v[71:74], v[71:72], off
	s_wait_loadcnt 0x1
	v_fmac_f32_e32 v14, v24, v67
	v_ashrrev_i32_e32 v76, 31, v75
	v_fmac_f32_e32 v10, v26, v67
	v_ashrrev_i32_e32 v80, 31, v79
	v_fmac_f32_e32 v12, v23, v67
	v_dual_fmac_f32 v13, v25, v67 :: v_dual_fmac_f32 v14, v20, v68
	v_lshlrev_b64_e32 v[75:76], 2, v[75:76]
	s_delay_alu instid0(VALU_DEP_4) | instskip(NEXT) | instid1(VALU_DEP_4)
	v_lshlrev_b64_e32 v[79:80], 2, v[79:80]
	v_fmac_f32_e32 v12, v19, v68
	s_delay_alu instid0(VALU_DEP_4) | instskip(NEXT) | instid1(VALU_DEP_4)
	v_fmac_f32_e32 v13, v21, v68
	v_add_co_u32 v75, vcc_lo, s4, v75
	s_wait_alu 0xfffd
	v_add_co_ci_u32_e64 v76, null, s5, v76, vcc_lo
	v_add_co_u32 v79, vcc_lo, s4, v79
	s_wait_alu 0xfffd
	v_add_co_ci_u32_e64 v80, null, s5, v80, vcc_lo
	s_clause 0x1
	global_load_b128 v[75:78], v[75:76], off
	global_load_b128 v[79:82], v[79:80], off
	s_clause 0x1
	global_load_b128 v[83:86], v[2:3], off offset:1568
	global_load_b128 v[87:90], v[2:3], off offset:1584
	v_fmac_f32_e32 v12, v15, v69
	v_dual_fmac_f32 v10, v22, v68 :: v_dual_fmac_f32 v13, v17, v69
	v_fmac_f32_e32 v14, v16, v69
	v_add_co_u32 v2, vcc_lo, 0x800, v2
	s_delay_alu instid0(VALU_DEP_4) | instskip(NEXT) | instid1(VALU_DEP_4)
	v_fmac_f32_e32 v12, v5, v70
	v_dual_fmac_f32 v13, v7, v70 :: v_dual_fmac_f32 v10, v18, v69
	s_wait_alu 0xfffd
	v_add_co_ci_u32_e64 v3, null, 0, v3, vcc_lo
	v_cmp_ge_i32_e32 vcc_lo, v0, v11
	s_wait_loadcnt 0x4
	v_dual_fmac_f32 v13, v41, v71 :: v_dual_fmac_f32 v14, v6, v70
	s_wait_alu 0xfffe
	s_or_b32 s6, vcc_lo, s6
	s_delay_alu instid0(VALU_DEP_1) | instskip(NEXT) | instid1(VALU_DEP_1)
	v_dual_fmac_f32 v13, v37, v72 :: v_dual_fmac_f32 v10, v8, v70
	v_dual_fmac_f32 v13, v33, v73 :: v_dual_fmac_f32 v12, v39, v71
	s_delay_alu instid0(VALU_DEP_1) | instskip(SKIP_1) | instid1(VALU_DEP_1)
	v_dual_fmac_f32 v13, v29, v74 :: v_dual_fmac_f32 v12, v35, v72
	s_wait_loadcnt 0x3
	v_fmac_f32_e32 v13, v57, v75
	s_delay_alu instid0(VALU_DEP_1) | instskip(NEXT) | instid1(VALU_DEP_1)
	v_dual_fmac_f32 v14, v40, v71 :: v_dual_fmac_f32 v13, v53, v76
	v_dual_fmac_f32 v10, v42, v71 :: v_dual_fmac_f32 v13, v49, v77
	s_delay_alu instid0(VALU_DEP_1) | instskip(SKIP_1) | instid1(VALU_DEP_1)
	v_dual_fmac_f32 v14, v36, v72 :: v_dual_fmac_f32 v13, v45, v78
	s_wait_loadcnt 0x2
	v_dual_fmac_f32 v10, v38, v72 :: v_dual_fmac_f32 v13, v65, v79
	v_fmac_f32_e32 v12, v31, v73
	s_delay_alu instid0(VALU_DEP_2) | instskip(NEXT) | instid1(VALU_DEP_2)
	v_dual_fmac_f32 v10, v34, v73 :: v_dual_fmac_f32 v13, v61, v80
	v_fmac_f32_e32 v12, v27, v74
	s_wait_loadcnt 0x1
	s_delay_alu instid0(VALU_DEP_2) | instskip(SKIP_1) | instid1(VALU_DEP_3)
	v_dual_fmac_f32 v10, v30, v74 :: v_dual_fmac_f32 v13, v85, v81
	v_fmac_f32_e32 v14, v32, v73
	v_fmac_f32_e32 v12, v55, v75
	s_wait_loadcnt 0x0
	s_delay_alu instid0(VALU_DEP_3) | instskip(NEXT) | instid1(VALU_DEP_3)
	v_dual_fmac_f32 v10, v58, v75 :: v_dual_fmac_f32 v13, v89, v82
	v_fmac_f32_e32 v14, v28, v74
	s_delay_alu instid0(VALU_DEP_3) | instskip(NEXT) | instid1(VALU_DEP_3)
	v_fmac_f32_e32 v12, v51, v76
	v_fmac_f32_e32 v10, v54, v76
	s_delay_alu instid0(VALU_DEP_3) | instskip(NEXT) | instid1(VALU_DEP_3)
	v_fmac_f32_e32 v14, v56, v75
	;; [unrolled: 3-line block ×10, first 2 shown]
	v_fmac_f32_e32 v10, v90, v82
	s_delay_alu instid0(VALU_DEP_3) | instskip(NEXT) | instid1(VALU_DEP_1)
	v_fmac_f32_e32 v14, v84, v81
	v_fmac_f32_e32 v14, v88, v82
	s_wait_alu 0xfffe
	s_and_not1_b32 exec_lo, exec_lo, s6
	s_cbranch_execnz .LBB1_33
; %bb.34:
	s_or_b32 exec_lo, exec_lo, s6
.LBB1_35:
	s_wait_alu 0xfffe
	s_or_b32 exec_lo, exec_lo, s2
.LBB1_36:
	s_wait_alu 0xfffe
	s_or_b32 exec_lo, exec_lo, s3
.LBB1_37:
	v_mbcnt_lo_u32_b32 v0, -1, 0
	s_mov_b32 s2, -1
	s_delay_alu instid0(VALU_DEP_1) | instskip(SKIP_2) | instid1(VALU_DEP_3)
	v_xor_b32_e32 v1, 4, v0
	v_xor_b32_e32 v6, 2, v0
	;; [unrolled: 1-line block ×3, first 2 shown]
	v_cmp_gt_i32_e32 vcc_lo, 32, v1
	s_wait_alu 0xfffd
	v_cndmask_b32_e32 v1, v0, v1, vcc_lo
	v_cmp_gt_i32_e32 vcc_lo, 32, v6
	s_wait_alu 0xfffd
	v_cndmask_b32_e32 v6, v0, v6, vcc_lo
	v_cmp_gt_i32_e32 vcc_lo, 32, v11
	s_delay_alu instid0(VALU_DEP_2)
	v_lshlrev_b32_e32 v6, 2, v6
	s_wait_alu 0xfffd
	v_dual_cndmask_b32 v0, v0, v11 :: v_dual_lshlrev_b32 v1, 2, v1
	v_cmp_eq_u32_e32 vcc_lo, 7, v9
	ds_bpermute_b32 v2, v1, v12
	s_wait_dscnt 0x0
	v_add_f32_e32 v2, v12, v2
	ds_bpermute_b32 v5, v1, v13
	ds_bpermute_b32 v3, v1, v14
	ds_bpermute_b32 v1, v1, v10
	s_wait_dscnt 0x2
	v_add_f32_e32 v5, v13, v5
	s_wait_dscnt 0x1
	v_add_f32_e32 v3, v14, v3
	;; [unrolled: 2-line block ×3, first 2 shown]
	ds_bpermute_b32 v1, v6, v2
	v_lshlrev_b32_e32 v11, 2, v0
	ds_bpermute_b32 v10, v6, v5
	ds_bpermute_b32 v8, v6, v3
	s_wait_dscnt 0x2
	v_add_f32_e32 v0, v2, v1
	s_wait_dscnt 0x1
	v_add_f32_e32 v2, v5, v10
	ds_bpermute_b32 v6, v6, v7
	s_wait_dscnt 0x1
	v_add_f32_e32 v1, v3, v8
	ds_bpermute_b32 v5, v11, v0
	;; [unrolled: 3-line block ×3, first 2 shown]
	ds_bpermute_b32 v7, v11, v2
	ds_bpermute_b32 v8, v11, v3
	s_and_b32 exec_lo, exec_lo, vcc_lo
	s_cbranch_execz .LBB1_10
; %bb.38:
	s_load_b64 s[0:1], s[0:1], 0x50
	s_wait_dscnt 0x2
	v_dual_add_f32 v0, v0, v5 :: v_dual_add_f32 v1, v1, v6
	s_wait_dscnt 0x0
	v_dual_add_f32 v2, v2, v7 :: v_dual_add_f32 v3, v3, v8
	v_lshlrev_b32_e32 v4, 2, v4
	s_delay_alu instid0(VALU_DEP_3) | instskip(NEXT) | instid1(VALU_DEP_3)
	v_dual_mul_f32 v0, s14, v0 :: v_dual_mul_f32 v1, s14, v1
	v_dual_mul_f32 v2, s14, v2 :: v_dual_mul_f32 v3, s14, v3
	s_cmp_eq_f32 s12, 0
	s_cbranch_scc0 .LBB1_40
; %bb.39:
	v_ashrrev_i32_e32 v5, 31, v4
	s_mov_b32 s2, 0
	s_delay_alu instid0(VALU_DEP_1) | instskip(SKIP_1) | instid1(VALU_DEP_1)
	v_lshlrev_b64_e32 v[5:6], 2, v[4:5]
	s_wait_kmcnt 0x0
	v_add_co_u32 v5, vcc_lo, s0, v5
	s_wait_alu 0xfffd
	s_delay_alu instid0(VALU_DEP_2)
	v_add_co_ci_u32_e64 v6, null, s1, v6, vcc_lo
	global_store_b128 v[5:6], v[0:3], off
.LBB1_40:
	s_wait_alu 0xfffe
	s_and_not1_b32 vcc_lo, exec_lo, s2
	s_wait_alu 0xfffe
	s_cbranch_vccnz .LBB1_10
; %bb.41:
	v_ashrrev_i32_e32 v5, 31, v4
	s_delay_alu instid0(VALU_DEP_1) | instskip(SKIP_1) | instid1(VALU_DEP_1)
	v_lshlrev_b64_e32 v[4:5], 2, v[4:5]
	s_wait_kmcnt 0x0
	v_add_co_u32 v8, vcc_lo, s0, v4
	s_wait_alu 0xfffd
	s_delay_alu instid0(VALU_DEP_2)
	v_add_co_ci_u32_e64 v9, null, s1, v5, vcc_lo
	global_load_b128 v[4:7], v[8:9], off
	s_wait_loadcnt 0x0
	v_dual_fmac_f32 v0, s12, v4 :: v_dual_fmac_f32 v1, s12, v5
	v_dual_fmac_f32 v2, s12, v6 :: v_dual_fmac_f32 v3, s12, v7
	global_store_b128 v[8:9], v[0:3], off
	s_endpgm
	.section	.rodata,"a",@progbits
	.p2align	6, 0x0
	.amdhsa_kernel _ZN9rocsparseL18bsrxmvn_4x4_kernelILj128ELj8EfiifffEEvT3_20rocsparse_direction_NS_24const_host_device_scalarIT1_EES1_PKS1_PKT2_SA_S7_PKT4_PKT5_S5_PT6_21rocsparse_index_base_b
		.amdhsa_group_segment_fixed_size 0
		.amdhsa_private_segment_fixed_size 0
		.amdhsa_kernarg_size 96
		.amdhsa_user_sgpr_count 2
		.amdhsa_user_sgpr_dispatch_ptr 0
		.amdhsa_user_sgpr_queue_ptr 0
		.amdhsa_user_sgpr_kernarg_segment_ptr 1
		.amdhsa_user_sgpr_dispatch_id 0
		.amdhsa_user_sgpr_private_segment_size 0
		.amdhsa_wavefront_size32 1
		.amdhsa_uses_dynamic_stack 0
		.amdhsa_enable_private_segment 0
		.amdhsa_system_sgpr_workgroup_id_x 1
		.amdhsa_system_sgpr_workgroup_id_y 0
		.amdhsa_system_sgpr_workgroup_id_z 0
		.amdhsa_system_sgpr_workgroup_info 0
		.amdhsa_system_vgpr_workitem_id 0
		.amdhsa_next_free_vgpr 96
		.amdhsa_next_free_sgpr 18
		.amdhsa_reserve_vcc 1
		.amdhsa_float_round_mode_32 0
		.amdhsa_float_round_mode_16_64 0
		.amdhsa_float_denorm_mode_32 3
		.amdhsa_float_denorm_mode_16_64 3
		.amdhsa_fp16_overflow 0
		.amdhsa_workgroup_processor_mode 1
		.amdhsa_memory_ordered 1
		.amdhsa_forward_progress 1
		.amdhsa_inst_pref_size 32
		.amdhsa_round_robin_scheduling 0
		.amdhsa_exception_fp_ieee_invalid_op 0
		.amdhsa_exception_fp_denorm_src 0
		.amdhsa_exception_fp_ieee_div_zero 0
		.amdhsa_exception_fp_ieee_overflow 0
		.amdhsa_exception_fp_ieee_underflow 0
		.amdhsa_exception_fp_ieee_inexact 0
		.amdhsa_exception_int_div_zero 0
	.end_amdhsa_kernel
	.section	.text._ZN9rocsparseL18bsrxmvn_4x4_kernelILj128ELj8EfiifffEEvT3_20rocsparse_direction_NS_24const_host_device_scalarIT1_EES1_PKS1_PKT2_SA_S7_PKT4_PKT5_S5_PT6_21rocsparse_index_base_b,"axG",@progbits,_ZN9rocsparseL18bsrxmvn_4x4_kernelILj128ELj8EfiifffEEvT3_20rocsparse_direction_NS_24const_host_device_scalarIT1_EES1_PKS1_PKT2_SA_S7_PKT4_PKT5_S5_PT6_21rocsparse_index_base_b,comdat
.Lfunc_end1:
	.size	_ZN9rocsparseL18bsrxmvn_4x4_kernelILj128ELj8EfiifffEEvT3_20rocsparse_direction_NS_24const_host_device_scalarIT1_EES1_PKS1_PKT2_SA_S7_PKT4_PKT5_S5_PT6_21rocsparse_index_base_b, .Lfunc_end1-_ZN9rocsparseL18bsrxmvn_4x4_kernelILj128ELj8EfiifffEEvT3_20rocsparse_direction_NS_24const_host_device_scalarIT1_EES1_PKS1_PKT2_SA_S7_PKT4_PKT5_S5_PT6_21rocsparse_index_base_b
                                        ; -- End function
	.set _ZN9rocsparseL18bsrxmvn_4x4_kernelILj128ELj8EfiifffEEvT3_20rocsparse_direction_NS_24const_host_device_scalarIT1_EES1_PKS1_PKT2_SA_S7_PKT4_PKT5_S5_PT6_21rocsparse_index_base_b.num_vgpr, 96
	.set _ZN9rocsparseL18bsrxmvn_4x4_kernelILj128ELj8EfiifffEEvT3_20rocsparse_direction_NS_24const_host_device_scalarIT1_EES1_PKS1_PKT2_SA_S7_PKT4_PKT5_S5_PT6_21rocsparse_index_base_b.num_agpr, 0
	.set _ZN9rocsparseL18bsrxmvn_4x4_kernelILj128ELj8EfiifffEEvT3_20rocsparse_direction_NS_24const_host_device_scalarIT1_EES1_PKS1_PKT2_SA_S7_PKT4_PKT5_S5_PT6_21rocsparse_index_base_b.numbered_sgpr, 18
	.set _ZN9rocsparseL18bsrxmvn_4x4_kernelILj128ELj8EfiifffEEvT3_20rocsparse_direction_NS_24const_host_device_scalarIT1_EES1_PKS1_PKT2_SA_S7_PKT4_PKT5_S5_PT6_21rocsparse_index_base_b.num_named_barrier, 0
	.set _ZN9rocsparseL18bsrxmvn_4x4_kernelILj128ELj8EfiifffEEvT3_20rocsparse_direction_NS_24const_host_device_scalarIT1_EES1_PKS1_PKT2_SA_S7_PKT4_PKT5_S5_PT6_21rocsparse_index_base_b.private_seg_size, 0
	.set _ZN9rocsparseL18bsrxmvn_4x4_kernelILj128ELj8EfiifffEEvT3_20rocsparse_direction_NS_24const_host_device_scalarIT1_EES1_PKS1_PKT2_SA_S7_PKT4_PKT5_S5_PT6_21rocsparse_index_base_b.uses_vcc, 1
	.set _ZN9rocsparseL18bsrxmvn_4x4_kernelILj128ELj8EfiifffEEvT3_20rocsparse_direction_NS_24const_host_device_scalarIT1_EES1_PKS1_PKT2_SA_S7_PKT4_PKT5_S5_PT6_21rocsparse_index_base_b.uses_flat_scratch, 0
	.set _ZN9rocsparseL18bsrxmvn_4x4_kernelILj128ELj8EfiifffEEvT3_20rocsparse_direction_NS_24const_host_device_scalarIT1_EES1_PKS1_PKT2_SA_S7_PKT4_PKT5_S5_PT6_21rocsparse_index_base_b.has_dyn_sized_stack, 0
	.set _ZN9rocsparseL18bsrxmvn_4x4_kernelILj128ELj8EfiifffEEvT3_20rocsparse_direction_NS_24const_host_device_scalarIT1_EES1_PKS1_PKT2_SA_S7_PKT4_PKT5_S5_PT6_21rocsparse_index_base_b.has_recursion, 0
	.set _ZN9rocsparseL18bsrxmvn_4x4_kernelILj128ELj8EfiifffEEvT3_20rocsparse_direction_NS_24const_host_device_scalarIT1_EES1_PKS1_PKT2_SA_S7_PKT4_PKT5_S5_PT6_21rocsparse_index_base_b.has_indirect_call, 0
	.section	.AMDGPU.csdata,"",@progbits
; Kernel info:
; codeLenInByte = 3988
; TotalNumSgprs: 20
; NumVgprs: 96
; ScratchSize: 0
; MemoryBound: 0
; FloatMode: 240
; IeeeMode: 1
; LDSByteSize: 0 bytes/workgroup (compile time only)
; SGPRBlocks: 0
; VGPRBlocks: 11
; NumSGPRsForWavesPerEU: 20
; NumVGPRsForWavesPerEU: 96
; Occupancy: 16
; WaveLimiterHint : 1
; COMPUTE_PGM_RSRC2:SCRATCH_EN: 0
; COMPUTE_PGM_RSRC2:USER_SGPR: 2
; COMPUTE_PGM_RSRC2:TRAP_HANDLER: 0
; COMPUTE_PGM_RSRC2:TGID_X_EN: 1
; COMPUTE_PGM_RSRC2:TGID_Y_EN: 0
; COMPUTE_PGM_RSRC2:TGID_Z_EN: 0
; COMPUTE_PGM_RSRC2:TIDIG_COMP_CNT: 0
	.section	.text._ZN9rocsparseL18bsrxmvn_4x4_kernelILj128ELj16EfiifffEEvT3_20rocsparse_direction_NS_24const_host_device_scalarIT1_EES1_PKS1_PKT2_SA_S7_PKT4_PKT5_S5_PT6_21rocsparse_index_base_b,"axG",@progbits,_ZN9rocsparseL18bsrxmvn_4x4_kernelILj128ELj16EfiifffEEvT3_20rocsparse_direction_NS_24const_host_device_scalarIT1_EES1_PKS1_PKT2_SA_S7_PKT4_PKT5_S5_PT6_21rocsparse_index_base_b,comdat
	.globl	_ZN9rocsparseL18bsrxmvn_4x4_kernelILj128ELj16EfiifffEEvT3_20rocsparse_direction_NS_24const_host_device_scalarIT1_EES1_PKS1_PKT2_SA_S7_PKT4_PKT5_S5_PT6_21rocsparse_index_base_b ; -- Begin function _ZN9rocsparseL18bsrxmvn_4x4_kernelILj128ELj16EfiifffEEvT3_20rocsparse_direction_NS_24const_host_device_scalarIT1_EES1_PKS1_PKT2_SA_S7_PKT4_PKT5_S5_PT6_21rocsparse_index_base_b
	.p2align	8
	.type	_ZN9rocsparseL18bsrxmvn_4x4_kernelILj128ELj16EfiifffEEvT3_20rocsparse_direction_NS_24const_host_device_scalarIT1_EES1_PKS1_PKT2_SA_S7_PKT4_PKT5_S5_PT6_21rocsparse_index_base_b,@function
_ZN9rocsparseL18bsrxmvn_4x4_kernelILj128ELj16EfiifffEEvT3_20rocsparse_direction_NS_24const_host_device_scalarIT1_EES1_PKS1_PKT2_SA_S7_PKT4_PKT5_S5_PT6_21rocsparse_index_base_b: ; @_ZN9rocsparseL18bsrxmvn_4x4_kernelILj128ELj16EfiifffEEvT3_20rocsparse_direction_NS_24const_host_device_scalarIT1_EES1_PKS1_PKT2_SA_S7_PKT4_PKT5_S5_PT6_21rocsparse_index_base_b
; %bb.0:
	s_clause 0x2
	s_load_b64 s[16:17], s[0:1], 0x58
	s_load_b64 s[14:15], s[0:1], 0x8
	;; [unrolled: 1-line block ×3, first 2 shown]
	s_wait_kmcnt 0x0
	s_bitcmp1_b32 s17, 0
	s_cselect_b32 s2, -1, 0
	s_delay_alu instid0(SALU_CYCLE_1)
	s_and_b32 vcc_lo, exec_lo, s2
	s_xor_b32 s2, s2, -1
	s_cbranch_vccnz .LBB2_2
; %bb.1:
	s_load_b32 s14, s[14:15], 0x0
.LBB2_2:
	s_and_not1_b32 vcc_lo, exec_lo, s2
	s_cbranch_vccnz .LBB2_4
; %bb.3:
	s_load_b32 s12, s[12:13], 0x0
.LBB2_4:
	s_wait_kmcnt 0x0
	s_cmp_neq_f32 s14, 0
	s_mov_b32 s6, 0
	s_cselect_b32 s2, -1, 0
	s_cmp_neq_f32 s12, 1.0
	s_cselect_b32 s3, -1, 0
	s_delay_alu instid0(SALU_CYCLE_1) | instskip(NEXT) | instid1(SALU_CYCLE_1)
	s_or_b32 s2, s2, s3
	s_and_not1_b32 vcc_lo, exec_lo, s2
	s_cbranch_vccnz .LBB2_10
; %bb.5:
	s_clause 0x1
	s_load_b64 s[4:5], s[0:1], 0x18
	s_load_b64 s[2:3], s[0:1], 0x0
	v_lshrrev_b32_e32 v1, 4, v0
	s_delay_alu instid0(VALU_DEP_1)
	v_lshl_or_b32 v4, ttmp9, 3, v1
	s_wait_kmcnt 0x0
	s_cmp_lg_u64 s[4:5], 0
	s_cbranch_scc0 .LBB2_11
; %bb.6:
	s_load_b32 s6, s[0:1], 0x10
	s_mov_b32 s7, 0
                                        ; implicit-def: $vgpr1
	s_wait_kmcnt 0x0
	v_cmp_gt_i32_e32 vcc_lo, s6, v4
	s_mov_b32 s6, 0
	s_and_saveexec_b32 s8, vcc_lo
	s_delay_alu instid0(SALU_CYCLE_1)
	s_xor_b32 s8, exec_lo, s8
	s_cbranch_execz .LBB2_8
; %bb.7:
	v_ashrrev_i32_e32 v5, 31, v4
	s_mov_b32 s6, exec_lo
	s_delay_alu instid0(VALU_DEP_1) | instskip(NEXT) | instid1(VALU_DEP_1)
	v_lshlrev_b64_e32 v[1:2], 2, v[4:5]
	v_add_co_u32 v1, vcc_lo, s4, v1
	s_delay_alu instid0(VALU_DEP_1)
	v_add_co_ci_u32_e64 v2, null, s5, v2, vcc_lo
	global_load_b32 v1, v[1:2], off
	s_wait_loadcnt 0x0
	v_subrev_nc_u32_e32 v1, s16, v1
.LBB2_8:
	s_or_b32 exec_lo, exec_lo, s8
	s_delay_alu instid0(SALU_CYCLE_1)
	s_and_b32 vcc_lo, exec_lo, s7
	s_wait_alu 0xfffe
	s_cbranch_vccz .LBB2_12
.LBB2_9:
	v_cmp_gt_i32_e32 vcc_lo, s2, v4
	s_and_not1_b32 s2, s6, exec_lo
	s_and_b32 s4, vcc_lo, exec_lo
	s_wait_alu 0xfffe
	s_or_b32 s6, s2, s4
	s_wait_alu 0xfffe
	s_and_saveexec_b32 s2, s6
	s_cbranch_execnz .LBB2_13
.LBB2_10:
	s_endpgm
.LBB2_11:
                                        ; implicit-def: $vgpr1
	s_cbranch_execnz .LBB2_9
.LBB2_12:
	v_mov_b32_e32 v4, v1
	s_and_saveexec_b32 s2, s6
	s_cbranch_execz .LBB2_10
.LBB2_13:
	s_load_b256 s[4:11], s[0:1], 0x20
	s_delay_alu instid0(VALU_DEP_1) | instskip(SKIP_1) | instid1(VALU_DEP_2)
	v_ashrrev_i32_e32 v5, 31, v4
	v_and_b32_e32 v9, 15, v0
	v_lshlrev_b64_e32 v[1:2], 2, v[4:5]
	s_wait_kmcnt 0x0
	s_delay_alu instid0(VALU_DEP_1) | instskip(SKIP_1) | instid1(VALU_DEP_2)
	v_add_co_u32 v5, vcc_lo, s4, v1
	s_wait_alu 0xfffd
	v_add_co_ci_u32_e64 v6, null, s5, v2, vcc_lo
	v_add_co_u32 v1, vcc_lo, s6, v1
	s_wait_alu 0xfffd
	v_add_co_ci_u32_e64 v2, null, s7, v2, vcc_lo
	global_load_b32 v15, v[5:6], off
	v_add_co_u32 v3, vcc_lo, v5, 4
	s_wait_alu 0xfffd
	v_add_co_ci_u32_e64 v5, null, 0, v6, vcc_lo
	s_cmp_eq_u64 s[6:7], 0
	s_load_b64 s[4:5], s[0:1], 0x40
	s_cselect_b32 vcc_lo, -1, 0
	s_cmp_eq_u32 s3, 1
	s_wait_alu 0xfffe
	v_dual_cndmask_b32 v2, v2, v5 :: v_dual_cndmask_b32 v1, v1, v3
	global_load_b32 v5, v[1:2], off
	s_wait_loadcnt 0x1
	v_subrev_nc_u32_e32 v0, s16, v15
	s_delay_alu instid0(VALU_DEP_1) | instskip(NEXT) | instid1(VALU_DEP_1)
	v_add_nc_u32_e32 v0, v0, v9
	v_ashrrev_i32_e32 v1, 31, v0
	s_wait_loadcnt 0x0
	v_subrev_nc_u32_e32 v12, s16, v5
	s_delay_alu instid0(VALU_DEP_2) | instskip(NEXT) | instid1(VALU_DEP_2)
	v_lshlrev_b64_e32 v[2:3], 6, v[0:1]
	v_cmp_lt_i32_e64 s2, v0, v12
	s_delay_alu instid0(VALU_DEP_2) | instskip(SKIP_1) | instid1(VALU_DEP_3)
	v_add_co_u32 v2, vcc_lo, s10, v2
	s_wait_alu 0xfffd
	v_add_co_ci_u32_e64 v3, null, s11, v3, vcc_lo
	s_cbranch_scc1 .LBB2_25
; %bb.14:
	v_dual_mov_b32 v10, 0 :: v_dual_mov_b32 v13, 0
	v_dual_mov_b32 v14, 0 :: v_dual_mov_b32 v11, 0
	s_and_saveexec_b32 s3, s2
	s_cbranch_execz .LBB2_24
; %bb.15:
	v_dual_mov_b32 v14, 0 :: v_dual_add_nc_u32 v1, v15, v9
	v_not_b32_e32 v5, v15
	v_dual_mov_b32 v13, 0 :: v_dual_mov_b32 v8, v3
	s_delay_alu instid0(VALU_DEP_3) | instskip(SKIP_2) | instid1(VALU_DEP_2)
	v_subrev_nc_u32_e32 v1, s16, v1
	v_mov_b32_e32 v7, v2
	s_mov_b32 s6, exec_lo
	v_dual_mov_b32 v10, 0 :: v_dual_add_nc_u32 v1, 16, v1
	s_delay_alu instid0(VALU_DEP_1) | instskip(NEXT) | instid1(VALU_DEP_1)
	v_max_i32_e32 v1, v1, v12
	v_add3_u32 v1, s16, v1, v5
	v_mov_b32_e32 v5, v0
	s_delay_alu instid0(VALU_DEP_2) | instskip(NEXT) | instid1(VALU_DEP_1)
	v_sub_nc_u32_e32 v1, v1, v9
	v_dual_mov_b32 v11, 0 :: v_dual_and_b32 v6, 48, v1
	s_delay_alu instid0(VALU_DEP_1)
	v_cmpx_ne_u32_e32 48, v6
	s_cbranch_execz .LBB2_19
; %bb.16:
	v_lshrrev_b32_e32 v5, 4, v1
	v_dual_mov_b32 v8, v3 :: v_dual_mov_b32 v13, 0
	v_dual_mov_b32 v14, 0 :: v_dual_mov_b32 v11, 0
	s_delay_alu instid0(VALU_DEP_3) | instskip(SKIP_1) | instid1(VALU_DEP_1)
	v_dual_mov_b32 v10, 0 :: v_dual_add_nc_u32 v5, 1, v5
	s_mov_b32 s7, 0
	v_dual_mov_b32 v7, v2 :: v_dual_and_b32 v6, 3, v5
	v_mov_b32_e32 v5, v0
	s_delay_alu instid0(VALU_DEP_2)
	v_sub_nc_u32_e32 v16, 0, v6
.LBB2_17:                               ; =>This Inner Loop Header: Depth=1
	s_delay_alu instid0(VALU_DEP_2) | instskip(NEXT) | instid1(VALU_DEP_2)
	v_ashrrev_i32_e32 v6, 31, v5
	v_add_co_u32 v16, s10, v16, 1
	s_wait_alu 0xfffe
	s_or_b32 s7, s10, s7
	s_delay_alu instid0(VALU_DEP_2) | instskip(SKIP_1) | instid1(VALU_DEP_2)
	v_lshlrev_b64_e32 v[17:18], 2, v[5:6]
	v_add_nc_u32_e32 v5, 16, v5
	v_add_co_u32 v17, vcc_lo, s8, v17
	s_wait_alu 0xfffd
	s_delay_alu instid0(VALU_DEP_3)
	v_add_co_ci_u32_e64 v18, null, s9, v18, vcc_lo
	global_load_b32 v6, v[17:18], off
	s_clause 0x3
	global_load_b128 v[17:20], v[7:8], off offset:48
	global_load_b128 v[21:24], v[7:8], off offset:32
	;; [unrolled: 1-line block ×3, first 2 shown]
	global_load_b128 v[29:32], v[7:8], off
	s_wait_loadcnt 0x4
	v_subrev_nc_u32_e32 v6, s16, v6
	s_delay_alu instid0(VALU_DEP_1) | instskip(NEXT) | instid1(VALU_DEP_1)
	v_lshlrev_b32_e32 v33, 2, v6
	v_ashrrev_i32_e32 v34, 31, v33
	s_delay_alu instid0(VALU_DEP_1) | instskip(SKIP_1) | instid1(VALU_DEP_1)
	v_lshlrev_b64_e32 v[33:34], 2, v[33:34]
	s_wait_kmcnt 0x0
	v_add_co_u32 v33, vcc_lo, s4, v33
	s_wait_alu 0xfffd
	s_delay_alu instid0(VALU_DEP_2)
	v_add_co_ci_u32_e64 v34, null, s5, v34, vcc_lo
	v_add_co_u32 v7, vcc_lo, 0x400, v7
	s_wait_alu 0xfffd
	v_add_co_ci_u32_e64 v8, null, 0, v8, vcc_lo
	global_load_b128 v[33:36], v[33:34], off
	s_wait_loadcnt 0x0
	v_fmac_f32_e32 v14, v25, v33
	v_fmac_f32_e32 v11, v29, v33
	;; [unrolled: 1-line block ×3, first 2 shown]
	s_delay_alu instid0(VALU_DEP_3) | instskip(NEXT) | instid1(VALU_DEP_3)
	v_dual_fmac_f32 v13, v21, v33 :: v_dual_fmac_f32 v14, v26, v34
	v_fmac_f32_e32 v11, v30, v34
	s_delay_alu instid0(VALU_DEP_3) | instskip(NEXT) | instid1(VALU_DEP_3)
	v_fmac_f32_e32 v10, v18, v34
	v_dual_fmac_f32 v13, v22, v34 :: v_dual_fmac_f32 v14, v27, v35
	s_delay_alu instid0(VALU_DEP_3) | instskip(NEXT) | instid1(VALU_DEP_3)
	v_fmac_f32_e32 v11, v31, v35
	v_fmac_f32_e32 v10, v19, v35
	s_delay_alu instid0(VALU_DEP_3) | instskip(NEXT) | instid1(VALU_DEP_3)
	v_dual_fmac_f32 v13, v23, v35 :: v_dual_fmac_f32 v14, v28, v36
	v_fmac_f32_e32 v11, v32, v36
	s_delay_alu instid0(VALU_DEP_3) | instskip(NEXT) | instid1(VALU_DEP_3)
	v_fmac_f32_e32 v10, v20, v36
	v_fmac_f32_e32 v13, v24, v36
	s_wait_alu 0xfffe
	s_and_not1_b32 exec_lo, exec_lo, s7
	s_cbranch_execnz .LBB2_17
; %bb.18:
	s_or_b32 exec_lo, exec_lo, s7
.LBB2_19:
	s_wait_alu 0xfffe
	s_or_b32 exec_lo, exec_lo, s6
	s_delay_alu instid0(SALU_CYCLE_1)
	s_mov_b32 s6, exec_lo
	v_cmpx_lt_u32_e32 47, v1
	s_cbranch_execz .LBB2_23
; %bb.20:
	s_mov_b32 s7, 0
.LBB2_21:                               ; =>This Inner Loop Header: Depth=1
	v_ashrrev_i32_e32 v6, 31, v5
	s_delay_alu instid0(VALU_DEP_1) | instskip(SKIP_1) | instid1(VALU_DEP_2)
	v_lshlrev_b64_e32 v[16:17], 2, v[5:6]
	v_add_nc_u32_e32 v5, 64, v5
	v_add_co_u32 v16, vcc_lo, s8, v16
	s_wait_alu 0xfffd
	s_delay_alu instid0(VALU_DEP_3)
	v_add_co_ci_u32_e64 v17, null, s9, v17, vcc_lo
	s_clause 0x3
	global_load_b32 v1, v[16:17], off
	global_load_b32 v6, v[16:17], off offset:64
	global_load_b32 v80, v[16:17], off offset:128
	;; [unrolled: 1-line block ×3, first 2 shown]
	s_clause 0xf
	global_load_b128 v[16:19], v[7:8], off offset:48
	global_load_b128 v[20:23], v[7:8], off offset:32
	;; [unrolled: 1-line block ×3, first 2 shown]
	global_load_b128 v[28:31], v[7:8], off
	global_load_b128 v[32:35], v[7:8], off offset:1072
	global_load_b128 v[36:39], v[7:8], off offset:1056
	;; [unrolled: 1-line block ×12, first 2 shown]
	s_wait_loadcnt 0x13
	v_subrev_nc_u32_e32 v1, s16, v1
	s_wait_loadcnt 0x12
	v_subrev_nc_u32_e32 v6, s16, v6
	;; [unrolled: 2-line block ×4, first 2 shown]
	v_lshlrev_b32_e32 v80, 2, v1
	s_delay_alu instid0(VALU_DEP_3) | instskip(NEXT) | instid1(VALU_DEP_3)
	v_lshlrev_b32_e32 v88, 2, v82
	v_lshlrev_b32_e32 v92, 2, v81
	s_delay_alu instid0(VALU_DEP_3) | instskip(NEXT) | instid1(VALU_DEP_1)
	v_ashrrev_i32_e32 v81, 31, v80
	v_lshlrev_b64_e32 v[80:81], 2, v[80:81]
	s_wait_kmcnt 0x0
	s_delay_alu instid0(VALU_DEP_1) | instskip(SKIP_1) | instid1(VALU_DEP_2)
	v_add_co_u32 v80, vcc_lo, s4, v80
	s_wait_alu 0xfffd
	v_add_co_ci_u32_e64 v81, null, s5, v81, vcc_lo
	global_load_b128 v[80:83], v[80:81], off
	v_lshlrev_b32_e32 v84, 2, v6
	s_delay_alu instid0(VALU_DEP_1) | instskip(NEXT) | instid1(VALU_DEP_1)
	v_ashrrev_i32_e32 v85, 31, v84
	v_lshlrev_b64_e32 v[84:85], 2, v[84:85]
	s_delay_alu instid0(VALU_DEP_1) | instskip(SKIP_1) | instid1(VALU_DEP_2)
	v_add_co_u32 v84, vcc_lo, s4, v84
	s_wait_alu 0xfffd
	v_add_co_ci_u32_e64 v85, null, s5, v85, vcc_lo
	global_load_b128 v[84:87], v[84:85], off
	s_wait_loadcnt 0x1
	v_fmac_f32_e32 v13, v20, v80
	v_ashrrev_i32_e32 v89, 31, v88
	v_fmac_f32_e32 v10, v16, v80
	v_fmac_f32_e32 v11, v28, v80
	s_delay_alu instid0(VALU_DEP_4) | instskip(NEXT) | instid1(VALU_DEP_4)
	v_dual_fmac_f32 v14, v24, v80 :: v_dual_fmac_f32 v13, v21, v81
	v_lshlrev_b64_e32 v[88:89], 2, v[88:89]
	s_delay_alu instid0(VALU_DEP_3) | instskip(NEXT) | instid1(VALU_DEP_3)
	v_fmac_f32_e32 v11, v29, v81
	v_fmac_f32_e32 v13, v22, v82
	v_ashrrev_i32_e32 v93, 31, v92
	s_delay_alu instid0(VALU_DEP_4) | instskip(SKIP_2) | instid1(VALU_DEP_3)
	v_add_co_u32 v88, vcc_lo, s4, v88
	s_wait_alu 0xfffd
	v_add_co_ci_u32_e64 v89, null, s5, v89, vcc_lo
	v_lshlrev_b64_e32 v[92:93], 2, v[92:93]
	v_dual_fmac_f32 v10, v17, v81 :: v_dual_fmac_f32 v13, v23, v83
	global_load_b128 v[88:91], v[88:89], off
	v_dual_fmac_f32 v11, v30, v82 :: v_dual_fmac_f32 v14, v25, v81
	v_add_co_u32 v92, vcc_lo, s4, v92
	s_wait_alu 0xfffd
	v_add_co_ci_u32_e64 v93, null, s5, v93, vcc_lo
	s_wait_loadcnt 0x1
	v_dual_fmac_f32 v10, v18, v82 :: v_dual_fmac_f32 v13, v36, v84
	v_fmac_f32_e32 v11, v31, v83
	global_load_b128 v[92:95], v[92:93], off
	v_fmac_f32_e32 v14, v26, v82
	v_dual_fmac_f32 v10, v19, v83 :: v_dual_fmac_f32 v13, v37, v85
	v_fmac_f32_e32 v11, v44, v84
	v_add_co_u32 v7, vcc_lo, 0x1000, v7
	s_delay_alu instid0(VALU_DEP_4) | instskip(NEXT) | instid1(VALU_DEP_4)
	v_fmac_f32_e32 v14, v27, v83
	v_dual_fmac_f32 v10, v32, v84 :: v_dual_fmac_f32 v13, v38, v86
	s_delay_alu instid0(VALU_DEP_4)
	v_fmac_f32_e32 v11, v45, v85
	s_wait_alu 0xfffd
	v_add_co_ci_u32_e64 v8, null, 0, v8, vcc_lo
	v_fmac_f32_e32 v14, v40, v84
	v_dual_fmac_f32 v10, v33, v85 :: v_dual_fmac_f32 v13, v39, v87
	v_fmac_f32_e32 v11, v46, v86
	v_cmp_ge_i32_e32 vcc_lo, v5, v12
	s_delay_alu instid0(VALU_DEP_4) | instskip(NEXT) | instid1(VALU_DEP_3)
	v_fmac_f32_e32 v14, v41, v85
	v_dual_fmac_f32 v10, v34, v86 :: v_dual_fmac_f32 v11, v47, v87
	s_wait_alu 0xfffe
	s_or_b32 s7, vcc_lo, s7
	s_wait_loadcnt 0x1
	s_delay_alu instid0(VALU_DEP_1) | instskip(NEXT) | instid1(VALU_DEP_1)
	v_dual_fmac_f32 v14, v42, v86 :: v_dual_fmac_f32 v11, v60, v88
	v_dual_fmac_f32 v14, v43, v87 :: v_dual_fmac_f32 v13, v52, v88
	s_delay_alu instid0(VALU_DEP_2) | instskip(NEXT) | instid1(VALU_DEP_2)
	v_dual_fmac_f32 v10, v35, v87 :: v_dual_fmac_f32 v11, v61, v89
	v_dual_fmac_f32 v14, v56, v88 :: v_dual_fmac_f32 v13, v53, v89
	s_delay_alu instid0(VALU_DEP_2) | instskip(NEXT) | instid1(VALU_DEP_2)
	v_dual_fmac_f32 v10, v48, v88 :: v_dual_fmac_f32 v11, v62, v90
	v_dual_fmac_f32 v14, v57, v89 :: v_dual_fmac_f32 v13, v54, v90
	s_delay_alu instid0(VALU_DEP_2) | instskip(NEXT) | instid1(VALU_DEP_2)
	v_dual_fmac_f32 v10, v49, v89 :: v_dual_fmac_f32 v11, v63, v91
	v_dual_fmac_f32 v14, v58, v90 :: v_dual_fmac_f32 v13, v55, v91
	s_wait_loadcnt 0x0
	s_delay_alu instid0(VALU_DEP_2) | instskip(NEXT) | instid1(VALU_DEP_2)
	v_dual_fmac_f32 v10, v50, v90 :: v_dual_fmac_f32 v11, v76, v92
	v_dual_fmac_f32 v14, v59, v91 :: v_dual_fmac_f32 v13, v68, v92
	s_delay_alu instid0(VALU_DEP_2) | instskip(NEXT) | instid1(VALU_DEP_2)
	v_dual_fmac_f32 v10, v51, v91 :: v_dual_fmac_f32 v11, v77, v93
	v_dual_fmac_f32 v14, v72, v92 :: v_dual_fmac_f32 v13, v69, v93
	;; [unrolled: 3-line block ×4, first 2 shown]
	s_delay_alu instid0(VALU_DEP_2) | instskip(NEXT) | instid1(VALU_DEP_2)
	v_fmac_f32_e32 v10, v66, v94
	v_fmac_f32_e32 v14, v75, v95
	s_delay_alu instid0(VALU_DEP_2)
	v_fmac_f32_e32 v10, v67, v95
	s_wait_alu 0xfffe
	s_and_not1_b32 exec_lo, exec_lo, s7
	s_cbranch_execnz .LBB2_21
; %bb.22:
	s_or_b32 exec_lo, exec_lo, s7
.LBB2_23:
	s_wait_alu 0xfffe
	s_or_b32 exec_lo, exec_lo, s6
.LBB2_24:
	s_wait_alu 0xfffe
	s_or_b32 exec_lo, exec_lo, s3
	s_cbranch_execz .LBB2_26
	s_branch .LBB2_37
.LBB2_25:
                                        ; implicit-def: $vgpr10
                                        ; implicit-def: $vgpr13
                                        ; implicit-def: $vgpr14
                                        ; implicit-def: $vgpr11
.LBB2_26:
	v_dual_mov_b32 v10, 0 :: v_dual_mov_b32 v13, 0
	v_dual_mov_b32 v14, 0 :: v_dual_mov_b32 v11, 0
	s_and_saveexec_b32 s3, s2
	s_cbranch_execz .LBB2_36
; %bb.27:
	v_dual_mov_b32 v14, 0 :: v_dual_add_nc_u32 v1, v15, v9
	v_not_b32_e32 v5, v15
	v_mov_b32_e32 v11, 0
	v_mov_b32_e32 v13, 0
	s_delay_alu instid0(VALU_DEP_4) | instskip(SKIP_1) | instid1(VALU_DEP_1)
	v_subrev_nc_u32_e32 v1, s16, v1
	s_mov_b32 s2, exec_lo
	v_dual_mov_b32 v10, 0 :: v_dual_add_nc_u32 v1, 16, v1
	s_delay_alu instid0(VALU_DEP_1) | instskip(NEXT) | instid1(VALU_DEP_1)
	v_max_i32_e32 v1, v1, v12
	v_add3_u32 v1, s16, v1, v5
	s_delay_alu instid0(VALU_DEP_1) | instskip(NEXT) | instid1(VALU_DEP_1)
	v_sub_nc_u32_e32 v5, v1, v9
	v_and_b32_e32 v1, 48, v5
	s_delay_alu instid0(VALU_DEP_1)
	v_cmpx_ne_u32_e32 48, v1
	s_cbranch_execz .LBB2_31
; %bb.28:
	v_lshrrev_b32_e32 v1, 4, v5
	v_mov_b32_e32 v13, 0
	v_mov_b32_e32 v11, 0
	s_mov_b32 s6, 0
	s_delay_alu instid0(VALU_DEP_3) | instskip(NEXT) | instid1(VALU_DEP_1)
	v_dual_mov_b32 v10, 0 :: v_dual_add_nc_u32 v1, 1, v1
	v_dual_mov_b32 v14, 0 :: v_dual_and_b32 v1, 3, v1
	s_delay_alu instid0(VALU_DEP_1)
	v_sub_nc_u32_e32 v6, 0, v1
.LBB2_29:                               ; =>This Inner Loop Header: Depth=1
	v_ashrrev_i32_e32 v1, 31, v0
	s_delay_alu instid0(VALU_DEP_2) | instskip(SKIP_2) | instid1(VALU_DEP_2)
	v_add_co_u32 v6, s7, v6, 1
	s_wait_alu 0xfffe
	s_or_b32 s6, s7, s6
	v_lshlrev_b64_e32 v[7:8], 2, v[0:1]
	v_add_nc_u32_e32 v0, 16, v0
	s_delay_alu instid0(VALU_DEP_2) | instskip(SKIP_1) | instid1(VALU_DEP_3)
	v_add_co_u32 v7, vcc_lo, s8, v7
	s_wait_alu 0xfffd
	v_add_co_ci_u32_e64 v8, null, s9, v8, vcc_lo
	global_load_b32 v1, v[7:8], off
	s_clause 0x1
	global_load_b128 v[15:18], v[2:3], off offset:16
	global_load_b128 v[19:22], v[2:3], off
	s_wait_loadcnt 0x2
	v_subrev_nc_u32_e32 v1, s16, v1
	s_delay_alu instid0(VALU_DEP_1) | instskip(NEXT) | instid1(VALU_DEP_1)
	v_lshlrev_b32_e32 v7, 2, v1
	v_ashrrev_i32_e32 v8, 31, v7
	s_delay_alu instid0(VALU_DEP_1) | instskip(SKIP_1) | instid1(VALU_DEP_1)
	v_lshlrev_b64_e32 v[7:8], 2, v[7:8]
	s_wait_kmcnt 0x0
	v_add_co_u32 v7, vcc_lo, s4, v7
	s_wait_alu 0xfffd
	s_delay_alu instid0(VALU_DEP_2)
	v_add_co_ci_u32_e64 v8, null, s5, v8, vcc_lo
	global_load_b128 v[23:26], v[7:8], off
	s_clause 0x1
	global_load_b128 v[27:30], v[2:3], off offset:32
	global_load_b128 v[31:34], v[2:3], off offset:48
	v_add_co_u32 v2, vcc_lo, 0x400, v2
	s_wait_alu 0xfffd
	v_add_co_ci_u32_e64 v3, null, 0, v3, vcc_lo
	s_wait_loadcnt 0x2
	v_fmac_f32_e32 v14, v20, v23
	s_delay_alu instid0(VALU_DEP_1) | instskip(NEXT) | instid1(VALU_DEP_1)
	v_dual_fmac_f32 v11, v19, v23 :: v_dual_fmac_f32 v14, v16, v24
	v_dual_fmac_f32 v10, v22, v23 :: v_dual_fmac_f32 v11, v15, v24
	s_wait_loadcnt 0x1
	s_delay_alu instid0(VALU_DEP_2) | instskip(NEXT) | instid1(VALU_DEP_2)
	v_dual_fmac_f32 v13, v21, v23 :: v_dual_fmac_f32 v14, v28, v25
	v_dual_fmac_f32 v10, v18, v24 :: v_dual_fmac_f32 v11, v27, v25
	s_wait_loadcnt 0x0
	s_delay_alu instid0(VALU_DEP_2) | instskip(NEXT) | instid1(VALU_DEP_2)
	v_dual_fmac_f32 v13, v17, v24 :: v_dual_fmac_f32 v14, v32, v26
	v_dual_fmac_f32 v10, v30, v25 :: v_dual_fmac_f32 v11, v31, v26
	s_delay_alu instid0(VALU_DEP_1) | instskip(NEXT) | instid1(VALU_DEP_1)
	v_dual_fmac_f32 v13, v29, v25 :: v_dual_fmac_f32 v10, v34, v26
	v_fmac_f32_e32 v13, v33, v26
	s_wait_alu 0xfffe
	s_and_not1_b32 exec_lo, exec_lo, s6
	s_cbranch_execnz .LBB2_29
; %bb.30:
	s_or_b32 exec_lo, exec_lo, s6
.LBB2_31:
	s_wait_alu 0xfffe
	s_or_b32 exec_lo, exec_lo, s2
	s_delay_alu instid0(SALU_CYCLE_1)
	s_mov_b32 s2, exec_lo
	v_cmpx_lt_u32_e32 47, v5
	s_cbranch_execz .LBB2_35
; %bb.32:
	s_mov_b32 s6, 0
.LBB2_33:                               ; =>This Inner Loop Header: Depth=1
	v_ashrrev_i32_e32 v1, 31, v0
	s_delay_alu instid0(VALU_DEP_1) | instskip(SKIP_1) | instid1(VALU_DEP_2)
	v_lshlrev_b64_e32 v[5:6], 2, v[0:1]
	v_add_nc_u32_e32 v0, 64, v0
	v_add_co_u32 v5, vcc_lo, s8, v5
	s_wait_alu 0xfffd
	s_delay_alu instid0(VALU_DEP_3)
	v_add_co_ci_u32_e64 v6, null, s9, v6, vcc_lo
	s_clause 0x3
	global_load_b32 v1, v[5:6], off
	global_load_b32 v67, v[5:6], off offset:64
	global_load_b32 v68, v[5:6], off offset:128
	;; [unrolled: 1-line block ×3, first 2 shown]
	s_clause 0xd
	global_load_b128 v[5:8], v[2:3], off offset:48
	global_load_b128 v[15:18], v[2:3], off offset:32
	;; [unrolled: 1-line block ×3, first 2 shown]
	global_load_b128 v[23:26], v[2:3], off
	global_load_b128 v[27:30], v[2:3], off offset:1072
	global_load_b128 v[31:34], v[2:3], off offset:1056
	;; [unrolled: 1-line block ×10, first 2 shown]
	s_wait_loadcnt 0x11
	v_subrev_nc_u32_e32 v1, s16, v1
	s_wait_loadcnt 0x10
	v_subrev_nc_u32_e32 v70, s16, v67
	;; [unrolled: 2-line block ×4, first 2 shown]
	v_lshlrev_b32_e32 v67, 2, v1
	v_lshlrev_b32_e32 v71, 2, v70
	;; [unrolled: 1-line block ×3, first 2 shown]
	s_delay_alu instid0(VALU_DEP_4) | instskip(NEXT) | instid1(VALU_DEP_4)
	v_lshlrev_b32_e32 v79, 2, v69
	v_ashrrev_i32_e32 v68, 31, v67
	s_delay_alu instid0(VALU_DEP_4) | instskip(NEXT) | instid1(VALU_DEP_2)
	v_ashrrev_i32_e32 v72, 31, v71
	v_lshlrev_b64_e32 v[67:68], 2, v[67:68]
	s_delay_alu instid0(VALU_DEP_2) | instskip(SKIP_1) | instid1(VALU_DEP_2)
	v_lshlrev_b64_e32 v[71:72], 2, v[71:72]
	s_wait_kmcnt 0x0
	v_add_co_u32 v67, vcc_lo, s4, v67
	s_wait_alu 0xfffd
	s_delay_alu instid0(VALU_DEP_3) | instskip(NEXT) | instid1(VALU_DEP_3)
	v_add_co_ci_u32_e64 v68, null, s5, v68, vcc_lo
	v_add_co_u32 v71, vcc_lo, s4, v71
	s_wait_alu 0xfffd
	v_add_co_ci_u32_e64 v72, null, s5, v72, vcc_lo
	s_clause 0x1
	global_load_b128 v[67:70], v[67:68], off
	global_load_b128 v[71:74], v[71:72], off
	s_wait_loadcnt 0x1
	v_fmac_f32_e32 v10, v26, v67
	v_ashrrev_i32_e32 v76, 31, v75
	v_fmac_f32_e32 v14, v24, v67
	s_delay_alu instid0(VALU_DEP_3) | instskip(NEXT) | instid1(VALU_DEP_3)
	v_fmac_f32_e32 v10, v22, v68
	v_lshlrev_b64_e32 v[75:76], 2, v[75:76]
	v_ashrrev_i32_e32 v80, 31, v79
	s_delay_alu instid0(VALU_DEP_4) | instskip(NEXT) | instid1(VALU_DEP_4)
	v_dual_fmac_f32 v13, v25, v67 :: v_dual_fmac_f32 v14, v20, v68
	v_dual_fmac_f32 v11, v23, v67 :: v_dual_fmac_f32 v10, v18, v69
	s_delay_alu instid0(VALU_DEP_4)
	v_add_co_u32 v75, vcc_lo, s4, v75
	s_wait_alu 0xfffd
	v_add_co_ci_u32_e64 v76, null, s5, v76, vcc_lo
	v_lshlrev_b64_e32 v[79:80], 2, v[79:80]
	v_dual_fmac_f32 v13, v21, v68 :: v_dual_fmac_f32 v10, v8, v70
	global_load_b128 v[75:78], v[75:76], off
	v_dual_fmac_f32 v14, v16, v69 :: v_dual_fmac_f32 v11, v19, v68
	v_add_co_u32 v79, vcc_lo, s4, v79
	s_wait_alu 0xfffd
	v_add_co_ci_u32_e64 v80, null, s5, v80, vcc_lo
	global_load_b128 v[79:82], v[79:80], off
	s_clause 0x1
	global_load_b128 v[83:86], v[2:3], off offset:3104
	global_load_b128 v[87:90], v[2:3], off offset:3120
	s_wait_loadcnt 0x4
	v_dual_fmac_f32 v13, v17, v69 :: v_dual_fmac_f32 v10, v42, v71
	v_dual_fmac_f32 v14, v6, v70 :: v_dual_fmac_f32 v11, v15, v69
	v_add_co_u32 v2, vcc_lo, 0x1000, v2
	s_delay_alu instid0(VALU_DEP_3) | instskip(NEXT) | instid1(VALU_DEP_3)
	v_dual_fmac_f32 v13, v7, v70 :: v_dual_fmac_f32 v10, v38, v72
	v_dual_fmac_f32 v14, v40, v71 :: v_dual_fmac_f32 v11, v5, v70
	s_wait_alu 0xfffd
	v_add_co_ci_u32_e64 v3, null, 0, v3, vcc_lo
	s_delay_alu instid0(VALU_DEP_3) | instskip(NEXT) | instid1(VALU_DEP_3)
	v_dual_fmac_f32 v13, v41, v71 :: v_dual_fmac_f32 v10, v34, v73
	v_dual_fmac_f32 v14, v36, v72 :: v_dual_fmac_f32 v11, v39, v71
	v_cmp_ge_i32_e32 vcc_lo, v0, v12
	s_delay_alu instid0(VALU_DEP_3) | instskip(NEXT) | instid1(VALU_DEP_3)
	v_dual_fmac_f32 v13, v37, v72 :: v_dual_fmac_f32 v10, v30, v74
	v_dual_fmac_f32 v14, v32, v73 :: v_dual_fmac_f32 v11, v35, v72
	s_wait_alu 0xfffe
	s_or_b32 s6, vcc_lo, s6
	s_delay_alu instid0(VALU_DEP_1) | instskip(SKIP_1) | instid1(VALU_DEP_1)
	v_dual_fmac_f32 v13, v33, v73 :: v_dual_fmac_f32 v14, v28, v74
	s_wait_loadcnt 0x3
	v_dual_fmac_f32 v11, v31, v73 :: v_dual_fmac_f32 v14, v56, v75
	s_delay_alu instid0(VALU_DEP_1) | instskip(NEXT) | instid1(VALU_DEP_2)
	v_dual_fmac_f32 v11, v27, v74 :: v_dual_fmac_f32 v10, v58, v75
	v_dual_fmac_f32 v13, v29, v74 :: v_dual_fmac_f32 v14, v52, v76
	s_delay_alu instid0(VALU_DEP_2) | instskip(NEXT) | instid1(VALU_DEP_2)
	v_dual_fmac_f32 v11, v55, v75 :: v_dual_fmac_f32 v10, v54, v76
	v_dual_fmac_f32 v13, v57, v75 :: v_dual_fmac_f32 v14, v48, v77
	s_delay_alu instid0(VALU_DEP_2) | instskip(NEXT) | instid1(VALU_DEP_2)
	v_dual_fmac_f32 v11, v51, v76 :: v_dual_fmac_f32 v10, v50, v77
	v_dual_fmac_f32 v13, v53, v76 :: v_dual_fmac_f32 v14, v44, v78
	s_delay_alu instid0(VALU_DEP_2) | instskip(SKIP_1) | instid1(VALU_DEP_2)
	v_dual_fmac_f32 v11, v47, v77 :: v_dual_fmac_f32 v10, v46, v78
	s_wait_loadcnt 0x2
	v_dual_fmac_f32 v13, v49, v77 :: v_dual_fmac_f32 v14, v64, v79
	s_delay_alu instid0(VALU_DEP_2) | instskip(NEXT) | instid1(VALU_DEP_2)
	v_dual_fmac_f32 v11, v43, v78 :: v_dual_fmac_f32 v10, v66, v79
	v_dual_fmac_f32 v13, v45, v78 :: v_dual_fmac_f32 v14, v60, v80
	s_delay_alu instid0(VALU_DEP_2) | instskip(SKIP_1) | instid1(VALU_DEP_2)
	v_dual_fmac_f32 v11, v63, v79 :: v_dual_fmac_f32 v10, v62, v80
	s_wait_loadcnt 0x1
	v_dual_fmac_f32 v13, v65, v79 :: v_dual_fmac_f32 v14, v84, v81
	s_delay_alu instid0(VALU_DEP_2) | instskip(SKIP_1) | instid1(VALU_DEP_2)
	v_dual_fmac_f32 v11, v59, v80 :: v_dual_fmac_f32 v10, v86, v81
	s_wait_loadcnt 0x0
	v_dual_fmac_f32 v13, v61, v80 :: v_dual_fmac_f32 v14, v88, v82
	s_delay_alu instid0(VALU_DEP_2) | instskip(NEXT) | instid1(VALU_DEP_2)
	v_dual_fmac_f32 v11, v83, v81 :: v_dual_fmac_f32 v10, v90, v82
	v_fmac_f32_e32 v13, v85, v81
	s_delay_alu instid0(VALU_DEP_2) | instskip(NEXT) | instid1(VALU_DEP_2)
	v_fmac_f32_e32 v11, v87, v82
	v_fmac_f32_e32 v13, v89, v82
	s_wait_alu 0xfffe
	s_and_not1_b32 exec_lo, exec_lo, s6
	s_cbranch_execnz .LBB2_33
; %bb.34:
	s_or_b32 exec_lo, exec_lo, s6
.LBB2_35:
	s_wait_alu 0xfffe
	s_or_b32 exec_lo, exec_lo, s2
.LBB2_36:
	s_wait_alu 0xfffe
	s_or_b32 exec_lo, exec_lo, s3
.LBB2_37:
	v_mbcnt_lo_u32_b32 v0, -1, 0
	s_mov_b32 s2, -1
	s_delay_alu instid0(VALU_DEP_1) | instskip(SKIP_1) | instid1(VALU_DEP_2)
	v_xor_b32_e32 v1, 8, v0
	v_xor_b32_e32 v6, 4, v0
	v_cmp_gt_i32_e32 vcc_lo, 32, v1
	s_wait_alu 0xfffd
	v_cndmask_b32_e32 v1, v0, v1, vcc_lo
	s_delay_alu instid0(VALU_DEP_3) | instskip(SKIP_2) | instid1(VALU_DEP_1)
	v_cmp_gt_i32_e32 vcc_lo, 32, v6
	s_wait_alu 0xfffd
	v_cndmask_b32_e32 v6, v0, v6, vcc_lo
	v_lshlrev_b32_e32 v6, 2, v6
	v_lshlrev_b32_e32 v1, 2, v1
	ds_bpermute_b32 v2, v1, v11
	s_wait_dscnt 0x0
	v_add_f32_e32 v2, v11, v2
	ds_bpermute_b32 v3, v1, v14
	ds_bpermute_b32 v5, v1, v13
	;; [unrolled: 1-line block ×3, first 2 shown]
	v_xor_b32_e32 v11, 2, v0
	ds_bpermute_b32 v7, v6, v2
	v_cmp_gt_i32_e32 vcc_lo, 32, v11
	s_wait_dscnt 0x3
	v_add_f32_e32 v3, v14, v3
	s_wait_dscnt 0x2
	v_add_f32_e32 v5, v13, v5
	;; [unrolled: 2-line block ×4, first 2 shown]
	ds_bpermute_b32 v8, v6, v3
	ds_bpermute_b32 v10, v6, v5
	;; [unrolled: 1-line block ×3, first 2 shown]
	s_wait_alu 0xfffd
	v_cndmask_b32_e32 v11, v0, v11, vcc_lo
	s_wait_dscnt 0x2
	v_add_f32_e32 v3, v3, v8
	s_wait_dscnt 0x1
	v_add_f32_e32 v5, v5, v10
	s_wait_dscnt 0x0
	v_dual_add_f32 v6, v1, v6 :: v_dual_lshlrev_b32 v11, 2, v11
	ds_bpermute_b32 v1, v11, v2
	ds_bpermute_b32 v7, v11, v3
	ds_bpermute_b32 v8, v11, v5
	ds_bpermute_b32 v10, v11, v6
	v_xor_b32_e32 v11, 1, v0
	s_delay_alu instid0(VALU_DEP_1) | instskip(SKIP_4) | instid1(VALU_DEP_2)
	v_cmp_gt_i32_e32 vcc_lo, 32, v11
	s_wait_alu 0xfffd
	v_cndmask_b32_e32 v0, v0, v11, vcc_lo
	v_cmp_eq_u32_e32 vcc_lo, 15, v9
	s_wait_dscnt 0x3
	v_dual_add_f32 v0, v2, v1 :: v_dual_lshlrev_b32 v11, 2, v0
	s_wait_dscnt 0x1
	v_dual_add_f32 v1, v3, v7 :: v_dual_add_f32 v2, v5, v8
	s_wait_dscnt 0x0
	v_add_f32_e32 v3, v6, v10
	ds_bpermute_b32 v5, v11, v0
	ds_bpermute_b32 v6, v11, v1
	;; [unrolled: 1-line block ×4, first 2 shown]
	s_and_b32 exec_lo, exec_lo, vcc_lo
	s_cbranch_execz .LBB2_10
; %bb.38:
	s_load_b64 s[0:1], s[0:1], 0x50
	s_wait_dscnt 0x2
	v_dual_add_f32 v0, v0, v5 :: v_dual_add_f32 v1, v1, v6
	s_wait_dscnt 0x0
	v_dual_add_f32 v2, v2, v7 :: v_dual_add_f32 v3, v3, v8
	v_lshlrev_b32_e32 v4, 2, v4
	s_delay_alu instid0(VALU_DEP_3) | instskip(NEXT) | instid1(VALU_DEP_3)
	v_dual_mul_f32 v0, s14, v0 :: v_dual_mul_f32 v1, s14, v1
	v_dual_mul_f32 v2, s14, v2 :: v_dual_mul_f32 v3, s14, v3
	s_cmp_eq_f32 s12, 0
	s_cbranch_scc0 .LBB2_40
; %bb.39:
	v_ashrrev_i32_e32 v5, 31, v4
	s_mov_b32 s2, 0
	s_delay_alu instid0(VALU_DEP_1) | instskip(SKIP_1) | instid1(VALU_DEP_1)
	v_lshlrev_b64_e32 v[5:6], 2, v[4:5]
	s_wait_kmcnt 0x0
	v_add_co_u32 v5, vcc_lo, s0, v5
	s_wait_alu 0xfffd
	s_delay_alu instid0(VALU_DEP_2)
	v_add_co_ci_u32_e64 v6, null, s1, v6, vcc_lo
	global_store_b128 v[5:6], v[0:3], off
.LBB2_40:
	s_wait_alu 0xfffe
	s_and_not1_b32 vcc_lo, exec_lo, s2
	s_wait_alu 0xfffe
	s_cbranch_vccnz .LBB2_10
; %bb.41:
	v_ashrrev_i32_e32 v5, 31, v4
	s_delay_alu instid0(VALU_DEP_1) | instskip(SKIP_1) | instid1(VALU_DEP_1)
	v_lshlrev_b64_e32 v[4:5], 2, v[4:5]
	s_wait_kmcnt 0x0
	v_add_co_u32 v8, vcc_lo, s0, v4
	s_wait_alu 0xfffd
	s_delay_alu instid0(VALU_DEP_2)
	v_add_co_ci_u32_e64 v9, null, s1, v5, vcc_lo
	global_load_b128 v[4:7], v[8:9], off
	s_wait_loadcnt 0x0
	v_dual_fmac_f32 v0, s12, v4 :: v_dual_fmac_f32 v1, s12, v5
	v_dual_fmac_f32 v2, s12, v6 :: v_dual_fmac_f32 v3, s12, v7
	global_store_b128 v[8:9], v[0:3], off
	s_endpgm
	.section	.rodata,"a",@progbits
	.p2align	6, 0x0
	.amdhsa_kernel _ZN9rocsparseL18bsrxmvn_4x4_kernelILj128ELj16EfiifffEEvT3_20rocsparse_direction_NS_24const_host_device_scalarIT1_EES1_PKS1_PKT2_SA_S7_PKT4_PKT5_S5_PT6_21rocsparse_index_base_b
		.amdhsa_group_segment_fixed_size 0
		.amdhsa_private_segment_fixed_size 0
		.amdhsa_kernarg_size 96
		.amdhsa_user_sgpr_count 2
		.amdhsa_user_sgpr_dispatch_ptr 0
		.amdhsa_user_sgpr_queue_ptr 0
		.amdhsa_user_sgpr_kernarg_segment_ptr 1
		.amdhsa_user_sgpr_dispatch_id 0
		.amdhsa_user_sgpr_private_segment_size 0
		.amdhsa_wavefront_size32 1
		.amdhsa_uses_dynamic_stack 0
		.amdhsa_enable_private_segment 0
		.amdhsa_system_sgpr_workgroup_id_x 1
		.amdhsa_system_sgpr_workgroup_id_y 0
		.amdhsa_system_sgpr_workgroup_id_z 0
		.amdhsa_system_sgpr_workgroup_info 0
		.amdhsa_system_vgpr_workitem_id 0
		.amdhsa_next_free_vgpr 96
		.amdhsa_next_free_sgpr 18
		.amdhsa_reserve_vcc 1
		.amdhsa_float_round_mode_32 0
		.amdhsa_float_round_mode_16_64 0
		.amdhsa_float_denorm_mode_32 3
		.amdhsa_float_denorm_mode_16_64 3
		.amdhsa_fp16_overflow 0
		.amdhsa_workgroup_processor_mode 1
		.amdhsa_memory_ordered 1
		.amdhsa_forward_progress 1
		.amdhsa_inst_pref_size 32
		.amdhsa_round_robin_scheduling 0
		.amdhsa_exception_fp_ieee_invalid_op 0
		.amdhsa_exception_fp_denorm_src 0
		.amdhsa_exception_fp_ieee_div_zero 0
		.amdhsa_exception_fp_ieee_overflow 0
		.amdhsa_exception_fp_ieee_underflow 0
		.amdhsa_exception_fp_ieee_inexact 0
		.amdhsa_exception_int_div_zero 0
	.end_amdhsa_kernel
	.section	.text._ZN9rocsparseL18bsrxmvn_4x4_kernelILj128ELj16EfiifffEEvT3_20rocsparse_direction_NS_24const_host_device_scalarIT1_EES1_PKS1_PKT2_SA_S7_PKT4_PKT5_S5_PT6_21rocsparse_index_base_b,"axG",@progbits,_ZN9rocsparseL18bsrxmvn_4x4_kernelILj128ELj16EfiifffEEvT3_20rocsparse_direction_NS_24const_host_device_scalarIT1_EES1_PKS1_PKT2_SA_S7_PKT4_PKT5_S5_PT6_21rocsparse_index_base_b,comdat
.Lfunc_end2:
	.size	_ZN9rocsparseL18bsrxmvn_4x4_kernelILj128ELj16EfiifffEEvT3_20rocsparse_direction_NS_24const_host_device_scalarIT1_EES1_PKS1_PKT2_SA_S7_PKT4_PKT5_S5_PT6_21rocsparse_index_base_b, .Lfunc_end2-_ZN9rocsparseL18bsrxmvn_4x4_kernelILj128ELj16EfiifffEEvT3_20rocsparse_direction_NS_24const_host_device_scalarIT1_EES1_PKS1_PKT2_SA_S7_PKT4_PKT5_S5_PT6_21rocsparse_index_base_b
                                        ; -- End function
	.set _ZN9rocsparseL18bsrxmvn_4x4_kernelILj128ELj16EfiifffEEvT3_20rocsparse_direction_NS_24const_host_device_scalarIT1_EES1_PKS1_PKT2_SA_S7_PKT4_PKT5_S5_PT6_21rocsparse_index_base_b.num_vgpr, 96
	.set _ZN9rocsparseL18bsrxmvn_4x4_kernelILj128ELj16EfiifffEEvT3_20rocsparse_direction_NS_24const_host_device_scalarIT1_EES1_PKS1_PKT2_SA_S7_PKT4_PKT5_S5_PT6_21rocsparse_index_base_b.num_agpr, 0
	.set _ZN9rocsparseL18bsrxmvn_4x4_kernelILj128ELj16EfiifffEEvT3_20rocsparse_direction_NS_24const_host_device_scalarIT1_EES1_PKS1_PKT2_SA_S7_PKT4_PKT5_S5_PT6_21rocsparse_index_base_b.numbered_sgpr, 18
	.set _ZN9rocsparseL18bsrxmvn_4x4_kernelILj128ELj16EfiifffEEvT3_20rocsparse_direction_NS_24const_host_device_scalarIT1_EES1_PKS1_PKT2_SA_S7_PKT4_PKT5_S5_PT6_21rocsparse_index_base_b.num_named_barrier, 0
	.set _ZN9rocsparseL18bsrxmvn_4x4_kernelILj128ELj16EfiifffEEvT3_20rocsparse_direction_NS_24const_host_device_scalarIT1_EES1_PKS1_PKT2_SA_S7_PKT4_PKT5_S5_PT6_21rocsparse_index_base_b.private_seg_size, 0
	.set _ZN9rocsparseL18bsrxmvn_4x4_kernelILj128ELj16EfiifffEEvT3_20rocsparse_direction_NS_24const_host_device_scalarIT1_EES1_PKS1_PKT2_SA_S7_PKT4_PKT5_S5_PT6_21rocsparse_index_base_b.uses_vcc, 1
	.set _ZN9rocsparseL18bsrxmvn_4x4_kernelILj128ELj16EfiifffEEvT3_20rocsparse_direction_NS_24const_host_device_scalarIT1_EES1_PKS1_PKT2_SA_S7_PKT4_PKT5_S5_PT6_21rocsparse_index_base_b.uses_flat_scratch, 0
	.set _ZN9rocsparseL18bsrxmvn_4x4_kernelILj128ELj16EfiifffEEvT3_20rocsparse_direction_NS_24const_host_device_scalarIT1_EES1_PKS1_PKT2_SA_S7_PKT4_PKT5_S5_PT6_21rocsparse_index_base_b.has_dyn_sized_stack, 0
	.set _ZN9rocsparseL18bsrxmvn_4x4_kernelILj128ELj16EfiifffEEvT3_20rocsparse_direction_NS_24const_host_device_scalarIT1_EES1_PKS1_PKT2_SA_S7_PKT4_PKT5_S5_PT6_21rocsparse_index_base_b.has_recursion, 0
	.set _ZN9rocsparseL18bsrxmvn_4x4_kernelILj128ELj16EfiifffEEvT3_20rocsparse_direction_NS_24const_host_device_scalarIT1_EES1_PKS1_PKT2_SA_S7_PKT4_PKT5_S5_PT6_21rocsparse_index_base_b.has_indirect_call, 0
	.section	.AMDGPU.csdata,"",@progbits
; Kernel info:
; codeLenInByte = 4004
; TotalNumSgprs: 20
; NumVgprs: 96
; ScratchSize: 0
; MemoryBound: 0
; FloatMode: 240
; IeeeMode: 1
; LDSByteSize: 0 bytes/workgroup (compile time only)
; SGPRBlocks: 0
; VGPRBlocks: 11
; NumSGPRsForWavesPerEU: 20
; NumVGPRsForWavesPerEU: 96
; Occupancy: 16
; WaveLimiterHint : 1
; COMPUTE_PGM_RSRC2:SCRATCH_EN: 0
; COMPUTE_PGM_RSRC2:USER_SGPR: 2
; COMPUTE_PGM_RSRC2:TRAP_HANDLER: 0
; COMPUTE_PGM_RSRC2:TGID_X_EN: 1
; COMPUTE_PGM_RSRC2:TGID_Y_EN: 0
; COMPUTE_PGM_RSRC2:TGID_Z_EN: 0
; COMPUTE_PGM_RSRC2:TIDIG_COMP_CNT: 0
	.section	.text._ZN9rocsparseL18bsrxmvn_4x4_kernelILj128ELj32EfiifffEEvT3_20rocsparse_direction_NS_24const_host_device_scalarIT1_EES1_PKS1_PKT2_SA_S7_PKT4_PKT5_S5_PT6_21rocsparse_index_base_b,"axG",@progbits,_ZN9rocsparseL18bsrxmvn_4x4_kernelILj128ELj32EfiifffEEvT3_20rocsparse_direction_NS_24const_host_device_scalarIT1_EES1_PKS1_PKT2_SA_S7_PKT4_PKT5_S5_PT6_21rocsparse_index_base_b,comdat
	.globl	_ZN9rocsparseL18bsrxmvn_4x4_kernelILj128ELj32EfiifffEEvT3_20rocsparse_direction_NS_24const_host_device_scalarIT1_EES1_PKS1_PKT2_SA_S7_PKT4_PKT5_S5_PT6_21rocsparse_index_base_b ; -- Begin function _ZN9rocsparseL18bsrxmvn_4x4_kernelILj128ELj32EfiifffEEvT3_20rocsparse_direction_NS_24const_host_device_scalarIT1_EES1_PKS1_PKT2_SA_S7_PKT4_PKT5_S5_PT6_21rocsparse_index_base_b
	.p2align	8
	.type	_ZN9rocsparseL18bsrxmvn_4x4_kernelILj128ELj32EfiifffEEvT3_20rocsparse_direction_NS_24const_host_device_scalarIT1_EES1_PKS1_PKT2_SA_S7_PKT4_PKT5_S5_PT6_21rocsparse_index_base_b,@function
_ZN9rocsparseL18bsrxmvn_4x4_kernelILj128ELj32EfiifffEEvT3_20rocsparse_direction_NS_24const_host_device_scalarIT1_EES1_PKS1_PKT2_SA_S7_PKT4_PKT5_S5_PT6_21rocsparse_index_base_b: ; @_ZN9rocsparseL18bsrxmvn_4x4_kernelILj128ELj32EfiifffEEvT3_20rocsparse_direction_NS_24const_host_device_scalarIT1_EES1_PKS1_PKT2_SA_S7_PKT4_PKT5_S5_PT6_21rocsparse_index_base_b
; %bb.0:
	s_clause 0x2
	s_load_b64 s[16:17], s[0:1], 0x58
	s_load_b64 s[14:15], s[0:1], 0x8
	;; [unrolled: 1-line block ×3, first 2 shown]
	s_wait_kmcnt 0x0
	s_bitcmp1_b32 s17, 0
	s_cselect_b32 s2, -1, 0
	s_delay_alu instid0(SALU_CYCLE_1)
	s_and_b32 vcc_lo, exec_lo, s2
	s_xor_b32 s2, s2, -1
	s_cbranch_vccnz .LBB3_2
; %bb.1:
	s_load_b32 s14, s[14:15], 0x0
.LBB3_2:
	s_and_not1_b32 vcc_lo, exec_lo, s2
	s_cbranch_vccnz .LBB3_4
; %bb.3:
	s_load_b32 s12, s[12:13], 0x0
.LBB3_4:
	s_wait_kmcnt 0x0
	s_cmp_neq_f32 s14, 0
	s_mov_b32 s6, 0
	s_cselect_b32 s2, -1, 0
	s_cmp_neq_f32 s12, 1.0
	s_cselect_b32 s3, -1, 0
	s_delay_alu instid0(SALU_CYCLE_1) | instskip(NEXT) | instid1(SALU_CYCLE_1)
	s_or_b32 s2, s2, s3
	s_and_not1_b32 vcc_lo, exec_lo, s2
	s_cbranch_vccnz .LBB3_10
; %bb.5:
	s_clause 0x1
	s_load_b64 s[4:5], s[0:1], 0x18
	s_load_b64 s[2:3], s[0:1], 0x0
	v_lshrrev_b32_e32 v1, 5, v0
	s_delay_alu instid0(VALU_DEP_1)
	v_lshl_or_b32 v4, ttmp9, 2, v1
	s_wait_kmcnt 0x0
	s_cmp_lg_u64 s[4:5], 0
	s_cbranch_scc0 .LBB3_11
; %bb.6:
	s_load_b32 s6, s[0:1], 0x10
	s_mov_b32 s7, 0
                                        ; implicit-def: $vgpr1
	s_wait_kmcnt 0x0
	v_cmp_gt_i32_e32 vcc_lo, s6, v4
	s_mov_b32 s6, 0
	s_and_saveexec_b32 s8, vcc_lo
	s_delay_alu instid0(SALU_CYCLE_1)
	s_xor_b32 s8, exec_lo, s8
	s_cbranch_execz .LBB3_8
; %bb.7:
	v_ashrrev_i32_e32 v5, 31, v4
	s_mov_b32 s6, exec_lo
	s_delay_alu instid0(VALU_DEP_1) | instskip(NEXT) | instid1(VALU_DEP_1)
	v_lshlrev_b64_e32 v[1:2], 2, v[4:5]
	v_add_co_u32 v1, vcc_lo, s4, v1
	s_delay_alu instid0(VALU_DEP_1)
	v_add_co_ci_u32_e64 v2, null, s5, v2, vcc_lo
	global_load_b32 v1, v[1:2], off
	s_wait_loadcnt 0x0
	v_subrev_nc_u32_e32 v1, s16, v1
.LBB3_8:
	s_or_b32 exec_lo, exec_lo, s8
	s_delay_alu instid0(SALU_CYCLE_1)
	s_and_b32 vcc_lo, exec_lo, s7
	s_wait_alu 0xfffe
	s_cbranch_vccz .LBB3_12
.LBB3_9:
	v_cmp_gt_i32_e32 vcc_lo, s2, v4
	s_and_not1_b32 s2, s6, exec_lo
	s_and_b32 s4, vcc_lo, exec_lo
	s_wait_alu 0xfffe
	s_or_b32 s6, s2, s4
	s_wait_alu 0xfffe
	s_and_saveexec_b32 s2, s6
	s_cbranch_execnz .LBB3_13
.LBB3_10:
	s_endpgm
.LBB3_11:
                                        ; implicit-def: $vgpr1
	s_cbranch_execnz .LBB3_9
.LBB3_12:
	v_mov_b32_e32 v4, v1
	s_and_saveexec_b32 s2, s6
	s_cbranch_execz .LBB3_10
.LBB3_13:
	s_load_b256 s[4:11], s[0:1], 0x20
	s_delay_alu instid0(VALU_DEP_1) | instskip(SKIP_1) | instid1(VALU_DEP_2)
	v_ashrrev_i32_e32 v5, 31, v4
	v_and_b32_e32 v9, 31, v0
	v_lshlrev_b64_e32 v[1:2], 2, v[4:5]
	s_wait_kmcnt 0x0
	s_delay_alu instid0(VALU_DEP_1) | instskip(SKIP_1) | instid1(VALU_DEP_2)
	v_add_co_u32 v5, vcc_lo, s4, v1
	s_wait_alu 0xfffd
	v_add_co_ci_u32_e64 v6, null, s5, v2, vcc_lo
	v_add_co_u32 v1, vcc_lo, s6, v1
	s_wait_alu 0xfffd
	v_add_co_ci_u32_e64 v2, null, s7, v2, vcc_lo
	global_load_b32 v15, v[5:6], off
	v_add_co_u32 v3, vcc_lo, v5, 4
	s_wait_alu 0xfffd
	v_add_co_ci_u32_e64 v5, null, 0, v6, vcc_lo
	s_cmp_eq_u64 s[6:7], 0
	s_load_b64 s[4:5], s[0:1], 0x40
	s_cselect_b32 vcc_lo, -1, 0
	s_cmp_eq_u32 s3, 1
	s_wait_alu 0xfffe
	v_dual_cndmask_b32 v2, v2, v5 :: v_dual_cndmask_b32 v1, v1, v3
	global_load_b32 v5, v[1:2], off
	s_wait_loadcnt 0x1
	v_subrev_nc_u32_e32 v0, s16, v15
	s_delay_alu instid0(VALU_DEP_1) | instskip(NEXT) | instid1(VALU_DEP_1)
	v_add_nc_u32_e32 v0, v0, v9
	v_ashrrev_i32_e32 v1, 31, v0
	s_wait_loadcnt 0x0
	v_subrev_nc_u32_e32 v14, s16, v5
	s_delay_alu instid0(VALU_DEP_2) | instskip(NEXT) | instid1(VALU_DEP_2)
	v_lshlrev_b64_e32 v[2:3], 6, v[0:1]
	v_cmp_lt_i32_e64 s2, v0, v14
	s_delay_alu instid0(VALU_DEP_2) | instskip(SKIP_1) | instid1(VALU_DEP_3)
	v_add_co_u32 v2, vcc_lo, s10, v2
	s_wait_alu 0xfffd
	v_add_co_ci_u32_e64 v3, null, s11, v3, vcc_lo
	s_cbranch_scc1 .LBB3_25
; %bb.14:
	v_dual_mov_b32 v10, 0 :: v_dual_mov_b32 v13, 0
	v_dual_mov_b32 v12, 0 :: v_dual_mov_b32 v11, 0
	s_and_saveexec_b32 s3, s2
	s_cbranch_execz .LBB3_24
; %bb.15:
	v_dual_mov_b32 v12, 0 :: v_dual_add_nc_u32 v1, v15, v9
	v_not_b32_e32 v5, v15
	v_dual_mov_b32 v13, 0 :: v_dual_mov_b32 v8, v3
	s_delay_alu instid0(VALU_DEP_3) | instskip(SKIP_2) | instid1(VALU_DEP_2)
	v_subrev_nc_u32_e32 v1, s16, v1
	v_mov_b32_e32 v7, v2
	s_mov_b32 s6, exec_lo
	v_dual_mov_b32 v10, 0 :: v_dual_add_nc_u32 v1, 32, v1
	s_delay_alu instid0(VALU_DEP_1) | instskip(NEXT) | instid1(VALU_DEP_1)
	v_max_i32_e32 v1, v1, v14
	v_add3_u32 v1, s16, v1, v5
	v_mov_b32_e32 v5, v0
	s_delay_alu instid0(VALU_DEP_2) | instskip(NEXT) | instid1(VALU_DEP_1)
	v_sub_nc_u32_e32 v1, v1, v9
	v_dual_mov_b32 v11, 0 :: v_dual_and_b32 v6, 0x60, v1
	s_delay_alu instid0(VALU_DEP_1)
	v_cmpx_ne_u32_e32 0x60, v6
	s_cbranch_execz .LBB3_19
; %bb.16:
	v_lshrrev_b32_e32 v5, 5, v1
	v_mov_b32_e32 v8, v3
	v_dual_mov_b32 v12, 0 :: v_dual_mov_b32 v13, 0
	v_mov_b32_e32 v11, 0
	s_delay_alu instid0(VALU_DEP_4) | instskip(SKIP_1) | instid1(VALU_DEP_1)
	v_dual_mov_b32 v10, 0 :: v_dual_add_nc_u32 v5, 1, v5
	s_mov_b32 s7, 0
	v_dual_mov_b32 v7, v2 :: v_dual_and_b32 v6, 3, v5
	v_mov_b32_e32 v5, v0
	s_delay_alu instid0(VALU_DEP_2)
	v_sub_nc_u32_e32 v16, 0, v6
.LBB3_17:                               ; =>This Inner Loop Header: Depth=1
	s_delay_alu instid0(VALU_DEP_2) | instskip(NEXT) | instid1(VALU_DEP_2)
	v_ashrrev_i32_e32 v6, 31, v5
	v_add_co_u32 v16, s10, v16, 1
	s_wait_alu 0xfffe
	s_or_b32 s7, s10, s7
	s_delay_alu instid0(VALU_DEP_2) | instskip(SKIP_1) | instid1(VALU_DEP_2)
	v_lshlrev_b64_e32 v[17:18], 2, v[5:6]
	v_add_nc_u32_e32 v5, 32, v5
	v_add_co_u32 v17, vcc_lo, s8, v17
	s_wait_alu 0xfffd
	s_delay_alu instid0(VALU_DEP_3)
	v_add_co_ci_u32_e64 v18, null, s9, v18, vcc_lo
	global_load_b32 v6, v[17:18], off
	s_clause 0x3
	global_load_b128 v[17:20], v[7:8], off offset:48
	global_load_b128 v[21:24], v[7:8], off offset:32
	;; [unrolled: 1-line block ×3, first 2 shown]
	global_load_b128 v[29:32], v[7:8], off
	s_wait_loadcnt 0x4
	v_subrev_nc_u32_e32 v6, s16, v6
	s_delay_alu instid0(VALU_DEP_1) | instskip(NEXT) | instid1(VALU_DEP_1)
	v_lshlrev_b32_e32 v33, 2, v6
	v_ashrrev_i32_e32 v34, 31, v33
	s_delay_alu instid0(VALU_DEP_1) | instskip(SKIP_1) | instid1(VALU_DEP_1)
	v_lshlrev_b64_e32 v[33:34], 2, v[33:34]
	s_wait_kmcnt 0x0
	v_add_co_u32 v33, vcc_lo, s4, v33
	s_wait_alu 0xfffd
	s_delay_alu instid0(VALU_DEP_2)
	v_add_co_ci_u32_e64 v34, null, s5, v34, vcc_lo
	v_add_co_u32 v7, vcc_lo, 0x800, v7
	s_wait_alu 0xfffd
	v_add_co_ci_u32_e64 v8, null, 0, v8, vcc_lo
	global_load_b128 v[33:36], v[33:34], off
	s_wait_loadcnt 0x0
	v_fmac_f32_e32 v12, v21, v33
	v_fmac_f32_e32 v11, v29, v33
	;; [unrolled: 1-line block ×3, first 2 shown]
	s_delay_alu instid0(VALU_DEP_3) | instskip(NEXT) | instid1(VALU_DEP_3)
	v_dual_fmac_f32 v13, v25, v33 :: v_dual_fmac_f32 v12, v22, v34
	v_fmac_f32_e32 v11, v30, v34
	s_delay_alu instid0(VALU_DEP_3) | instskip(NEXT) | instid1(VALU_DEP_3)
	v_fmac_f32_e32 v10, v18, v34
	v_dual_fmac_f32 v13, v26, v34 :: v_dual_fmac_f32 v12, v23, v35
	s_delay_alu instid0(VALU_DEP_3) | instskip(NEXT) | instid1(VALU_DEP_3)
	v_fmac_f32_e32 v11, v31, v35
	v_fmac_f32_e32 v10, v19, v35
	s_delay_alu instid0(VALU_DEP_3) | instskip(NEXT) | instid1(VALU_DEP_3)
	v_dual_fmac_f32 v13, v27, v35 :: v_dual_fmac_f32 v12, v24, v36
	v_fmac_f32_e32 v11, v32, v36
	s_delay_alu instid0(VALU_DEP_3) | instskip(NEXT) | instid1(VALU_DEP_3)
	v_fmac_f32_e32 v10, v20, v36
	v_fmac_f32_e32 v13, v28, v36
	s_wait_alu 0xfffe
	s_and_not1_b32 exec_lo, exec_lo, s7
	s_cbranch_execnz .LBB3_17
; %bb.18:
	s_or_b32 exec_lo, exec_lo, s7
.LBB3_19:
	s_wait_alu 0xfffe
	s_or_b32 exec_lo, exec_lo, s6
	s_delay_alu instid0(SALU_CYCLE_1)
	s_mov_b32 s6, exec_lo
	v_cmpx_lt_u32_e32 0x5f, v1
	s_cbranch_execz .LBB3_23
; %bb.20:
	s_mov_b32 s7, 0
.LBB3_21:                               ; =>This Inner Loop Header: Depth=1
	v_ashrrev_i32_e32 v6, 31, v5
	s_delay_alu instid0(VALU_DEP_1) | instskip(SKIP_1) | instid1(VALU_DEP_2)
	v_lshlrev_b64_e32 v[16:17], 2, v[5:6]
	v_add_nc_u32_e32 v5, 0x80, v5
	v_add_co_u32 v16, vcc_lo, s8, v16
	s_wait_alu 0xfffd
	s_delay_alu instid0(VALU_DEP_3)
	v_add_co_ci_u32_e64 v17, null, s9, v17, vcc_lo
	s_clause 0x3
	global_load_b32 v1, v[16:17], off
	global_load_b32 v6, v[16:17], off offset:128
	global_load_b32 v80, v[16:17], off offset:256
	;; [unrolled: 1-line block ×3, first 2 shown]
	s_clause 0xf
	global_load_b128 v[16:19], v[7:8], off offset:48
	global_load_b128 v[20:23], v[7:8], off offset:32
	;; [unrolled: 1-line block ×3, first 2 shown]
	global_load_b128 v[28:31], v[7:8], off
	global_load_b128 v[32:35], v[7:8], off offset:2096
	global_load_b128 v[36:39], v[7:8], off offset:2080
	;; [unrolled: 1-line block ×12, first 2 shown]
	s_wait_loadcnt 0x13
	v_subrev_nc_u32_e32 v1, s16, v1
	s_wait_loadcnt 0x12
	v_subrev_nc_u32_e32 v6, s16, v6
	;; [unrolled: 2-line block ×4, first 2 shown]
	v_lshlrev_b32_e32 v80, 2, v1
	s_delay_alu instid0(VALU_DEP_3) | instskip(NEXT) | instid1(VALU_DEP_3)
	v_lshlrev_b32_e32 v88, 2, v82
	v_lshlrev_b32_e32 v92, 2, v81
	s_delay_alu instid0(VALU_DEP_3) | instskip(NEXT) | instid1(VALU_DEP_1)
	v_ashrrev_i32_e32 v81, 31, v80
	v_lshlrev_b64_e32 v[80:81], 2, v[80:81]
	s_wait_kmcnt 0x0
	s_delay_alu instid0(VALU_DEP_1) | instskip(SKIP_1) | instid1(VALU_DEP_2)
	v_add_co_u32 v80, vcc_lo, s4, v80
	s_wait_alu 0xfffd
	v_add_co_ci_u32_e64 v81, null, s5, v81, vcc_lo
	global_load_b128 v[80:83], v[80:81], off
	v_lshlrev_b32_e32 v84, 2, v6
	s_delay_alu instid0(VALU_DEP_1) | instskip(NEXT) | instid1(VALU_DEP_1)
	v_ashrrev_i32_e32 v85, 31, v84
	v_lshlrev_b64_e32 v[84:85], 2, v[84:85]
	s_delay_alu instid0(VALU_DEP_1) | instskip(SKIP_1) | instid1(VALU_DEP_2)
	v_add_co_u32 v84, vcc_lo, s4, v84
	s_wait_alu 0xfffd
	v_add_co_ci_u32_e64 v85, null, s5, v85, vcc_lo
	global_load_b128 v[84:87], v[84:85], off
	s_wait_loadcnt 0x1
	v_fmac_f32_e32 v13, v24, v80
	v_ashrrev_i32_e32 v89, 31, v88
	v_fmac_f32_e32 v10, v16, v80
	v_fmac_f32_e32 v11, v28, v80
	s_delay_alu instid0(VALU_DEP_4) | instskip(NEXT) | instid1(VALU_DEP_4)
	v_dual_fmac_f32 v12, v20, v80 :: v_dual_fmac_f32 v13, v25, v81
	v_lshlrev_b64_e32 v[88:89], 2, v[88:89]
	s_delay_alu instid0(VALU_DEP_3) | instskip(NEXT) | instid1(VALU_DEP_3)
	v_fmac_f32_e32 v11, v29, v81
	v_fmac_f32_e32 v13, v26, v82
	v_ashrrev_i32_e32 v93, 31, v92
	s_delay_alu instid0(VALU_DEP_4) | instskip(SKIP_2) | instid1(VALU_DEP_3)
	v_add_co_u32 v88, vcc_lo, s4, v88
	s_wait_alu 0xfffd
	v_add_co_ci_u32_e64 v89, null, s5, v89, vcc_lo
	v_lshlrev_b64_e32 v[92:93], 2, v[92:93]
	v_dual_fmac_f32 v10, v17, v81 :: v_dual_fmac_f32 v13, v27, v83
	global_load_b128 v[88:91], v[88:89], off
	v_dual_fmac_f32 v11, v30, v82 :: v_dual_fmac_f32 v12, v21, v81
	v_add_co_u32 v92, vcc_lo, s4, v92
	s_wait_alu 0xfffd
	v_add_co_ci_u32_e64 v93, null, s5, v93, vcc_lo
	s_wait_loadcnt 0x1
	v_dual_fmac_f32 v10, v18, v82 :: v_dual_fmac_f32 v13, v40, v84
	v_fmac_f32_e32 v11, v31, v83
	global_load_b128 v[92:95], v[92:93], off
	v_fmac_f32_e32 v12, v22, v82
	v_dual_fmac_f32 v10, v19, v83 :: v_dual_fmac_f32 v13, v41, v85
	v_fmac_f32_e32 v11, v44, v84
	v_add_co_u32 v7, vcc_lo, 0x2000, v7
	s_delay_alu instid0(VALU_DEP_4) | instskip(NEXT) | instid1(VALU_DEP_4)
	v_fmac_f32_e32 v12, v23, v83
	v_dual_fmac_f32 v10, v32, v84 :: v_dual_fmac_f32 v13, v42, v86
	s_delay_alu instid0(VALU_DEP_4)
	v_fmac_f32_e32 v11, v45, v85
	s_wait_alu 0xfffd
	v_add_co_ci_u32_e64 v8, null, 0, v8, vcc_lo
	v_fmac_f32_e32 v12, v36, v84
	v_dual_fmac_f32 v10, v33, v85 :: v_dual_fmac_f32 v13, v43, v87
	v_fmac_f32_e32 v11, v46, v86
	v_cmp_ge_i32_e32 vcc_lo, v5, v14
	s_delay_alu instid0(VALU_DEP_4) | instskip(NEXT) | instid1(VALU_DEP_3)
	v_fmac_f32_e32 v12, v37, v85
	v_dual_fmac_f32 v10, v34, v86 :: v_dual_fmac_f32 v11, v47, v87
	s_wait_alu 0xfffe
	s_or_b32 s7, vcc_lo, s7
	s_wait_loadcnt 0x1
	s_delay_alu instid0(VALU_DEP_1) | instskip(NEXT) | instid1(VALU_DEP_1)
	v_dual_fmac_f32 v12, v38, v86 :: v_dual_fmac_f32 v11, v60, v88
	v_dual_fmac_f32 v12, v39, v87 :: v_dual_fmac_f32 v13, v56, v88
	s_delay_alu instid0(VALU_DEP_2) | instskip(NEXT) | instid1(VALU_DEP_2)
	v_dual_fmac_f32 v10, v35, v87 :: v_dual_fmac_f32 v11, v61, v89
	v_dual_fmac_f32 v12, v52, v88 :: v_dual_fmac_f32 v13, v57, v89
	s_delay_alu instid0(VALU_DEP_2) | instskip(NEXT) | instid1(VALU_DEP_2)
	;; [unrolled: 3-line block ×3, first 2 shown]
	v_dual_fmac_f32 v10, v49, v89 :: v_dual_fmac_f32 v11, v63, v91
	v_dual_fmac_f32 v12, v54, v90 :: v_dual_fmac_f32 v13, v59, v91
	s_wait_loadcnt 0x0
	s_delay_alu instid0(VALU_DEP_2) | instskip(NEXT) | instid1(VALU_DEP_2)
	v_dual_fmac_f32 v10, v50, v90 :: v_dual_fmac_f32 v11, v76, v92
	v_dual_fmac_f32 v12, v55, v91 :: v_dual_fmac_f32 v13, v72, v92
	s_delay_alu instid0(VALU_DEP_2) | instskip(NEXT) | instid1(VALU_DEP_2)
	v_dual_fmac_f32 v10, v51, v91 :: v_dual_fmac_f32 v11, v77, v93
	v_dual_fmac_f32 v12, v68, v92 :: v_dual_fmac_f32 v13, v73, v93
	;; [unrolled: 3-line block ×4, first 2 shown]
	s_delay_alu instid0(VALU_DEP_2) | instskip(NEXT) | instid1(VALU_DEP_2)
	v_fmac_f32_e32 v10, v66, v94
	v_fmac_f32_e32 v12, v71, v95
	s_delay_alu instid0(VALU_DEP_2)
	v_fmac_f32_e32 v10, v67, v95
	s_wait_alu 0xfffe
	s_and_not1_b32 exec_lo, exec_lo, s7
	s_cbranch_execnz .LBB3_21
; %bb.22:
	s_or_b32 exec_lo, exec_lo, s7
.LBB3_23:
	s_wait_alu 0xfffe
	s_or_b32 exec_lo, exec_lo, s6
.LBB3_24:
	s_wait_alu 0xfffe
	s_or_b32 exec_lo, exec_lo, s3
	s_cbranch_execz .LBB3_26
	s_branch .LBB3_37
.LBB3_25:
                                        ; implicit-def: $vgpr10
                                        ; implicit-def: $vgpr12
                                        ; implicit-def: $vgpr13
                                        ; implicit-def: $vgpr11
.LBB3_26:
	v_dual_mov_b32 v10, 0 :: v_dual_mov_b32 v13, 0
	v_dual_mov_b32 v12, 0 :: v_dual_mov_b32 v11, 0
	s_and_saveexec_b32 s3, s2
	s_cbranch_execz .LBB3_36
; %bb.27:
	v_dual_mov_b32 v12, 0 :: v_dual_add_nc_u32 v1, v15, v9
	v_not_b32_e32 v5, v15
	v_mov_b32_e32 v11, 0
	v_mov_b32_e32 v13, 0
	s_delay_alu instid0(VALU_DEP_4) | instskip(SKIP_1) | instid1(VALU_DEP_1)
	v_subrev_nc_u32_e32 v1, s16, v1
	s_mov_b32 s2, exec_lo
	v_dual_mov_b32 v10, 0 :: v_dual_add_nc_u32 v1, 32, v1
	s_delay_alu instid0(VALU_DEP_1) | instskip(NEXT) | instid1(VALU_DEP_1)
	v_max_i32_e32 v1, v1, v14
	v_add3_u32 v1, s16, v1, v5
	s_delay_alu instid0(VALU_DEP_1) | instskip(NEXT) | instid1(VALU_DEP_1)
	v_sub_nc_u32_e32 v5, v1, v9
	v_and_b32_e32 v1, 0x60, v5
	s_delay_alu instid0(VALU_DEP_1)
	v_cmpx_ne_u32_e32 0x60, v1
	s_cbranch_execz .LBB3_31
; %bb.28:
	v_lshrrev_b32_e32 v1, 5, v5
	v_mov_b32_e32 v13, 0
	v_mov_b32_e32 v11, 0
	s_mov_b32 s6, 0
	s_delay_alu instid0(VALU_DEP_3) | instskip(NEXT) | instid1(VALU_DEP_1)
	v_dual_mov_b32 v10, 0 :: v_dual_add_nc_u32 v1, 1, v1
	v_dual_mov_b32 v12, 0 :: v_dual_and_b32 v1, 3, v1
	s_delay_alu instid0(VALU_DEP_1)
	v_sub_nc_u32_e32 v6, 0, v1
.LBB3_29:                               ; =>This Inner Loop Header: Depth=1
	v_ashrrev_i32_e32 v1, 31, v0
	s_delay_alu instid0(VALU_DEP_2) | instskip(SKIP_2) | instid1(VALU_DEP_2)
	v_add_co_u32 v6, s7, v6, 1
	s_wait_alu 0xfffe
	s_or_b32 s6, s7, s6
	v_lshlrev_b64_e32 v[7:8], 2, v[0:1]
	v_add_nc_u32_e32 v0, 32, v0
	s_delay_alu instid0(VALU_DEP_2) | instskip(SKIP_1) | instid1(VALU_DEP_3)
	v_add_co_u32 v7, vcc_lo, s8, v7
	s_wait_alu 0xfffd
	v_add_co_ci_u32_e64 v8, null, s9, v8, vcc_lo
	global_load_b32 v1, v[7:8], off
	s_clause 0x1
	global_load_b128 v[15:18], v[2:3], off offset:16
	global_load_b128 v[19:22], v[2:3], off
	s_wait_loadcnt 0x2
	v_subrev_nc_u32_e32 v1, s16, v1
	s_delay_alu instid0(VALU_DEP_1) | instskip(NEXT) | instid1(VALU_DEP_1)
	v_lshlrev_b32_e32 v7, 2, v1
	v_ashrrev_i32_e32 v8, 31, v7
	s_delay_alu instid0(VALU_DEP_1) | instskip(SKIP_1) | instid1(VALU_DEP_1)
	v_lshlrev_b64_e32 v[7:8], 2, v[7:8]
	s_wait_kmcnt 0x0
	v_add_co_u32 v7, vcc_lo, s4, v7
	s_wait_alu 0xfffd
	s_delay_alu instid0(VALU_DEP_2)
	v_add_co_ci_u32_e64 v8, null, s5, v8, vcc_lo
	global_load_b128 v[23:26], v[7:8], off
	s_clause 0x1
	global_load_b128 v[27:30], v[2:3], off offset:32
	global_load_b128 v[31:34], v[2:3], off offset:48
	v_add_co_u32 v2, vcc_lo, 0x800, v2
	s_wait_alu 0xfffd
	v_add_co_ci_u32_e64 v3, null, 0, v3, vcc_lo
	s_wait_loadcnt 0x2
	v_fmac_f32_e32 v12, v21, v23
	s_delay_alu instid0(VALU_DEP_1) | instskip(NEXT) | instid1(VALU_DEP_1)
	v_dual_fmac_f32 v11, v19, v23 :: v_dual_fmac_f32 v12, v17, v24
	v_dual_fmac_f32 v10, v22, v23 :: v_dual_fmac_f32 v11, v15, v24
	s_wait_loadcnt 0x1
	s_delay_alu instid0(VALU_DEP_2) | instskip(NEXT) | instid1(VALU_DEP_2)
	v_dual_fmac_f32 v13, v20, v23 :: v_dual_fmac_f32 v12, v29, v25
	v_dual_fmac_f32 v10, v18, v24 :: v_dual_fmac_f32 v11, v27, v25
	s_wait_loadcnt 0x0
	s_delay_alu instid0(VALU_DEP_2) | instskip(NEXT) | instid1(VALU_DEP_2)
	v_dual_fmac_f32 v13, v16, v24 :: v_dual_fmac_f32 v12, v33, v26
	v_dual_fmac_f32 v10, v30, v25 :: v_dual_fmac_f32 v11, v31, v26
	s_delay_alu instid0(VALU_DEP_1) | instskip(NEXT) | instid1(VALU_DEP_1)
	v_dual_fmac_f32 v13, v28, v25 :: v_dual_fmac_f32 v10, v34, v26
	v_fmac_f32_e32 v13, v32, v26
	s_wait_alu 0xfffe
	s_and_not1_b32 exec_lo, exec_lo, s6
	s_cbranch_execnz .LBB3_29
; %bb.30:
	s_or_b32 exec_lo, exec_lo, s6
.LBB3_31:
	s_wait_alu 0xfffe
	s_or_b32 exec_lo, exec_lo, s2
	s_delay_alu instid0(SALU_CYCLE_1)
	s_mov_b32 s2, exec_lo
	v_cmpx_lt_u32_e32 0x5f, v5
	s_cbranch_execz .LBB3_35
; %bb.32:
	s_mov_b32 s6, 0
.LBB3_33:                               ; =>This Inner Loop Header: Depth=1
	v_ashrrev_i32_e32 v1, 31, v0
	s_delay_alu instid0(VALU_DEP_1) | instskip(SKIP_1) | instid1(VALU_DEP_2)
	v_lshlrev_b64_e32 v[5:6], 2, v[0:1]
	v_add_nc_u32_e32 v0, 0x80, v0
	v_add_co_u32 v5, vcc_lo, s8, v5
	s_wait_alu 0xfffd
	s_delay_alu instid0(VALU_DEP_3)
	v_add_co_ci_u32_e64 v6, null, s9, v6, vcc_lo
	s_clause 0x3
	global_load_b32 v1, v[5:6], off
	global_load_b32 v67, v[5:6], off offset:128
	global_load_b32 v68, v[5:6], off offset:256
	;; [unrolled: 1-line block ×3, first 2 shown]
	s_clause 0xd
	global_load_b128 v[5:8], v[2:3], off offset:48
	global_load_b128 v[15:18], v[2:3], off offset:32
	;; [unrolled: 1-line block ×3, first 2 shown]
	global_load_b128 v[23:26], v[2:3], off
	global_load_b128 v[27:30], v[2:3], off offset:2096
	global_load_b128 v[31:34], v[2:3], off offset:2080
	;; [unrolled: 1-line block ×10, first 2 shown]
	s_wait_loadcnt 0x11
	v_subrev_nc_u32_e32 v1, s16, v1
	s_wait_loadcnt 0x10
	v_subrev_nc_u32_e32 v70, s16, v67
	;; [unrolled: 2-line block ×4, first 2 shown]
	v_lshlrev_b32_e32 v67, 2, v1
	v_lshlrev_b32_e32 v71, 2, v70
	;; [unrolled: 1-line block ×3, first 2 shown]
	s_delay_alu instid0(VALU_DEP_4) | instskip(NEXT) | instid1(VALU_DEP_4)
	v_lshlrev_b32_e32 v79, 2, v69
	v_ashrrev_i32_e32 v68, 31, v67
	s_delay_alu instid0(VALU_DEP_4) | instskip(NEXT) | instid1(VALU_DEP_2)
	v_ashrrev_i32_e32 v72, 31, v71
	v_lshlrev_b64_e32 v[67:68], 2, v[67:68]
	s_delay_alu instid0(VALU_DEP_2) | instskip(SKIP_1) | instid1(VALU_DEP_2)
	v_lshlrev_b64_e32 v[71:72], 2, v[71:72]
	s_wait_kmcnt 0x0
	v_add_co_u32 v67, vcc_lo, s4, v67
	s_wait_alu 0xfffd
	s_delay_alu instid0(VALU_DEP_3) | instskip(NEXT) | instid1(VALU_DEP_3)
	v_add_co_ci_u32_e64 v68, null, s5, v68, vcc_lo
	v_add_co_u32 v71, vcc_lo, s4, v71
	s_wait_alu 0xfffd
	v_add_co_ci_u32_e64 v72, null, s5, v72, vcc_lo
	s_clause 0x1
	global_load_b128 v[67:70], v[67:68], off
	global_load_b128 v[71:74], v[71:72], off
	s_wait_loadcnt 0x1
	v_fmac_f32_e32 v10, v26, v67
	v_ashrrev_i32_e32 v76, 31, v75
	v_fmac_f32_e32 v12, v25, v67
	s_delay_alu instid0(VALU_DEP_3) | instskip(NEXT) | instid1(VALU_DEP_3)
	v_fmac_f32_e32 v10, v22, v68
	v_lshlrev_b64_e32 v[75:76], 2, v[75:76]
	v_ashrrev_i32_e32 v80, 31, v79
	s_delay_alu instid0(VALU_DEP_4) | instskip(NEXT) | instid1(VALU_DEP_4)
	v_dual_fmac_f32 v13, v24, v67 :: v_dual_fmac_f32 v12, v21, v68
	v_dual_fmac_f32 v11, v23, v67 :: v_dual_fmac_f32 v10, v18, v69
	s_delay_alu instid0(VALU_DEP_4)
	v_add_co_u32 v75, vcc_lo, s4, v75
	s_wait_alu 0xfffd
	v_add_co_ci_u32_e64 v76, null, s5, v76, vcc_lo
	v_lshlrev_b64_e32 v[79:80], 2, v[79:80]
	v_dual_fmac_f32 v12, v17, v69 :: v_dual_fmac_f32 v11, v19, v68
	v_fmac_f32_e32 v10, v8, v70
	global_load_b128 v[75:78], v[75:76], off
	v_dual_fmac_f32 v13, v20, v68 :: v_dual_fmac_f32 v12, v7, v70
	v_add_co_u32 v79, vcc_lo, s4, v79
	s_wait_alu 0xfffd
	v_add_co_ci_u32_e64 v80, null, s5, v80, vcc_lo
	global_load_b128 v[79:82], v[79:80], off
	s_clause 0x1
	global_load_b128 v[83:86], v[2:3], off offset:6176
	global_load_b128 v[87:90], v[2:3], off offset:6192
	s_wait_loadcnt 0x4
	v_dual_fmac_f32 v11, v15, v69 :: v_dual_fmac_f32 v12, v41, v71
	v_dual_fmac_f32 v13, v16, v69 :: v_dual_fmac_f32 v10, v42, v71
	v_add_co_u32 v2, vcc_lo, 0x2000, v2
	s_delay_alu instid0(VALU_DEP_3) | instskip(NEXT) | instid1(VALU_DEP_3)
	v_fmac_f32_e32 v11, v5, v70
	v_dual_fmac_f32 v13, v6, v70 :: v_dual_fmac_f32 v12, v37, v72
	s_delay_alu instid0(VALU_DEP_4) | instskip(SKIP_2) | instid1(VALU_DEP_3)
	v_fmac_f32_e32 v10, v38, v72
	s_wait_alu 0xfffd
	v_add_co_ci_u32_e64 v3, null, 0, v3, vcc_lo
	v_dual_fmac_f32 v11, v39, v71 :: v_dual_fmac_f32 v12, v33, v73
	s_delay_alu instid0(VALU_DEP_3) | instskip(SKIP_1) | instid1(VALU_DEP_3)
	v_dual_fmac_f32 v13, v40, v71 :: v_dual_fmac_f32 v10, v34, v73
	v_cmp_ge_i32_e32 vcc_lo, v0, v14
	v_dual_fmac_f32 v11, v35, v72 :: v_dual_fmac_f32 v12, v29, v74
	s_delay_alu instid0(VALU_DEP_3) | instskip(SKIP_2) | instid1(VALU_DEP_2)
	v_dual_fmac_f32 v13, v36, v72 :: v_dual_fmac_f32 v10, v30, v74
	s_wait_alu 0xfffe
	s_or_b32 s6, vcc_lo, s6
	v_fmac_f32_e32 v11, v31, v73
	s_wait_loadcnt 0x3
	v_dual_fmac_f32 v13, v32, v73 :: v_dual_fmac_f32 v10, v58, v75
	s_delay_alu instid0(VALU_DEP_1) | instskip(NEXT) | instid1(VALU_DEP_2)
	v_dual_fmac_f32 v13, v28, v74 :: v_dual_fmac_f32 v12, v57, v75
	v_dual_fmac_f32 v11, v27, v74 :: v_dual_fmac_f32 v10, v54, v76
	s_delay_alu instid0(VALU_DEP_2) | instskip(NEXT) | instid1(VALU_DEP_2)
	v_dual_fmac_f32 v13, v56, v75 :: v_dual_fmac_f32 v12, v53, v76
	v_dual_fmac_f32 v11, v55, v75 :: v_dual_fmac_f32 v10, v50, v77
	s_delay_alu instid0(VALU_DEP_2) | instskip(NEXT) | instid1(VALU_DEP_2)
	v_dual_fmac_f32 v13, v52, v76 :: v_dual_fmac_f32 v12, v49, v77
	v_dual_fmac_f32 v11, v51, v76 :: v_dual_fmac_f32 v10, v46, v78
	s_delay_alu instid0(VALU_DEP_2) | instskip(SKIP_1) | instid1(VALU_DEP_2)
	v_dual_fmac_f32 v13, v48, v77 :: v_dual_fmac_f32 v12, v45, v78
	s_wait_loadcnt 0x2
	v_dual_fmac_f32 v11, v47, v77 :: v_dual_fmac_f32 v10, v66, v79
	s_delay_alu instid0(VALU_DEP_2) | instskip(NEXT) | instid1(VALU_DEP_2)
	v_dual_fmac_f32 v13, v44, v78 :: v_dual_fmac_f32 v12, v65, v79
	v_dual_fmac_f32 v11, v43, v78 :: v_dual_fmac_f32 v10, v62, v80
	s_delay_alu instid0(VALU_DEP_1) | instskip(SKIP_1) | instid1(VALU_DEP_2)
	v_dual_fmac_f32 v12, v61, v80 :: v_dual_fmac_f32 v11, v63, v79
	s_wait_loadcnt 0x1
	v_dual_fmac_f32 v13, v64, v79 :: v_dual_fmac_f32 v10, v86, v81
	s_delay_alu instid0(VALU_DEP_2) | instskip(SKIP_1) | instid1(VALU_DEP_2)
	v_dual_fmac_f32 v12, v85, v81 :: v_dual_fmac_f32 v11, v59, v80
	s_wait_loadcnt 0x0
	v_dual_fmac_f32 v13, v60, v80 :: v_dual_fmac_f32 v10, v90, v82
	s_delay_alu instid0(VALU_DEP_2) | instskip(NEXT) | instid1(VALU_DEP_2)
	v_dual_fmac_f32 v12, v89, v82 :: v_dual_fmac_f32 v11, v83, v81
	v_fmac_f32_e32 v13, v84, v81
	s_delay_alu instid0(VALU_DEP_2) | instskip(NEXT) | instid1(VALU_DEP_2)
	v_fmac_f32_e32 v11, v87, v82
	v_fmac_f32_e32 v13, v88, v82
	s_wait_alu 0xfffe
	s_and_not1_b32 exec_lo, exec_lo, s6
	s_cbranch_execnz .LBB3_33
; %bb.34:
	s_or_b32 exec_lo, exec_lo, s6
.LBB3_35:
	s_wait_alu 0xfffe
	s_or_b32 exec_lo, exec_lo, s2
.LBB3_36:
	s_wait_alu 0xfffe
	s_or_b32 exec_lo, exec_lo, s3
.LBB3_37:
	v_mbcnt_lo_u32_b32 v0, -1, 0
	s_mov_b32 s2, -1
	s_delay_alu instid0(VALU_DEP_1) | instskip(SKIP_1) | instid1(VALU_DEP_2)
	v_xor_b32_e32 v1, 16, v0
	v_xor_b32_e32 v6, 8, v0
	v_cmp_gt_i32_e32 vcc_lo, 32, v1
	s_wait_alu 0xfffd
	v_cndmask_b32_e32 v1, v0, v1, vcc_lo
	s_delay_alu instid0(VALU_DEP_3) | instskip(SKIP_2) | instid1(VALU_DEP_1)
	v_cmp_gt_i32_e32 vcc_lo, 32, v6
	s_wait_alu 0xfffd
	v_cndmask_b32_e32 v6, v0, v6, vcc_lo
	v_lshlrev_b32_e32 v6, 2, v6
	v_lshlrev_b32_e32 v1, 2, v1
	ds_bpermute_b32 v2, v1, v11
	s_wait_dscnt 0x0
	v_add_f32_e32 v2, v11, v2
	ds_bpermute_b32 v3, v1, v13
	ds_bpermute_b32 v5, v1, v12
	;; [unrolled: 1-line block ×3, first 2 shown]
	v_xor_b32_e32 v11, 4, v0
	ds_bpermute_b32 v7, v6, v2
	v_cmp_gt_i32_e32 vcc_lo, 32, v11
	s_wait_dscnt 0x3
	v_add_f32_e32 v3, v13, v3
	s_wait_dscnt 0x2
	v_add_f32_e32 v5, v12, v5
	;; [unrolled: 2-line block ×4, first 2 shown]
	ds_bpermute_b32 v8, v6, v3
	ds_bpermute_b32 v10, v6, v5
	ds_bpermute_b32 v6, v6, v1
	s_wait_alu 0xfffd
	v_cndmask_b32_e32 v11, v0, v11, vcc_lo
	s_wait_dscnt 0x1
	v_add_f32_e32 v5, v5, v10
	s_wait_dscnt 0x0
	v_add_f32_e32 v1, v1, v6
	v_lshlrev_b32_e32 v11, 2, v11
	ds_bpermute_b32 v6, v11, v2
	ds_bpermute_b32 v10, v11, v1
	s_wait_dscnt 0x1
	v_dual_add_f32 v2, v2, v6 :: v_dual_add_f32 v3, v3, v8
	s_wait_dscnt 0x0
	v_add_f32_e32 v6, v1, v10
	ds_bpermute_b32 v8, v11, v5
	ds_bpermute_b32 v7, v11, v3
	v_xor_b32_e32 v11, 2, v0
	s_delay_alu instid0(VALU_DEP_1)
	v_cmp_gt_i32_e32 vcc_lo, 32, v11
	s_wait_dscnt 0x1
	v_add_f32_e32 v5, v5, v8
	s_wait_alu 0xfffd
	v_cndmask_b32_e32 v11, v0, v11, vcc_lo
	s_wait_dscnt 0x0
	v_add_f32_e32 v3, v3, v7
	s_delay_alu instid0(VALU_DEP_2)
	v_lshlrev_b32_e32 v11, 2, v11
	ds_bpermute_b32 v1, v11, v2
	ds_bpermute_b32 v7, v11, v3
	;; [unrolled: 1-line block ×4, first 2 shown]
	v_xor_b32_e32 v11, 1, v0
	s_delay_alu instid0(VALU_DEP_1) | instskip(SKIP_4) | instid1(VALU_DEP_2)
	v_cmp_gt_i32_e32 vcc_lo, 32, v11
	s_wait_alu 0xfffd
	v_cndmask_b32_e32 v0, v0, v11, vcc_lo
	v_cmp_eq_u32_e32 vcc_lo, 31, v9
	s_wait_dscnt 0x3
	v_dual_add_f32 v0, v2, v1 :: v_dual_lshlrev_b32 v11, 2, v0
	s_wait_dscnt 0x1
	v_dual_add_f32 v1, v3, v7 :: v_dual_add_f32 v2, v5, v8
	s_wait_dscnt 0x0
	v_add_f32_e32 v3, v6, v10
	ds_bpermute_b32 v5, v11, v0
	ds_bpermute_b32 v6, v11, v1
	;; [unrolled: 1-line block ×4, first 2 shown]
	s_and_b32 exec_lo, exec_lo, vcc_lo
	s_cbranch_execz .LBB3_10
; %bb.38:
	s_load_b64 s[0:1], s[0:1], 0x50
	s_wait_dscnt 0x2
	v_dual_add_f32 v0, v0, v5 :: v_dual_add_f32 v1, v1, v6
	s_wait_dscnt 0x0
	v_dual_add_f32 v2, v2, v7 :: v_dual_add_f32 v3, v3, v8
	v_lshlrev_b32_e32 v4, 2, v4
	s_delay_alu instid0(VALU_DEP_3) | instskip(NEXT) | instid1(VALU_DEP_3)
	v_dual_mul_f32 v0, s14, v0 :: v_dual_mul_f32 v1, s14, v1
	v_dual_mul_f32 v2, s14, v2 :: v_dual_mul_f32 v3, s14, v3
	s_cmp_eq_f32 s12, 0
	s_cbranch_scc0 .LBB3_40
; %bb.39:
	v_ashrrev_i32_e32 v5, 31, v4
	s_mov_b32 s2, 0
	s_delay_alu instid0(VALU_DEP_1) | instskip(SKIP_1) | instid1(VALU_DEP_1)
	v_lshlrev_b64_e32 v[5:6], 2, v[4:5]
	s_wait_kmcnt 0x0
	v_add_co_u32 v5, vcc_lo, s0, v5
	s_wait_alu 0xfffd
	s_delay_alu instid0(VALU_DEP_2)
	v_add_co_ci_u32_e64 v6, null, s1, v6, vcc_lo
	global_store_b128 v[5:6], v[0:3], off
.LBB3_40:
	s_wait_alu 0xfffe
	s_and_not1_b32 vcc_lo, exec_lo, s2
	s_wait_alu 0xfffe
	s_cbranch_vccnz .LBB3_10
; %bb.41:
	v_ashrrev_i32_e32 v5, 31, v4
	s_delay_alu instid0(VALU_DEP_1) | instskip(SKIP_1) | instid1(VALU_DEP_1)
	v_lshlrev_b64_e32 v[4:5], 2, v[4:5]
	s_wait_kmcnt 0x0
	v_add_co_u32 v8, vcc_lo, s0, v4
	s_wait_alu 0xfffd
	s_delay_alu instid0(VALU_DEP_2)
	v_add_co_ci_u32_e64 v9, null, s1, v5, vcc_lo
	global_load_b128 v[4:7], v[8:9], off
	s_wait_loadcnt 0x0
	v_dual_fmac_f32 v0, s12, v4 :: v_dual_fmac_f32 v1, s12, v5
	v_dual_fmac_f32 v2, s12, v6 :: v_dual_fmac_f32 v3, s12, v7
	global_store_b128 v[8:9], v[0:3], off
	s_endpgm
	.section	.rodata,"a",@progbits
	.p2align	6, 0x0
	.amdhsa_kernel _ZN9rocsparseL18bsrxmvn_4x4_kernelILj128ELj32EfiifffEEvT3_20rocsparse_direction_NS_24const_host_device_scalarIT1_EES1_PKS1_PKT2_SA_S7_PKT4_PKT5_S5_PT6_21rocsparse_index_base_b
		.amdhsa_group_segment_fixed_size 0
		.amdhsa_private_segment_fixed_size 0
		.amdhsa_kernarg_size 96
		.amdhsa_user_sgpr_count 2
		.amdhsa_user_sgpr_dispatch_ptr 0
		.amdhsa_user_sgpr_queue_ptr 0
		.amdhsa_user_sgpr_kernarg_segment_ptr 1
		.amdhsa_user_sgpr_dispatch_id 0
		.amdhsa_user_sgpr_private_segment_size 0
		.amdhsa_wavefront_size32 1
		.amdhsa_uses_dynamic_stack 0
		.amdhsa_enable_private_segment 0
		.amdhsa_system_sgpr_workgroup_id_x 1
		.amdhsa_system_sgpr_workgroup_id_y 0
		.amdhsa_system_sgpr_workgroup_id_z 0
		.amdhsa_system_sgpr_workgroup_info 0
		.amdhsa_system_vgpr_workitem_id 0
		.amdhsa_next_free_vgpr 96
		.amdhsa_next_free_sgpr 18
		.amdhsa_reserve_vcc 1
		.amdhsa_float_round_mode_32 0
		.amdhsa_float_round_mode_16_64 0
		.amdhsa_float_denorm_mode_32 3
		.amdhsa_float_denorm_mode_16_64 3
		.amdhsa_fp16_overflow 0
		.amdhsa_workgroup_processor_mode 1
		.amdhsa_memory_ordered 1
		.amdhsa_forward_progress 1
		.amdhsa_inst_pref_size 33
		.amdhsa_round_robin_scheduling 0
		.amdhsa_exception_fp_ieee_invalid_op 0
		.amdhsa_exception_fp_denorm_src 0
		.amdhsa_exception_fp_ieee_div_zero 0
		.amdhsa_exception_fp_ieee_overflow 0
		.amdhsa_exception_fp_ieee_underflow 0
		.amdhsa_exception_fp_ieee_inexact 0
		.amdhsa_exception_int_div_zero 0
	.end_amdhsa_kernel
	.section	.text._ZN9rocsparseL18bsrxmvn_4x4_kernelILj128ELj32EfiifffEEvT3_20rocsparse_direction_NS_24const_host_device_scalarIT1_EES1_PKS1_PKT2_SA_S7_PKT4_PKT5_S5_PT6_21rocsparse_index_base_b,"axG",@progbits,_ZN9rocsparseL18bsrxmvn_4x4_kernelILj128ELj32EfiifffEEvT3_20rocsparse_direction_NS_24const_host_device_scalarIT1_EES1_PKS1_PKT2_SA_S7_PKT4_PKT5_S5_PT6_21rocsparse_index_base_b,comdat
.Lfunc_end3:
	.size	_ZN9rocsparseL18bsrxmvn_4x4_kernelILj128ELj32EfiifffEEvT3_20rocsparse_direction_NS_24const_host_device_scalarIT1_EES1_PKS1_PKT2_SA_S7_PKT4_PKT5_S5_PT6_21rocsparse_index_base_b, .Lfunc_end3-_ZN9rocsparseL18bsrxmvn_4x4_kernelILj128ELj32EfiifffEEvT3_20rocsparse_direction_NS_24const_host_device_scalarIT1_EES1_PKS1_PKT2_SA_S7_PKT4_PKT5_S5_PT6_21rocsparse_index_base_b
                                        ; -- End function
	.set _ZN9rocsparseL18bsrxmvn_4x4_kernelILj128ELj32EfiifffEEvT3_20rocsparse_direction_NS_24const_host_device_scalarIT1_EES1_PKS1_PKT2_SA_S7_PKT4_PKT5_S5_PT6_21rocsparse_index_base_b.num_vgpr, 96
	.set _ZN9rocsparseL18bsrxmvn_4x4_kernelILj128ELj32EfiifffEEvT3_20rocsparse_direction_NS_24const_host_device_scalarIT1_EES1_PKS1_PKT2_SA_S7_PKT4_PKT5_S5_PT6_21rocsparse_index_base_b.num_agpr, 0
	.set _ZN9rocsparseL18bsrxmvn_4x4_kernelILj128ELj32EfiifffEEvT3_20rocsparse_direction_NS_24const_host_device_scalarIT1_EES1_PKS1_PKT2_SA_S7_PKT4_PKT5_S5_PT6_21rocsparse_index_base_b.numbered_sgpr, 18
	.set _ZN9rocsparseL18bsrxmvn_4x4_kernelILj128ELj32EfiifffEEvT3_20rocsparse_direction_NS_24const_host_device_scalarIT1_EES1_PKS1_PKT2_SA_S7_PKT4_PKT5_S5_PT6_21rocsparse_index_base_b.num_named_barrier, 0
	.set _ZN9rocsparseL18bsrxmvn_4x4_kernelILj128ELj32EfiifffEEvT3_20rocsparse_direction_NS_24const_host_device_scalarIT1_EES1_PKS1_PKT2_SA_S7_PKT4_PKT5_S5_PT6_21rocsparse_index_base_b.private_seg_size, 0
	.set _ZN9rocsparseL18bsrxmvn_4x4_kernelILj128ELj32EfiifffEEvT3_20rocsparse_direction_NS_24const_host_device_scalarIT1_EES1_PKS1_PKT2_SA_S7_PKT4_PKT5_S5_PT6_21rocsparse_index_base_b.uses_vcc, 1
	.set _ZN9rocsparseL18bsrxmvn_4x4_kernelILj128ELj32EfiifffEEvT3_20rocsparse_direction_NS_24const_host_device_scalarIT1_EES1_PKS1_PKT2_SA_S7_PKT4_PKT5_S5_PT6_21rocsparse_index_base_b.uses_flat_scratch, 0
	.set _ZN9rocsparseL18bsrxmvn_4x4_kernelILj128ELj32EfiifffEEvT3_20rocsparse_direction_NS_24const_host_device_scalarIT1_EES1_PKS1_PKT2_SA_S7_PKT4_PKT5_S5_PT6_21rocsparse_index_base_b.has_dyn_sized_stack, 0
	.set _ZN9rocsparseL18bsrxmvn_4x4_kernelILj128ELj32EfiifffEEvT3_20rocsparse_direction_NS_24const_host_device_scalarIT1_EES1_PKS1_PKT2_SA_S7_PKT4_PKT5_S5_PT6_21rocsparse_index_base_b.has_recursion, 0
	.set _ZN9rocsparseL18bsrxmvn_4x4_kernelILj128ELj32EfiifffEEvT3_20rocsparse_direction_NS_24const_host_device_scalarIT1_EES1_PKS1_PKT2_SA_S7_PKT4_PKT5_S5_PT6_21rocsparse_index_base_b.has_indirect_call, 0
	.section	.AMDGPU.csdata,"",@progbits
; Kernel info:
; codeLenInByte = 4124
; TotalNumSgprs: 20
; NumVgprs: 96
; ScratchSize: 0
; MemoryBound: 0
; FloatMode: 240
; IeeeMode: 1
; LDSByteSize: 0 bytes/workgroup (compile time only)
; SGPRBlocks: 0
; VGPRBlocks: 11
; NumSGPRsForWavesPerEU: 20
; NumVGPRsForWavesPerEU: 96
; Occupancy: 16
; WaveLimiterHint : 1
; COMPUTE_PGM_RSRC2:SCRATCH_EN: 0
; COMPUTE_PGM_RSRC2:USER_SGPR: 2
; COMPUTE_PGM_RSRC2:TRAP_HANDLER: 0
; COMPUTE_PGM_RSRC2:TGID_X_EN: 1
; COMPUTE_PGM_RSRC2:TGID_Y_EN: 0
; COMPUTE_PGM_RSRC2:TGID_Z_EN: 0
; COMPUTE_PGM_RSRC2:TIDIG_COMP_CNT: 0
	.section	.text._ZN9rocsparseL18bsrxmvn_4x4_kernelILj128ELj64EfiifffEEvT3_20rocsparse_direction_NS_24const_host_device_scalarIT1_EES1_PKS1_PKT2_SA_S7_PKT4_PKT5_S5_PT6_21rocsparse_index_base_b,"axG",@progbits,_ZN9rocsparseL18bsrxmvn_4x4_kernelILj128ELj64EfiifffEEvT3_20rocsparse_direction_NS_24const_host_device_scalarIT1_EES1_PKS1_PKT2_SA_S7_PKT4_PKT5_S5_PT6_21rocsparse_index_base_b,comdat
	.globl	_ZN9rocsparseL18bsrxmvn_4x4_kernelILj128ELj64EfiifffEEvT3_20rocsparse_direction_NS_24const_host_device_scalarIT1_EES1_PKS1_PKT2_SA_S7_PKT4_PKT5_S5_PT6_21rocsparse_index_base_b ; -- Begin function _ZN9rocsparseL18bsrxmvn_4x4_kernelILj128ELj64EfiifffEEvT3_20rocsparse_direction_NS_24const_host_device_scalarIT1_EES1_PKS1_PKT2_SA_S7_PKT4_PKT5_S5_PT6_21rocsparse_index_base_b
	.p2align	8
	.type	_ZN9rocsparseL18bsrxmvn_4x4_kernelILj128ELj64EfiifffEEvT3_20rocsparse_direction_NS_24const_host_device_scalarIT1_EES1_PKS1_PKT2_SA_S7_PKT4_PKT5_S5_PT6_21rocsparse_index_base_b,@function
_ZN9rocsparseL18bsrxmvn_4x4_kernelILj128ELj64EfiifffEEvT3_20rocsparse_direction_NS_24const_host_device_scalarIT1_EES1_PKS1_PKT2_SA_S7_PKT4_PKT5_S5_PT6_21rocsparse_index_base_b: ; @_ZN9rocsparseL18bsrxmvn_4x4_kernelILj128ELj64EfiifffEEvT3_20rocsparse_direction_NS_24const_host_device_scalarIT1_EES1_PKS1_PKT2_SA_S7_PKT4_PKT5_S5_PT6_21rocsparse_index_base_b
; %bb.0:
	s_clause 0x2
	s_load_b64 s[16:17], s[0:1], 0x58
	s_load_b64 s[14:15], s[0:1], 0x8
	;; [unrolled: 1-line block ×3, first 2 shown]
	s_wait_kmcnt 0x0
	s_bitcmp1_b32 s17, 0
	s_cselect_b32 s2, -1, 0
	s_delay_alu instid0(SALU_CYCLE_1)
	s_and_b32 vcc_lo, exec_lo, s2
	s_xor_b32 s2, s2, -1
	s_cbranch_vccnz .LBB4_2
; %bb.1:
	s_load_b32 s14, s[14:15], 0x0
.LBB4_2:
	s_and_not1_b32 vcc_lo, exec_lo, s2
	s_cbranch_vccnz .LBB4_4
; %bb.3:
	s_load_b32 s12, s[12:13], 0x0
.LBB4_4:
	s_wait_kmcnt 0x0
	s_cmp_neq_f32 s14, 0
	s_mov_b32 s6, 0
	s_cselect_b32 s2, -1, 0
	s_cmp_neq_f32 s12, 1.0
	s_cselect_b32 s3, -1, 0
	s_delay_alu instid0(SALU_CYCLE_1) | instskip(NEXT) | instid1(SALU_CYCLE_1)
	s_or_b32 s2, s2, s3
	s_and_not1_b32 vcc_lo, exec_lo, s2
	s_cbranch_vccnz .LBB4_10
; %bb.5:
	s_clause 0x1
	s_load_b64 s[4:5], s[0:1], 0x18
	s_load_b64 s[2:3], s[0:1], 0x0
	v_lshrrev_b32_e32 v1, 6, v0
	s_delay_alu instid0(VALU_DEP_1)
	v_lshl_or_b32 v4, ttmp9, 1, v1
	s_wait_kmcnt 0x0
	s_cmp_lg_u64 s[4:5], 0
	s_cbranch_scc0 .LBB4_11
; %bb.6:
	s_load_b32 s6, s[0:1], 0x10
	s_mov_b32 s7, 0
                                        ; implicit-def: $vgpr1
	s_wait_kmcnt 0x0
	v_cmp_gt_i32_e32 vcc_lo, s6, v4
	s_mov_b32 s6, 0
	s_and_saveexec_b32 s8, vcc_lo
	s_delay_alu instid0(SALU_CYCLE_1)
	s_xor_b32 s8, exec_lo, s8
	s_cbranch_execz .LBB4_8
; %bb.7:
	v_ashrrev_i32_e32 v5, 31, v4
	s_mov_b32 s6, exec_lo
	s_delay_alu instid0(VALU_DEP_1) | instskip(NEXT) | instid1(VALU_DEP_1)
	v_lshlrev_b64_e32 v[1:2], 2, v[4:5]
	v_add_co_u32 v1, vcc_lo, s4, v1
	s_delay_alu instid0(VALU_DEP_1)
	v_add_co_ci_u32_e64 v2, null, s5, v2, vcc_lo
	global_load_b32 v1, v[1:2], off
	s_wait_loadcnt 0x0
	v_subrev_nc_u32_e32 v1, s16, v1
.LBB4_8:
	s_or_b32 exec_lo, exec_lo, s8
	s_delay_alu instid0(SALU_CYCLE_1)
	s_and_b32 vcc_lo, exec_lo, s7
	s_wait_alu 0xfffe
	s_cbranch_vccz .LBB4_12
.LBB4_9:
	v_cmp_gt_i32_e32 vcc_lo, s2, v4
	s_and_not1_b32 s2, s6, exec_lo
	s_and_b32 s4, vcc_lo, exec_lo
	s_wait_alu 0xfffe
	s_or_b32 s6, s2, s4
	s_wait_alu 0xfffe
	s_and_saveexec_b32 s2, s6
	s_cbranch_execnz .LBB4_13
.LBB4_10:
	s_endpgm
.LBB4_11:
                                        ; implicit-def: $vgpr1
	s_cbranch_execnz .LBB4_9
.LBB4_12:
	v_mov_b32_e32 v4, v1
	s_and_saveexec_b32 s2, s6
	s_cbranch_execz .LBB4_10
.LBB4_13:
	s_load_b256 s[4:11], s[0:1], 0x20
	s_delay_alu instid0(VALU_DEP_1) | instskip(SKIP_1) | instid1(VALU_DEP_2)
	v_ashrrev_i32_e32 v5, 31, v4
	v_and_b32_e32 v9, 63, v0
	v_lshlrev_b64_e32 v[1:2], 2, v[4:5]
	s_wait_kmcnt 0x0
	s_delay_alu instid0(VALU_DEP_1) | instskip(SKIP_1) | instid1(VALU_DEP_2)
	v_add_co_u32 v5, vcc_lo, s4, v1
	s_wait_alu 0xfffd
	v_add_co_ci_u32_e64 v6, null, s5, v2, vcc_lo
	v_add_co_u32 v1, vcc_lo, s6, v1
	s_wait_alu 0xfffd
	v_add_co_ci_u32_e64 v2, null, s7, v2, vcc_lo
	global_load_b32 v15, v[5:6], off
	v_add_co_u32 v3, vcc_lo, v5, 4
	s_wait_alu 0xfffd
	v_add_co_ci_u32_e64 v5, null, 0, v6, vcc_lo
	s_cmp_eq_u64 s[6:7], 0
	s_load_b64 s[4:5], s[0:1], 0x40
	s_cselect_b32 vcc_lo, -1, 0
	s_cmp_eq_u32 s3, 1
	s_wait_alu 0xfffe
	v_dual_cndmask_b32 v2, v2, v5 :: v_dual_cndmask_b32 v1, v1, v3
	global_load_b32 v5, v[1:2], off
	s_wait_loadcnt 0x1
	v_subrev_nc_u32_e32 v0, s16, v15
	s_delay_alu instid0(VALU_DEP_1) | instskip(NEXT) | instid1(VALU_DEP_1)
	v_add_nc_u32_e32 v0, v0, v9
	v_ashrrev_i32_e32 v1, 31, v0
	s_wait_loadcnt 0x0
	v_subrev_nc_u32_e32 v14, s16, v5
	s_delay_alu instid0(VALU_DEP_2) | instskip(NEXT) | instid1(VALU_DEP_2)
	v_lshlrev_b64_e32 v[2:3], 6, v[0:1]
	v_cmp_lt_i32_e64 s2, v0, v14
	s_delay_alu instid0(VALU_DEP_2) | instskip(SKIP_1) | instid1(VALU_DEP_3)
	v_add_co_u32 v2, vcc_lo, s10, v2
	s_wait_alu 0xfffd
	v_add_co_ci_u32_e64 v3, null, s11, v3, vcc_lo
	s_cbranch_scc1 .LBB4_25
; %bb.14:
	v_dual_mov_b32 v10, 0 :: v_dual_mov_b32 v13, 0
	v_dual_mov_b32 v12, 0 :: v_dual_mov_b32 v11, 0
	s_and_saveexec_b32 s3, s2
	s_cbranch_execz .LBB4_24
; %bb.15:
	v_dual_mov_b32 v12, 0 :: v_dual_add_nc_u32 v1, v15, v9
	v_not_b32_e32 v5, v15
	v_dual_mov_b32 v13, 0 :: v_dual_mov_b32 v8, v3
	s_delay_alu instid0(VALU_DEP_3) | instskip(SKIP_2) | instid1(VALU_DEP_2)
	v_subrev_nc_u32_e32 v1, s16, v1
	v_mov_b32_e32 v7, v2
	s_mov_b32 s6, exec_lo
	v_dual_mov_b32 v10, 0 :: v_dual_add_nc_u32 v1, 64, v1
	s_delay_alu instid0(VALU_DEP_1) | instskip(NEXT) | instid1(VALU_DEP_1)
	v_max_i32_e32 v1, v1, v14
	v_add3_u32 v1, s16, v1, v5
	v_mov_b32_e32 v5, v0
	s_delay_alu instid0(VALU_DEP_2) | instskip(NEXT) | instid1(VALU_DEP_1)
	v_sub_nc_u32_e32 v1, v1, v9
	v_dual_mov_b32 v11, 0 :: v_dual_and_b32 v6, 0xc0, v1
	s_delay_alu instid0(VALU_DEP_1)
	v_cmpx_ne_u32_e32 0xc0, v6
	s_cbranch_execz .LBB4_19
; %bb.16:
	v_lshrrev_b32_e32 v5, 6, v1
	v_mov_b32_e32 v8, v3
	v_dual_mov_b32 v12, 0 :: v_dual_mov_b32 v13, 0
	v_mov_b32_e32 v11, 0
	s_delay_alu instid0(VALU_DEP_4) | instskip(SKIP_1) | instid1(VALU_DEP_1)
	v_dual_mov_b32 v10, 0 :: v_dual_add_nc_u32 v5, 1, v5
	s_mov_b32 s7, 0
	v_dual_mov_b32 v7, v2 :: v_dual_and_b32 v6, 3, v5
	v_mov_b32_e32 v5, v0
	s_delay_alu instid0(VALU_DEP_2)
	v_sub_nc_u32_e32 v16, 0, v6
.LBB4_17:                               ; =>This Inner Loop Header: Depth=1
	s_delay_alu instid0(VALU_DEP_2) | instskip(NEXT) | instid1(VALU_DEP_2)
	v_ashrrev_i32_e32 v6, 31, v5
	v_add_co_u32 v16, s10, v16, 1
	s_wait_alu 0xfffe
	s_or_b32 s7, s10, s7
	s_delay_alu instid0(VALU_DEP_2) | instskip(SKIP_1) | instid1(VALU_DEP_2)
	v_lshlrev_b64_e32 v[17:18], 2, v[5:6]
	v_add_nc_u32_e32 v5, 64, v5
	v_add_co_u32 v17, vcc_lo, s8, v17
	s_wait_alu 0xfffd
	s_delay_alu instid0(VALU_DEP_3)
	v_add_co_ci_u32_e64 v18, null, s9, v18, vcc_lo
	global_load_b32 v6, v[17:18], off
	s_clause 0x3
	global_load_b128 v[17:20], v[7:8], off offset:48
	global_load_b128 v[21:24], v[7:8], off offset:32
	global_load_b128 v[25:28], v[7:8], off offset:16
	global_load_b128 v[29:32], v[7:8], off
	s_wait_loadcnt 0x4
	v_subrev_nc_u32_e32 v6, s16, v6
	s_delay_alu instid0(VALU_DEP_1) | instskip(NEXT) | instid1(VALU_DEP_1)
	v_lshlrev_b32_e32 v33, 2, v6
	v_ashrrev_i32_e32 v34, 31, v33
	s_delay_alu instid0(VALU_DEP_1) | instskip(SKIP_1) | instid1(VALU_DEP_1)
	v_lshlrev_b64_e32 v[33:34], 2, v[33:34]
	s_wait_kmcnt 0x0
	v_add_co_u32 v33, vcc_lo, s4, v33
	s_wait_alu 0xfffd
	s_delay_alu instid0(VALU_DEP_2)
	v_add_co_ci_u32_e64 v34, null, s5, v34, vcc_lo
	v_add_co_u32 v7, vcc_lo, 0x1000, v7
	s_wait_alu 0xfffd
	v_add_co_ci_u32_e64 v8, null, 0, v8, vcc_lo
	global_load_b128 v[33:36], v[33:34], off
	s_wait_loadcnt 0x0
	v_fmac_f32_e32 v12, v21, v33
	v_fmac_f32_e32 v11, v29, v33
	;; [unrolled: 1-line block ×3, first 2 shown]
	s_delay_alu instid0(VALU_DEP_3) | instskip(NEXT) | instid1(VALU_DEP_3)
	v_dual_fmac_f32 v13, v25, v33 :: v_dual_fmac_f32 v12, v22, v34
	v_fmac_f32_e32 v11, v30, v34
	s_delay_alu instid0(VALU_DEP_3) | instskip(NEXT) | instid1(VALU_DEP_3)
	v_fmac_f32_e32 v10, v18, v34
	v_dual_fmac_f32 v13, v26, v34 :: v_dual_fmac_f32 v12, v23, v35
	s_delay_alu instid0(VALU_DEP_3) | instskip(NEXT) | instid1(VALU_DEP_3)
	v_fmac_f32_e32 v11, v31, v35
	v_fmac_f32_e32 v10, v19, v35
	s_delay_alu instid0(VALU_DEP_3) | instskip(NEXT) | instid1(VALU_DEP_3)
	v_dual_fmac_f32 v13, v27, v35 :: v_dual_fmac_f32 v12, v24, v36
	v_fmac_f32_e32 v11, v32, v36
	s_delay_alu instid0(VALU_DEP_3) | instskip(NEXT) | instid1(VALU_DEP_3)
	v_fmac_f32_e32 v10, v20, v36
	v_fmac_f32_e32 v13, v28, v36
	s_wait_alu 0xfffe
	s_and_not1_b32 exec_lo, exec_lo, s7
	s_cbranch_execnz .LBB4_17
; %bb.18:
	s_or_b32 exec_lo, exec_lo, s7
.LBB4_19:
	s_wait_alu 0xfffe
	s_or_b32 exec_lo, exec_lo, s6
	s_delay_alu instid0(SALU_CYCLE_1)
	s_mov_b32 s6, exec_lo
	v_cmpx_lt_u32_e32 0xbf, v1
	s_cbranch_execz .LBB4_23
; %bb.20:
	s_mov_b32 s7, 0
.LBB4_21:                               ; =>This Inner Loop Header: Depth=1
	v_ashrrev_i32_e32 v6, 31, v5
	s_delay_alu instid0(VALU_DEP_1) | instskip(SKIP_1) | instid1(VALU_DEP_2)
	v_lshlrev_b64_e32 v[16:17], 2, v[5:6]
	v_add_nc_u32_e32 v5, 0x100, v5
	v_add_co_u32 v16, vcc_lo, s8, v16
	s_wait_alu 0xfffd
	s_delay_alu instid0(VALU_DEP_3)
	v_add_co_ci_u32_e64 v17, null, s9, v17, vcc_lo
	s_clause 0x3
	global_load_b32 v1, v[16:17], off
	global_load_b32 v6, v[16:17], off offset:256
	global_load_b32 v80, v[16:17], off offset:512
	;; [unrolled: 1-line block ×3, first 2 shown]
	s_clause 0xf
	global_load_b128 v[16:19], v[7:8], off offset:48
	global_load_b128 v[20:23], v[7:8], off offset:32
	;; [unrolled: 1-line block ×3, first 2 shown]
	global_load_b128 v[28:31], v[7:8], off
	global_load_b128 v[32:35], v[7:8], off offset:4144
	global_load_b128 v[36:39], v[7:8], off offset:4128
	;; [unrolled: 1-line block ×12, first 2 shown]
	s_wait_loadcnt 0x13
	v_subrev_nc_u32_e32 v1, s16, v1
	s_wait_loadcnt 0x12
	v_subrev_nc_u32_e32 v6, s16, v6
	s_wait_loadcnt 0x11
	v_subrev_nc_u32_e32 v82, s16, v80
	s_wait_loadcnt 0x10
	v_subrev_nc_u32_e32 v81, s16, v81
	v_lshlrev_b32_e32 v80, 2, v1
	s_delay_alu instid0(VALU_DEP_3) | instskip(NEXT) | instid1(VALU_DEP_3)
	v_lshlrev_b32_e32 v88, 2, v82
	v_lshlrev_b32_e32 v92, 2, v81
	s_delay_alu instid0(VALU_DEP_3) | instskip(NEXT) | instid1(VALU_DEP_1)
	v_ashrrev_i32_e32 v81, 31, v80
	v_lshlrev_b64_e32 v[80:81], 2, v[80:81]
	s_wait_kmcnt 0x0
	s_delay_alu instid0(VALU_DEP_1) | instskip(SKIP_1) | instid1(VALU_DEP_2)
	v_add_co_u32 v80, vcc_lo, s4, v80
	s_wait_alu 0xfffd
	v_add_co_ci_u32_e64 v81, null, s5, v81, vcc_lo
	global_load_b128 v[80:83], v[80:81], off
	v_lshlrev_b32_e32 v84, 2, v6
	s_delay_alu instid0(VALU_DEP_1) | instskip(NEXT) | instid1(VALU_DEP_1)
	v_ashrrev_i32_e32 v85, 31, v84
	v_lshlrev_b64_e32 v[84:85], 2, v[84:85]
	s_delay_alu instid0(VALU_DEP_1) | instskip(SKIP_1) | instid1(VALU_DEP_2)
	v_add_co_u32 v84, vcc_lo, s4, v84
	s_wait_alu 0xfffd
	v_add_co_ci_u32_e64 v85, null, s5, v85, vcc_lo
	global_load_b128 v[84:87], v[84:85], off
	s_wait_loadcnt 0x1
	v_fmac_f32_e32 v13, v24, v80
	v_ashrrev_i32_e32 v89, 31, v88
	v_fmac_f32_e32 v10, v16, v80
	v_fmac_f32_e32 v11, v28, v80
	s_delay_alu instid0(VALU_DEP_4) | instskip(NEXT) | instid1(VALU_DEP_4)
	v_dual_fmac_f32 v12, v20, v80 :: v_dual_fmac_f32 v13, v25, v81
	v_lshlrev_b64_e32 v[88:89], 2, v[88:89]
	s_delay_alu instid0(VALU_DEP_3) | instskip(NEXT) | instid1(VALU_DEP_3)
	v_fmac_f32_e32 v11, v29, v81
	v_fmac_f32_e32 v13, v26, v82
	v_ashrrev_i32_e32 v93, 31, v92
	s_delay_alu instid0(VALU_DEP_4) | instskip(SKIP_2) | instid1(VALU_DEP_3)
	v_add_co_u32 v88, vcc_lo, s4, v88
	s_wait_alu 0xfffd
	v_add_co_ci_u32_e64 v89, null, s5, v89, vcc_lo
	v_lshlrev_b64_e32 v[92:93], 2, v[92:93]
	v_dual_fmac_f32 v10, v17, v81 :: v_dual_fmac_f32 v13, v27, v83
	global_load_b128 v[88:91], v[88:89], off
	v_dual_fmac_f32 v11, v30, v82 :: v_dual_fmac_f32 v12, v21, v81
	v_add_co_u32 v92, vcc_lo, s4, v92
	s_wait_alu 0xfffd
	v_add_co_ci_u32_e64 v93, null, s5, v93, vcc_lo
	s_wait_loadcnt 0x1
	v_dual_fmac_f32 v10, v18, v82 :: v_dual_fmac_f32 v13, v40, v84
	v_fmac_f32_e32 v11, v31, v83
	global_load_b128 v[92:95], v[92:93], off
	v_fmac_f32_e32 v12, v22, v82
	v_dual_fmac_f32 v10, v19, v83 :: v_dual_fmac_f32 v13, v41, v85
	v_fmac_f32_e32 v11, v44, v84
	v_add_co_u32 v7, vcc_lo, 0x4000, v7
	s_delay_alu instid0(VALU_DEP_4) | instskip(NEXT) | instid1(VALU_DEP_4)
	v_fmac_f32_e32 v12, v23, v83
	v_dual_fmac_f32 v10, v32, v84 :: v_dual_fmac_f32 v13, v42, v86
	s_delay_alu instid0(VALU_DEP_4)
	v_fmac_f32_e32 v11, v45, v85
	s_wait_alu 0xfffd
	v_add_co_ci_u32_e64 v8, null, 0, v8, vcc_lo
	v_fmac_f32_e32 v12, v36, v84
	v_dual_fmac_f32 v10, v33, v85 :: v_dual_fmac_f32 v13, v43, v87
	v_fmac_f32_e32 v11, v46, v86
	v_cmp_ge_i32_e32 vcc_lo, v5, v14
	s_delay_alu instid0(VALU_DEP_4) | instskip(NEXT) | instid1(VALU_DEP_3)
	v_fmac_f32_e32 v12, v37, v85
	v_dual_fmac_f32 v10, v34, v86 :: v_dual_fmac_f32 v11, v47, v87
	s_wait_alu 0xfffe
	s_or_b32 s7, vcc_lo, s7
	s_wait_loadcnt 0x1
	s_delay_alu instid0(VALU_DEP_1) | instskip(NEXT) | instid1(VALU_DEP_1)
	v_dual_fmac_f32 v12, v38, v86 :: v_dual_fmac_f32 v11, v60, v88
	v_dual_fmac_f32 v12, v39, v87 :: v_dual_fmac_f32 v13, v56, v88
	s_delay_alu instid0(VALU_DEP_2) | instskip(NEXT) | instid1(VALU_DEP_2)
	v_dual_fmac_f32 v10, v35, v87 :: v_dual_fmac_f32 v11, v61, v89
	v_dual_fmac_f32 v12, v52, v88 :: v_dual_fmac_f32 v13, v57, v89
	s_delay_alu instid0(VALU_DEP_2) | instskip(NEXT) | instid1(VALU_DEP_2)
	;; [unrolled: 3-line block ×3, first 2 shown]
	v_dual_fmac_f32 v10, v49, v89 :: v_dual_fmac_f32 v11, v63, v91
	v_dual_fmac_f32 v12, v54, v90 :: v_dual_fmac_f32 v13, v59, v91
	s_wait_loadcnt 0x0
	s_delay_alu instid0(VALU_DEP_2) | instskip(NEXT) | instid1(VALU_DEP_2)
	v_dual_fmac_f32 v10, v50, v90 :: v_dual_fmac_f32 v11, v76, v92
	v_dual_fmac_f32 v12, v55, v91 :: v_dual_fmac_f32 v13, v72, v92
	s_delay_alu instid0(VALU_DEP_2) | instskip(NEXT) | instid1(VALU_DEP_2)
	v_dual_fmac_f32 v10, v51, v91 :: v_dual_fmac_f32 v11, v77, v93
	v_dual_fmac_f32 v12, v68, v92 :: v_dual_fmac_f32 v13, v73, v93
	;; [unrolled: 3-line block ×4, first 2 shown]
	s_delay_alu instid0(VALU_DEP_2) | instskip(NEXT) | instid1(VALU_DEP_2)
	v_fmac_f32_e32 v10, v66, v94
	v_fmac_f32_e32 v12, v71, v95
	s_delay_alu instid0(VALU_DEP_2)
	v_fmac_f32_e32 v10, v67, v95
	s_wait_alu 0xfffe
	s_and_not1_b32 exec_lo, exec_lo, s7
	s_cbranch_execnz .LBB4_21
; %bb.22:
	s_or_b32 exec_lo, exec_lo, s7
.LBB4_23:
	s_wait_alu 0xfffe
	s_or_b32 exec_lo, exec_lo, s6
.LBB4_24:
	s_wait_alu 0xfffe
	s_or_b32 exec_lo, exec_lo, s3
	s_cbranch_execz .LBB4_26
	s_branch .LBB4_37
.LBB4_25:
                                        ; implicit-def: $vgpr10
                                        ; implicit-def: $vgpr12
                                        ; implicit-def: $vgpr13
                                        ; implicit-def: $vgpr11
.LBB4_26:
	v_dual_mov_b32 v10, 0 :: v_dual_mov_b32 v13, 0
	v_dual_mov_b32 v12, 0 :: v_dual_mov_b32 v11, 0
	s_and_saveexec_b32 s3, s2
	s_cbranch_execz .LBB4_36
; %bb.27:
	v_dual_mov_b32 v12, 0 :: v_dual_add_nc_u32 v1, v15, v9
	v_not_b32_e32 v5, v15
	v_mov_b32_e32 v11, 0
	v_mov_b32_e32 v13, 0
	s_delay_alu instid0(VALU_DEP_4) | instskip(SKIP_1) | instid1(VALU_DEP_1)
	v_subrev_nc_u32_e32 v1, s16, v1
	s_mov_b32 s2, exec_lo
	v_dual_mov_b32 v10, 0 :: v_dual_add_nc_u32 v1, 64, v1
	s_delay_alu instid0(VALU_DEP_1) | instskip(NEXT) | instid1(VALU_DEP_1)
	v_max_i32_e32 v1, v1, v14
	v_add3_u32 v1, s16, v1, v5
	s_delay_alu instid0(VALU_DEP_1) | instskip(NEXT) | instid1(VALU_DEP_1)
	v_sub_nc_u32_e32 v5, v1, v9
	v_and_b32_e32 v1, 0xc0, v5
	s_delay_alu instid0(VALU_DEP_1)
	v_cmpx_ne_u32_e32 0xc0, v1
	s_cbranch_execz .LBB4_31
; %bb.28:
	v_lshrrev_b32_e32 v1, 6, v5
	v_mov_b32_e32 v13, 0
	v_mov_b32_e32 v11, 0
	s_mov_b32 s6, 0
	s_delay_alu instid0(VALU_DEP_3) | instskip(NEXT) | instid1(VALU_DEP_1)
	v_dual_mov_b32 v10, 0 :: v_dual_add_nc_u32 v1, 1, v1
	v_dual_mov_b32 v12, 0 :: v_dual_and_b32 v1, 3, v1
	s_delay_alu instid0(VALU_DEP_1)
	v_sub_nc_u32_e32 v6, 0, v1
.LBB4_29:                               ; =>This Inner Loop Header: Depth=1
	v_ashrrev_i32_e32 v1, 31, v0
	s_delay_alu instid0(VALU_DEP_2) | instskip(SKIP_2) | instid1(VALU_DEP_2)
	v_add_co_u32 v6, s7, v6, 1
	s_wait_alu 0xfffe
	s_or_b32 s6, s7, s6
	v_lshlrev_b64_e32 v[7:8], 2, v[0:1]
	v_add_nc_u32_e32 v0, 64, v0
	s_delay_alu instid0(VALU_DEP_2) | instskip(SKIP_1) | instid1(VALU_DEP_3)
	v_add_co_u32 v7, vcc_lo, s8, v7
	s_wait_alu 0xfffd
	v_add_co_ci_u32_e64 v8, null, s9, v8, vcc_lo
	global_load_b32 v1, v[7:8], off
	s_clause 0x1
	global_load_b128 v[15:18], v[2:3], off offset:16
	global_load_b128 v[19:22], v[2:3], off
	s_wait_loadcnt 0x2
	v_subrev_nc_u32_e32 v1, s16, v1
	s_delay_alu instid0(VALU_DEP_1) | instskip(NEXT) | instid1(VALU_DEP_1)
	v_lshlrev_b32_e32 v7, 2, v1
	v_ashrrev_i32_e32 v8, 31, v7
	s_delay_alu instid0(VALU_DEP_1) | instskip(SKIP_1) | instid1(VALU_DEP_1)
	v_lshlrev_b64_e32 v[7:8], 2, v[7:8]
	s_wait_kmcnt 0x0
	v_add_co_u32 v7, vcc_lo, s4, v7
	s_wait_alu 0xfffd
	s_delay_alu instid0(VALU_DEP_2)
	v_add_co_ci_u32_e64 v8, null, s5, v8, vcc_lo
	global_load_b128 v[23:26], v[7:8], off
	s_clause 0x1
	global_load_b128 v[27:30], v[2:3], off offset:32
	global_load_b128 v[31:34], v[2:3], off offset:48
	v_add_co_u32 v2, vcc_lo, 0x1000, v2
	s_wait_alu 0xfffd
	v_add_co_ci_u32_e64 v3, null, 0, v3, vcc_lo
	s_wait_loadcnt 0x2
	v_fmac_f32_e32 v12, v21, v23
	s_delay_alu instid0(VALU_DEP_1) | instskip(NEXT) | instid1(VALU_DEP_1)
	v_dual_fmac_f32 v11, v19, v23 :: v_dual_fmac_f32 v12, v17, v24
	v_dual_fmac_f32 v10, v22, v23 :: v_dual_fmac_f32 v11, v15, v24
	s_wait_loadcnt 0x1
	s_delay_alu instid0(VALU_DEP_2) | instskip(NEXT) | instid1(VALU_DEP_2)
	v_dual_fmac_f32 v13, v20, v23 :: v_dual_fmac_f32 v12, v29, v25
	v_dual_fmac_f32 v10, v18, v24 :: v_dual_fmac_f32 v11, v27, v25
	s_wait_loadcnt 0x0
	s_delay_alu instid0(VALU_DEP_2) | instskip(NEXT) | instid1(VALU_DEP_2)
	v_dual_fmac_f32 v13, v16, v24 :: v_dual_fmac_f32 v12, v33, v26
	v_dual_fmac_f32 v10, v30, v25 :: v_dual_fmac_f32 v11, v31, v26
	s_delay_alu instid0(VALU_DEP_1) | instskip(NEXT) | instid1(VALU_DEP_1)
	v_dual_fmac_f32 v13, v28, v25 :: v_dual_fmac_f32 v10, v34, v26
	v_fmac_f32_e32 v13, v32, v26
	s_wait_alu 0xfffe
	s_and_not1_b32 exec_lo, exec_lo, s6
	s_cbranch_execnz .LBB4_29
; %bb.30:
	s_or_b32 exec_lo, exec_lo, s6
.LBB4_31:
	s_wait_alu 0xfffe
	s_or_b32 exec_lo, exec_lo, s2
	s_delay_alu instid0(SALU_CYCLE_1)
	s_mov_b32 s2, exec_lo
	v_cmpx_lt_u32_e32 0xbf, v5
	s_cbranch_execz .LBB4_35
; %bb.32:
	s_mov_b32 s6, 0
.LBB4_33:                               ; =>This Inner Loop Header: Depth=1
	v_ashrrev_i32_e32 v1, 31, v0
	s_delay_alu instid0(VALU_DEP_1) | instskip(SKIP_1) | instid1(VALU_DEP_2)
	v_lshlrev_b64_e32 v[5:6], 2, v[0:1]
	v_add_nc_u32_e32 v0, 0x100, v0
	v_add_co_u32 v5, vcc_lo, s8, v5
	s_wait_alu 0xfffd
	s_delay_alu instid0(VALU_DEP_3)
	v_add_co_ci_u32_e64 v6, null, s9, v6, vcc_lo
	s_clause 0x3
	global_load_b32 v1, v[5:6], off
	global_load_b32 v67, v[5:6], off offset:256
	global_load_b32 v68, v[5:6], off offset:512
	;; [unrolled: 1-line block ×3, first 2 shown]
	s_clause 0xd
	global_load_b128 v[5:8], v[2:3], off offset:48
	global_load_b128 v[15:18], v[2:3], off offset:32
	;; [unrolled: 1-line block ×3, first 2 shown]
	global_load_b128 v[23:26], v[2:3], off
	global_load_b128 v[27:30], v[2:3], off offset:4144
	global_load_b128 v[31:34], v[2:3], off offset:4128
	;; [unrolled: 1-line block ×10, first 2 shown]
	s_wait_loadcnt 0x11
	v_subrev_nc_u32_e32 v1, s16, v1
	s_wait_loadcnt 0x10
	v_subrev_nc_u32_e32 v70, s16, v67
	;; [unrolled: 2-line block ×4, first 2 shown]
	v_lshlrev_b32_e32 v67, 2, v1
	v_lshlrev_b32_e32 v71, 2, v70
	;; [unrolled: 1-line block ×3, first 2 shown]
	s_delay_alu instid0(VALU_DEP_4) | instskip(NEXT) | instid1(VALU_DEP_4)
	v_lshlrev_b32_e32 v79, 2, v69
	v_ashrrev_i32_e32 v68, 31, v67
	s_delay_alu instid0(VALU_DEP_4) | instskip(NEXT) | instid1(VALU_DEP_2)
	v_ashrrev_i32_e32 v72, 31, v71
	v_lshlrev_b64_e32 v[67:68], 2, v[67:68]
	s_delay_alu instid0(VALU_DEP_2) | instskip(SKIP_1) | instid1(VALU_DEP_2)
	v_lshlrev_b64_e32 v[71:72], 2, v[71:72]
	s_wait_kmcnt 0x0
	v_add_co_u32 v67, vcc_lo, s4, v67
	s_wait_alu 0xfffd
	s_delay_alu instid0(VALU_DEP_3) | instskip(NEXT) | instid1(VALU_DEP_3)
	v_add_co_ci_u32_e64 v68, null, s5, v68, vcc_lo
	v_add_co_u32 v71, vcc_lo, s4, v71
	s_wait_alu 0xfffd
	v_add_co_ci_u32_e64 v72, null, s5, v72, vcc_lo
	s_clause 0x1
	global_load_b128 v[67:70], v[67:68], off
	global_load_b128 v[71:74], v[71:72], off
	s_wait_loadcnt 0x1
	v_fmac_f32_e32 v10, v26, v67
	v_ashrrev_i32_e32 v76, 31, v75
	v_fmac_f32_e32 v12, v25, v67
	s_delay_alu instid0(VALU_DEP_3) | instskip(NEXT) | instid1(VALU_DEP_3)
	v_fmac_f32_e32 v10, v22, v68
	v_lshlrev_b64_e32 v[75:76], 2, v[75:76]
	v_ashrrev_i32_e32 v80, 31, v79
	s_delay_alu instid0(VALU_DEP_4) | instskip(NEXT) | instid1(VALU_DEP_4)
	v_dual_fmac_f32 v13, v24, v67 :: v_dual_fmac_f32 v12, v21, v68
	v_dual_fmac_f32 v11, v23, v67 :: v_dual_fmac_f32 v10, v18, v69
	s_delay_alu instid0(VALU_DEP_4)
	v_add_co_u32 v75, vcc_lo, s4, v75
	s_wait_alu 0xfffd
	v_add_co_ci_u32_e64 v76, null, s5, v76, vcc_lo
	v_lshlrev_b64_e32 v[79:80], 2, v[79:80]
	v_dual_fmac_f32 v12, v17, v69 :: v_dual_fmac_f32 v11, v19, v68
	v_fmac_f32_e32 v10, v8, v70
	global_load_b128 v[75:78], v[75:76], off
	v_dual_fmac_f32 v13, v20, v68 :: v_dual_fmac_f32 v12, v7, v70
	v_add_co_u32 v79, vcc_lo, s4, v79
	s_wait_alu 0xfffd
	v_add_co_ci_u32_e64 v80, null, s5, v80, vcc_lo
	global_load_b128 v[79:82], v[79:80], off
	s_clause 0x1
	global_load_b128 v[83:86], v[2:3], off offset:12320
	global_load_b128 v[87:90], v[2:3], off offset:12336
	s_wait_loadcnt 0x4
	v_dual_fmac_f32 v11, v15, v69 :: v_dual_fmac_f32 v12, v41, v71
	v_dual_fmac_f32 v13, v16, v69 :: v_dual_fmac_f32 v10, v42, v71
	v_add_co_u32 v2, vcc_lo, 0x4000, v2
	s_delay_alu instid0(VALU_DEP_3) | instskip(NEXT) | instid1(VALU_DEP_3)
	v_fmac_f32_e32 v11, v5, v70
	v_dual_fmac_f32 v13, v6, v70 :: v_dual_fmac_f32 v12, v37, v72
	s_delay_alu instid0(VALU_DEP_4) | instskip(SKIP_2) | instid1(VALU_DEP_3)
	v_fmac_f32_e32 v10, v38, v72
	s_wait_alu 0xfffd
	v_add_co_ci_u32_e64 v3, null, 0, v3, vcc_lo
	v_dual_fmac_f32 v11, v39, v71 :: v_dual_fmac_f32 v12, v33, v73
	s_delay_alu instid0(VALU_DEP_3) | instskip(SKIP_1) | instid1(VALU_DEP_3)
	v_dual_fmac_f32 v13, v40, v71 :: v_dual_fmac_f32 v10, v34, v73
	v_cmp_ge_i32_e32 vcc_lo, v0, v14
	v_dual_fmac_f32 v11, v35, v72 :: v_dual_fmac_f32 v12, v29, v74
	s_delay_alu instid0(VALU_DEP_3) | instskip(SKIP_2) | instid1(VALU_DEP_2)
	v_dual_fmac_f32 v13, v36, v72 :: v_dual_fmac_f32 v10, v30, v74
	s_wait_alu 0xfffe
	s_or_b32 s6, vcc_lo, s6
	v_fmac_f32_e32 v11, v31, v73
	s_wait_loadcnt 0x3
	v_dual_fmac_f32 v13, v32, v73 :: v_dual_fmac_f32 v10, v58, v75
	s_delay_alu instid0(VALU_DEP_1) | instskip(NEXT) | instid1(VALU_DEP_2)
	v_dual_fmac_f32 v13, v28, v74 :: v_dual_fmac_f32 v12, v57, v75
	v_dual_fmac_f32 v11, v27, v74 :: v_dual_fmac_f32 v10, v54, v76
	s_delay_alu instid0(VALU_DEP_2) | instskip(NEXT) | instid1(VALU_DEP_2)
	v_dual_fmac_f32 v13, v56, v75 :: v_dual_fmac_f32 v12, v53, v76
	v_dual_fmac_f32 v11, v55, v75 :: v_dual_fmac_f32 v10, v50, v77
	s_delay_alu instid0(VALU_DEP_2) | instskip(NEXT) | instid1(VALU_DEP_2)
	v_dual_fmac_f32 v13, v52, v76 :: v_dual_fmac_f32 v12, v49, v77
	v_dual_fmac_f32 v11, v51, v76 :: v_dual_fmac_f32 v10, v46, v78
	s_delay_alu instid0(VALU_DEP_2) | instskip(SKIP_1) | instid1(VALU_DEP_2)
	v_dual_fmac_f32 v13, v48, v77 :: v_dual_fmac_f32 v12, v45, v78
	s_wait_loadcnt 0x2
	v_dual_fmac_f32 v11, v47, v77 :: v_dual_fmac_f32 v10, v66, v79
	s_delay_alu instid0(VALU_DEP_2) | instskip(NEXT) | instid1(VALU_DEP_2)
	v_dual_fmac_f32 v13, v44, v78 :: v_dual_fmac_f32 v12, v65, v79
	v_dual_fmac_f32 v11, v43, v78 :: v_dual_fmac_f32 v10, v62, v80
	s_delay_alu instid0(VALU_DEP_1) | instskip(SKIP_1) | instid1(VALU_DEP_2)
	v_dual_fmac_f32 v12, v61, v80 :: v_dual_fmac_f32 v11, v63, v79
	s_wait_loadcnt 0x1
	v_dual_fmac_f32 v13, v64, v79 :: v_dual_fmac_f32 v10, v86, v81
	s_delay_alu instid0(VALU_DEP_2) | instskip(SKIP_1) | instid1(VALU_DEP_2)
	v_dual_fmac_f32 v12, v85, v81 :: v_dual_fmac_f32 v11, v59, v80
	s_wait_loadcnt 0x0
	v_dual_fmac_f32 v13, v60, v80 :: v_dual_fmac_f32 v10, v90, v82
	s_delay_alu instid0(VALU_DEP_2) | instskip(NEXT) | instid1(VALU_DEP_2)
	v_dual_fmac_f32 v12, v89, v82 :: v_dual_fmac_f32 v11, v83, v81
	v_fmac_f32_e32 v13, v84, v81
	s_delay_alu instid0(VALU_DEP_2) | instskip(NEXT) | instid1(VALU_DEP_2)
	v_fmac_f32_e32 v11, v87, v82
	v_fmac_f32_e32 v13, v88, v82
	s_wait_alu 0xfffe
	s_and_not1_b32 exec_lo, exec_lo, s6
	s_cbranch_execnz .LBB4_33
; %bb.34:
	s_or_b32 exec_lo, exec_lo, s6
.LBB4_35:
	s_wait_alu 0xfffe
	s_or_b32 exec_lo, exec_lo, s2
.LBB4_36:
	s_wait_alu 0xfffe
	s_or_b32 exec_lo, exec_lo, s3
.LBB4_37:
	v_mbcnt_lo_u32_b32 v0, -1, 0
	s_mov_b32 s2, -1
	s_delay_alu instid0(VALU_DEP_1) | instskip(SKIP_1) | instid1(VALU_DEP_2)
	v_or_b32_e32 v1, 32, v0
	v_xor_b32_e32 v6, 16, v0
	v_cmp_gt_i32_e32 vcc_lo, 32, v1
	s_wait_alu 0xfffd
	v_cndmask_b32_e32 v1, v0, v1, vcc_lo
	s_delay_alu instid0(VALU_DEP_3) | instskip(SKIP_2) | instid1(VALU_DEP_1)
	v_cmp_gt_i32_e32 vcc_lo, 32, v6
	s_wait_alu 0xfffd
	v_cndmask_b32_e32 v6, v0, v6, vcc_lo
	v_lshlrev_b32_e32 v6, 2, v6
	v_lshlrev_b32_e32 v1, 2, v1
	ds_bpermute_b32 v2, v1, v11
	s_wait_dscnt 0x0
	v_add_f32_e32 v2, v11, v2
	ds_bpermute_b32 v3, v1, v13
	ds_bpermute_b32 v5, v1, v12
	;; [unrolled: 1-line block ×3, first 2 shown]
	v_xor_b32_e32 v11, 8, v0
	ds_bpermute_b32 v7, v6, v2
	v_cmp_gt_i32_e32 vcc_lo, 32, v11
	s_wait_dscnt 0x3
	v_add_f32_e32 v3, v13, v3
	s_wait_dscnt 0x2
	v_add_f32_e32 v5, v12, v5
	;; [unrolled: 2-line block ×4, first 2 shown]
	ds_bpermute_b32 v8, v6, v3
	ds_bpermute_b32 v10, v6, v5
	;; [unrolled: 1-line block ×3, first 2 shown]
	s_wait_alu 0xfffd
	v_cndmask_b32_e32 v11, v0, v11, vcc_lo
	s_delay_alu instid0(VALU_DEP_1)
	v_lshlrev_b32_e32 v11, 2, v11
	s_wait_dscnt 0x1
	v_add_f32_e32 v5, v5, v10
	s_wait_dscnt 0x0
	v_add_f32_e32 v1, v1, v6
	ds_bpermute_b32 v6, v11, v2
	ds_bpermute_b32 v10, v11, v1
	s_wait_dscnt 0x1
	v_add_f32_e32 v2, v2, v6
	s_wait_dscnt 0x0
	v_add_f32_e32 v1, v1, v10
	v_add_f32_e32 v3, v3, v8
	ds_bpermute_b32 v8, v11, v5
	ds_bpermute_b32 v7, v11, v3
	v_xor_b32_e32 v11, 4, v0
	s_delay_alu instid0(VALU_DEP_1) | instskip(SKIP_2) | instid1(VALU_DEP_1)
	v_cmp_gt_i32_e32 vcc_lo, 32, v11
	s_wait_alu 0xfffd
	v_cndmask_b32_e32 v11, v0, v11, vcc_lo
	v_lshlrev_b32_e32 v11, 2, v11
	s_wait_dscnt 0x1
	v_add_f32_e32 v5, v5, v8
	ds_bpermute_b32 v6, v11, v2
	ds_bpermute_b32 v10, v11, v1
	;; [unrolled: 1-line block ×3, first 2 shown]
	s_wait_dscnt 0x2
	v_add_f32_e32 v2, v2, v6
	s_wait_dscnt 0x1
	v_dual_add_f32 v6, v1, v10 :: v_dual_add_f32 v3, v3, v7
	s_wait_dscnt 0x0
	v_add_f32_e32 v5, v5, v8
	ds_bpermute_b32 v7, v11, v3
	v_xor_b32_e32 v11, 2, v0
	s_delay_alu instid0(VALU_DEP_1) | instskip(SKIP_2) | instid1(VALU_DEP_1)
	v_cmp_gt_i32_e32 vcc_lo, 32, v11
	s_wait_alu 0xfffd
	v_cndmask_b32_e32 v11, v0, v11, vcc_lo
	v_lshlrev_b32_e32 v11, 2, v11
	s_wait_dscnt 0x0
	v_add_f32_e32 v3, v3, v7
	ds_bpermute_b32 v1, v11, v2
	ds_bpermute_b32 v8, v11, v5
	;; [unrolled: 1-line block ×4, first 2 shown]
	v_xor_b32_e32 v11, 1, v0
	s_delay_alu instid0(VALU_DEP_1) | instskip(SKIP_4) | instid1(VALU_DEP_2)
	v_cmp_gt_i32_e32 vcc_lo, 32, v11
	s_wait_alu 0xfffd
	v_cndmask_b32_e32 v0, v0, v11, vcc_lo
	v_cmp_eq_u32_e32 vcc_lo, 63, v9
	s_wait_dscnt 0x3
	v_dual_add_f32 v0, v2, v1 :: v_dual_lshlrev_b32 v11, 2, v0
	s_wait_dscnt 0x0
	v_dual_add_f32 v2, v5, v8 :: v_dual_add_f32 v1, v3, v7
	v_add_f32_e32 v3, v6, v10
	ds_bpermute_b32 v5, v11, v0
	ds_bpermute_b32 v7, v11, v2
	;; [unrolled: 1-line block ×4, first 2 shown]
	s_and_b32 exec_lo, exec_lo, vcc_lo
	s_cbranch_execz .LBB4_10
; %bb.38:
	s_load_b64 s[0:1], s[0:1], 0x50
	s_wait_dscnt 0x1
	v_dual_add_f32 v0, v0, v5 :: v_dual_add_f32 v1, v1, v6
	s_wait_dscnt 0x0
	v_dual_add_f32 v2, v2, v7 :: v_dual_add_f32 v3, v3, v8
	v_lshlrev_b32_e32 v4, 2, v4
	s_delay_alu instid0(VALU_DEP_3) | instskip(NEXT) | instid1(VALU_DEP_3)
	v_dual_mul_f32 v0, s14, v0 :: v_dual_mul_f32 v1, s14, v1
	v_dual_mul_f32 v2, s14, v2 :: v_dual_mul_f32 v3, s14, v3
	s_cmp_eq_f32 s12, 0
	s_cbranch_scc0 .LBB4_40
; %bb.39:
	v_ashrrev_i32_e32 v5, 31, v4
	s_mov_b32 s2, 0
	s_delay_alu instid0(VALU_DEP_1) | instskip(SKIP_1) | instid1(VALU_DEP_1)
	v_lshlrev_b64_e32 v[5:6], 2, v[4:5]
	s_wait_kmcnt 0x0
	v_add_co_u32 v5, vcc_lo, s0, v5
	s_wait_alu 0xfffd
	s_delay_alu instid0(VALU_DEP_2)
	v_add_co_ci_u32_e64 v6, null, s1, v6, vcc_lo
	global_store_b128 v[5:6], v[0:3], off
.LBB4_40:
	s_wait_alu 0xfffe
	s_and_not1_b32 vcc_lo, exec_lo, s2
	s_wait_alu 0xfffe
	s_cbranch_vccnz .LBB4_10
; %bb.41:
	v_ashrrev_i32_e32 v5, 31, v4
	s_delay_alu instid0(VALU_DEP_1) | instskip(SKIP_1) | instid1(VALU_DEP_1)
	v_lshlrev_b64_e32 v[4:5], 2, v[4:5]
	s_wait_kmcnt 0x0
	v_add_co_u32 v8, vcc_lo, s0, v4
	s_wait_alu 0xfffd
	s_delay_alu instid0(VALU_DEP_2)
	v_add_co_ci_u32_e64 v9, null, s1, v5, vcc_lo
	global_load_b128 v[4:7], v[8:9], off
	s_wait_loadcnt 0x0
	v_dual_fmac_f32 v0, s12, v4 :: v_dual_fmac_f32 v1, s12, v5
	v_dual_fmac_f32 v2, s12, v6 :: v_dual_fmac_f32 v3, s12, v7
	global_store_b128 v[8:9], v[0:3], off
	s_endpgm
	.section	.rodata,"a",@progbits
	.p2align	6, 0x0
	.amdhsa_kernel _ZN9rocsparseL18bsrxmvn_4x4_kernelILj128ELj64EfiifffEEvT3_20rocsparse_direction_NS_24const_host_device_scalarIT1_EES1_PKS1_PKT2_SA_S7_PKT4_PKT5_S5_PT6_21rocsparse_index_base_b
		.amdhsa_group_segment_fixed_size 0
		.amdhsa_private_segment_fixed_size 0
		.amdhsa_kernarg_size 96
		.amdhsa_user_sgpr_count 2
		.amdhsa_user_sgpr_dispatch_ptr 0
		.amdhsa_user_sgpr_queue_ptr 0
		.amdhsa_user_sgpr_kernarg_segment_ptr 1
		.amdhsa_user_sgpr_dispatch_id 0
		.amdhsa_user_sgpr_private_segment_size 0
		.amdhsa_wavefront_size32 1
		.amdhsa_uses_dynamic_stack 0
		.amdhsa_enable_private_segment 0
		.amdhsa_system_sgpr_workgroup_id_x 1
		.amdhsa_system_sgpr_workgroup_id_y 0
		.amdhsa_system_sgpr_workgroup_id_z 0
		.amdhsa_system_sgpr_workgroup_info 0
		.amdhsa_system_vgpr_workitem_id 0
		.amdhsa_next_free_vgpr 96
		.amdhsa_next_free_sgpr 18
		.amdhsa_reserve_vcc 1
		.amdhsa_float_round_mode_32 0
		.amdhsa_float_round_mode_16_64 0
		.amdhsa_float_denorm_mode_32 3
		.amdhsa_float_denorm_mode_16_64 3
		.amdhsa_fp16_overflow 0
		.amdhsa_workgroup_processor_mode 1
		.amdhsa_memory_ordered 1
		.amdhsa_forward_progress 1
		.amdhsa_inst_pref_size 33
		.amdhsa_round_robin_scheduling 0
		.amdhsa_exception_fp_ieee_invalid_op 0
		.amdhsa_exception_fp_denorm_src 0
		.amdhsa_exception_fp_ieee_div_zero 0
		.amdhsa_exception_fp_ieee_overflow 0
		.amdhsa_exception_fp_ieee_underflow 0
		.amdhsa_exception_fp_ieee_inexact 0
		.amdhsa_exception_int_div_zero 0
	.end_amdhsa_kernel
	.section	.text._ZN9rocsparseL18bsrxmvn_4x4_kernelILj128ELj64EfiifffEEvT3_20rocsparse_direction_NS_24const_host_device_scalarIT1_EES1_PKS1_PKT2_SA_S7_PKT4_PKT5_S5_PT6_21rocsparse_index_base_b,"axG",@progbits,_ZN9rocsparseL18bsrxmvn_4x4_kernelILj128ELj64EfiifffEEvT3_20rocsparse_direction_NS_24const_host_device_scalarIT1_EES1_PKS1_PKT2_SA_S7_PKT4_PKT5_S5_PT6_21rocsparse_index_base_b,comdat
.Lfunc_end4:
	.size	_ZN9rocsparseL18bsrxmvn_4x4_kernelILj128ELj64EfiifffEEvT3_20rocsparse_direction_NS_24const_host_device_scalarIT1_EES1_PKS1_PKT2_SA_S7_PKT4_PKT5_S5_PT6_21rocsparse_index_base_b, .Lfunc_end4-_ZN9rocsparseL18bsrxmvn_4x4_kernelILj128ELj64EfiifffEEvT3_20rocsparse_direction_NS_24const_host_device_scalarIT1_EES1_PKS1_PKT2_SA_S7_PKT4_PKT5_S5_PT6_21rocsparse_index_base_b
                                        ; -- End function
	.set _ZN9rocsparseL18bsrxmvn_4x4_kernelILj128ELj64EfiifffEEvT3_20rocsparse_direction_NS_24const_host_device_scalarIT1_EES1_PKS1_PKT2_SA_S7_PKT4_PKT5_S5_PT6_21rocsparse_index_base_b.num_vgpr, 96
	.set _ZN9rocsparseL18bsrxmvn_4x4_kernelILj128ELj64EfiifffEEvT3_20rocsparse_direction_NS_24const_host_device_scalarIT1_EES1_PKS1_PKT2_SA_S7_PKT4_PKT5_S5_PT6_21rocsparse_index_base_b.num_agpr, 0
	.set _ZN9rocsparseL18bsrxmvn_4x4_kernelILj128ELj64EfiifffEEvT3_20rocsparse_direction_NS_24const_host_device_scalarIT1_EES1_PKS1_PKT2_SA_S7_PKT4_PKT5_S5_PT6_21rocsparse_index_base_b.numbered_sgpr, 18
	.set _ZN9rocsparseL18bsrxmvn_4x4_kernelILj128ELj64EfiifffEEvT3_20rocsparse_direction_NS_24const_host_device_scalarIT1_EES1_PKS1_PKT2_SA_S7_PKT4_PKT5_S5_PT6_21rocsparse_index_base_b.num_named_barrier, 0
	.set _ZN9rocsparseL18bsrxmvn_4x4_kernelILj128ELj64EfiifffEEvT3_20rocsparse_direction_NS_24const_host_device_scalarIT1_EES1_PKS1_PKT2_SA_S7_PKT4_PKT5_S5_PT6_21rocsparse_index_base_b.private_seg_size, 0
	.set _ZN9rocsparseL18bsrxmvn_4x4_kernelILj128ELj64EfiifffEEvT3_20rocsparse_direction_NS_24const_host_device_scalarIT1_EES1_PKS1_PKT2_SA_S7_PKT4_PKT5_S5_PT6_21rocsparse_index_base_b.uses_vcc, 1
	.set _ZN9rocsparseL18bsrxmvn_4x4_kernelILj128ELj64EfiifffEEvT3_20rocsparse_direction_NS_24const_host_device_scalarIT1_EES1_PKS1_PKT2_SA_S7_PKT4_PKT5_S5_PT6_21rocsparse_index_base_b.uses_flat_scratch, 0
	.set _ZN9rocsparseL18bsrxmvn_4x4_kernelILj128ELj64EfiifffEEvT3_20rocsparse_direction_NS_24const_host_device_scalarIT1_EES1_PKS1_PKT2_SA_S7_PKT4_PKT5_S5_PT6_21rocsparse_index_base_b.has_dyn_sized_stack, 0
	.set _ZN9rocsparseL18bsrxmvn_4x4_kernelILj128ELj64EfiifffEEvT3_20rocsparse_direction_NS_24const_host_device_scalarIT1_EES1_PKS1_PKT2_SA_S7_PKT4_PKT5_S5_PT6_21rocsparse_index_base_b.has_recursion, 0
	.set _ZN9rocsparseL18bsrxmvn_4x4_kernelILj128ELj64EfiifffEEvT3_20rocsparse_direction_NS_24const_host_device_scalarIT1_EES1_PKS1_PKT2_SA_S7_PKT4_PKT5_S5_PT6_21rocsparse_index_base_b.has_indirect_call, 0
	.section	.AMDGPU.csdata,"",@progbits
; Kernel info:
; codeLenInByte = 4204
; TotalNumSgprs: 20
; NumVgprs: 96
; ScratchSize: 0
; MemoryBound: 0
; FloatMode: 240
; IeeeMode: 1
; LDSByteSize: 0 bytes/workgroup (compile time only)
; SGPRBlocks: 0
; VGPRBlocks: 11
; NumSGPRsForWavesPerEU: 20
; NumVGPRsForWavesPerEU: 96
; Occupancy: 16
; WaveLimiterHint : 1
; COMPUTE_PGM_RSRC2:SCRATCH_EN: 0
; COMPUTE_PGM_RSRC2:USER_SGPR: 2
; COMPUTE_PGM_RSRC2:TRAP_HANDLER: 0
; COMPUTE_PGM_RSRC2:TGID_X_EN: 1
; COMPUTE_PGM_RSRC2:TGID_Y_EN: 0
; COMPUTE_PGM_RSRC2:TGID_Z_EN: 0
; COMPUTE_PGM_RSRC2:TIDIG_COMP_CNT: 0
	.section	.text._ZN9rocsparseL18bsrxmvn_4x4_kernelILj128ELj4EdiidddEEvT3_20rocsparse_direction_NS_24const_host_device_scalarIT1_EES1_PKS1_PKT2_SA_S7_PKT4_PKT5_S5_PT6_21rocsparse_index_base_b,"axG",@progbits,_ZN9rocsparseL18bsrxmvn_4x4_kernelILj128ELj4EdiidddEEvT3_20rocsparse_direction_NS_24const_host_device_scalarIT1_EES1_PKS1_PKT2_SA_S7_PKT4_PKT5_S5_PT6_21rocsparse_index_base_b,comdat
	.globl	_ZN9rocsparseL18bsrxmvn_4x4_kernelILj128ELj4EdiidddEEvT3_20rocsparse_direction_NS_24const_host_device_scalarIT1_EES1_PKS1_PKT2_SA_S7_PKT4_PKT5_S5_PT6_21rocsparse_index_base_b ; -- Begin function _ZN9rocsparseL18bsrxmvn_4x4_kernelILj128ELj4EdiidddEEvT3_20rocsparse_direction_NS_24const_host_device_scalarIT1_EES1_PKS1_PKT2_SA_S7_PKT4_PKT5_S5_PT6_21rocsparse_index_base_b
	.p2align	8
	.type	_ZN9rocsparseL18bsrxmvn_4x4_kernelILj128ELj4EdiidddEEvT3_20rocsparse_direction_NS_24const_host_device_scalarIT1_EES1_PKS1_PKT2_SA_S7_PKT4_PKT5_S5_PT6_21rocsparse_index_base_b,@function
_ZN9rocsparseL18bsrxmvn_4x4_kernelILj128ELj4EdiidddEEvT3_20rocsparse_direction_NS_24const_host_device_scalarIT1_EES1_PKS1_PKT2_SA_S7_PKT4_PKT5_S5_PT6_21rocsparse_index_base_b: ; @_ZN9rocsparseL18bsrxmvn_4x4_kernelILj128ELj4EdiidddEEvT3_20rocsparse_direction_NS_24const_host_device_scalarIT1_EES1_PKS1_PKT2_SA_S7_PKT4_PKT5_S5_PT6_21rocsparse_index_base_b
; %bb.0:
	s_clause 0x2
	s_load_b64 s[12:13], s[0:1], 0x58
	s_load_b64 s[4:5], s[0:1], 0x8
	s_load_b64 s[2:3], s[0:1], 0x48
	s_wait_kmcnt 0x0
	s_bitcmp1_b32 s13, 0
	v_dual_mov_b32 v2, s4 :: v_dual_mov_b32 v3, s5
	s_cselect_b32 s6, -1, 0
	s_delay_alu instid0(SALU_CYCLE_1)
	s_and_b32 vcc_lo, exec_lo, s6
	s_xor_b32 s6, s6, -1
	s_cbranch_vccnz .LBB5_2
; %bb.1:
	v_dual_mov_b32 v1, s4 :: v_dual_mov_b32 v2, s5
	flat_load_b64 v[2:3], v[1:2]
.LBB5_2:
	v_dual_mov_b32 v9, s3 :: v_dual_mov_b32 v8, s2
	s_and_not1_b32 vcc_lo, exec_lo, s6
	s_cbranch_vccnz .LBB5_4
; %bb.3:
	v_dual_mov_b32 v5, s3 :: v_dual_mov_b32 v4, s2
	flat_load_b64 v[8:9], v[4:5]
.LBB5_4:
	s_wait_loadcnt_dscnt 0x0
	v_cmp_neq_f64_e32 vcc_lo, 0, v[2:3]
	v_cmp_neq_f64_e64 s2, 1.0, v[8:9]
	s_or_b32 s2, vcc_lo, s2
	s_wait_alu 0xfffe
	s_and_saveexec_b32 s3, s2
	s_cbranch_execz .LBB5_10
; %bb.5:
	s_clause 0x1
	s_load_b64 s[4:5], s[0:1], 0x18
	s_load_b64 s[2:3], s[0:1], 0x0
	v_lshrrev_b32_e32 v1, 2, v0
	s_delay_alu instid0(VALU_DEP_1)
	v_lshl_or_b32 v10, ttmp9, 5, v1
	s_wait_kmcnt 0x0
	s_cmp_lg_u64 s[4:5], 0
	s_cbranch_scc0 .LBB5_11
; %bb.6:
	s_load_b32 s6, s[0:1], 0x10
	s_mov_b32 s7, 0
                                        ; implicit-def: $vgpr1
	s_wait_kmcnt 0x0
	v_cmp_gt_i32_e32 vcc_lo, s6, v10
	s_mov_b32 s6, 0
	s_and_saveexec_b32 s8, vcc_lo
	s_delay_alu instid0(SALU_CYCLE_1)
	s_xor_b32 s8, exec_lo, s8
	s_cbranch_execz .LBB5_8
; %bb.7:
	v_ashrrev_i32_e32 v11, 31, v10
	s_mov_b32 s6, exec_lo
	s_delay_alu instid0(VALU_DEP_1) | instskip(NEXT) | instid1(VALU_DEP_1)
	v_lshlrev_b64_e32 v[4:5], 2, v[10:11]
	v_add_co_u32 v4, vcc_lo, s4, v4
	s_delay_alu instid0(VALU_DEP_1)
	v_add_co_ci_u32_e64 v5, null, s5, v5, vcc_lo
	global_load_b32 v1, v[4:5], off
	s_wait_loadcnt 0x0
	v_subrev_nc_u32_e32 v1, s12, v1
.LBB5_8:
	s_or_b32 exec_lo, exec_lo, s8
	s_delay_alu instid0(SALU_CYCLE_1)
	s_and_b32 vcc_lo, exec_lo, s7
	s_wait_alu 0xfffe
	s_cbranch_vccz .LBB5_12
.LBB5_9:
	v_cmp_gt_i32_e32 vcc_lo, s2, v10
	s_and_not1_b32 s2, s6, exec_lo
	s_and_b32 s4, vcc_lo, exec_lo
	s_wait_alu 0xfffe
	s_or_b32 s6, s2, s4
	s_wait_alu 0xfffe
	s_and_b32 exec_lo, exec_lo, s6
	s_cbranch_execnz .LBB5_13
.LBB5_10:
	s_nop 0
	s_sendmsg sendmsg(MSG_DEALLOC_VGPRS)
	s_endpgm
.LBB5_11:
	s_mov_b32 s6, 0
                                        ; implicit-def: $vgpr1
	s_cbranch_execnz .LBB5_9
.LBB5_12:
	v_mov_b32_e32 v10, v1
	s_and_b32 exec_lo, exec_lo, s6
	s_cbranch_execz .LBB5_10
.LBB5_13:
	s_load_b256 s[4:11], s[0:1], 0x20
	s_delay_alu instid0(VALU_DEP_1) | instskip(SKIP_1) | instid1(VALU_DEP_2)
	v_ashrrev_i32_e32 v11, 31, v10
	v_and_b32_e32 v21, 3, v0
	v_lshlrev_b64_e32 v[4:5], 2, v[10:11]
	s_wait_kmcnt 0x0
	s_delay_alu instid0(VALU_DEP_1) | instskip(SKIP_1) | instid1(VALU_DEP_2)
	v_add_co_u32 v6, vcc_lo, s4, v4
	s_wait_alu 0xfffd
	v_add_co_ci_u32_e64 v7, null, s5, v5, vcc_lo
	v_add_co_u32 v1, vcc_lo, s6, v4
	s_wait_alu 0xfffd
	v_add_co_ci_u32_e64 v4, null, s7, v5, vcc_lo
	global_load_b32 v23, v[6:7], off
	v_add_co_u32 v6, vcc_lo, v6, 4
	s_wait_alu 0xfffd
	v_add_co_ci_u32_e64 v5, null, 0, v7, vcc_lo
	s_cmp_eq_u64 s[6:7], 0
	s_load_b64 s[4:5], s[0:1], 0x40
	s_cselect_b32 vcc_lo, -1, 0
	s_cmp_eq_u32 s3, 1
	s_wait_alu 0xfffe
	v_dual_cndmask_b32 v5, v4, v5 :: v_dual_cndmask_b32 v4, v1, v6
	global_load_b32 v6, v[4:5], off
	s_wait_loadcnt 0x1
	v_subrev_nc_u32_e32 v0, s12, v23
	s_delay_alu instid0(VALU_DEP_1) | instskip(NEXT) | instid1(VALU_DEP_1)
	v_add_nc_u32_e32 v0, v0, v21
	v_ashrrev_i32_e32 v1, 31, v0
	s_wait_loadcnt 0x0
	v_subrev_nc_u32_e32 v22, s12, v6
	s_delay_alu instid0(VALU_DEP_2) | instskip(NEXT) | instid1(VALU_DEP_2)
	v_lshlrev_b64_e32 v[4:5], 7, v[0:1]
	v_cmp_lt_i32_e64 s2, v0, v22
	s_delay_alu instid0(VALU_DEP_2) | instskip(SKIP_1) | instid1(VALU_DEP_3)
	v_add_co_u32 v4, vcc_lo, s10, v4
	s_wait_alu 0xfffd
	v_add_co_ci_u32_e64 v5, null, s11, v5, vcc_lo
	s_cbranch_scc1 .LBB5_25
; %bb.14:
	v_dual_mov_b32 v15, 0 :: v_dual_mov_b32 v6, 0
	v_dual_mov_b32 v11, 0 :: v_dual_mov_b32 v16, 0
	v_mov_b32_e32 v13, 0
	v_dual_mov_b32 v7, 0 :: v_dual_mov_b32 v12, 0
	v_mov_b32_e32 v14, 0
	s_and_saveexec_b32 s6, s2
	s_cbranch_execz .LBB5_24
; %bb.15:
	v_add_nc_u32_e32 v1, v23, v21
	v_mov_b32_e32 v13, 0
	v_dual_mov_b32 v14, 0 :: v_dual_mov_b32 v15, 0
	v_not_b32_e32 v6, v23
	s_delay_alu instid0(VALU_DEP_4) | instskip(SKIP_2) | instid1(VALU_DEP_3)
	v_subrev_nc_u32_e32 v1, s12, v1
	v_mov_b32_e32 v11, 0
	v_dual_mov_b32 v12, 0 :: v_dual_mov_b32 v19, v0
	v_dual_mov_b32 v16, 0 :: v_dual_add_nc_u32 v1, 4, v1
	s_delay_alu instid0(VALU_DEP_1) | instskip(NEXT) | instid1(VALU_DEP_1)
	v_max_i32_e32 v1, v1, v22
	v_add3_u32 v1, s12, v1, v6
	v_mov_b32_e32 v6, 0
	v_mov_b32_e32 v7, 0
	s_delay_alu instid0(VALU_DEP_3) | instskip(NEXT) | instid1(VALU_DEP_1)
	v_sub_nc_u32_e32 v1, v1, v21
	v_and_b32_e32 v17, 12, v1
	s_delay_alu instid0(VALU_DEP_1)
	v_cmp_ne_u32_e32 vcc_lo, 12, v17
	v_dual_mov_b32 v18, v5 :: v_dual_mov_b32 v17, v4
	s_and_saveexec_b32 s3, vcc_lo
	s_cbranch_execz .LBB5_19
; %bb.16:
	v_lshrrev_b32_e32 v6, 2, v1
	v_mov_b32_e32 v15, 0
	v_mov_b32_e32 v13, 0
	s_mov_b32 s7, 0
	s_delay_alu instid0(VALU_DEP_3) | instskip(SKIP_3) | instid1(VALU_DEP_4)
	v_dual_mov_b32 v18, v5 :: v_dual_add_nc_u32 v11, 1, v6
	v_mov_b32_e32 v6, 0
	v_mov_b32_e32 v7, 0
	v_dual_mov_b32 v17, v4 :: v_dual_mov_b32 v16, 0
	v_and_b32_e32 v19, 3, v11
	v_dual_mov_b32 v11, 0 :: v_dual_mov_b32 v14, 0
	v_mov_b32_e32 v12, 0
	s_delay_alu instid0(VALU_DEP_3)
	v_sub_nc_u32_e32 v24, 0, v19
	v_mov_b32_e32 v19, v0
.LBB5_17:                               ; =>This Inner Loop Header: Depth=1
	s_delay_alu instid0(VALU_DEP_1) | instskip(NEXT) | instid1(VALU_DEP_3)
	v_ashrrev_i32_e32 v20, 31, v19
	v_add_co_u32 v24, s10, v24, 1
	s_wait_alu 0xfffe
	s_or_b32 s7, s10, s7
	s_delay_alu instid0(VALU_DEP_2) | instskip(SKIP_1) | instid1(VALU_DEP_2)
	v_lshlrev_b64_e32 v[25:26], 2, v[19:20]
	v_add_nc_u32_e32 v19, 4, v19
	v_add_co_u32 v25, vcc_lo, s8, v25
	s_wait_alu 0xfffd
	s_delay_alu instid0(VALU_DEP_3)
	v_add_co_ci_u32_e64 v26, null, s9, v26, vcc_lo
	global_load_b32 v20, v[25:26], off
	s_clause 0x6
	global_load_b128 v[25:28], v[17:18], off offset:48
	global_load_b128 v[29:32], v[17:18], off offset:32
	;; [unrolled: 1-line block ×3, first 2 shown]
	global_load_b128 v[37:40], v[17:18], off
	global_load_b128 v[41:44], v[17:18], off offset:112
	global_load_b128 v[45:48], v[17:18], off offset:96
	;; [unrolled: 1-line block ×3, first 2 shown]
	s_wait_loadcnt 0x7
	v_subrev_nc_u32_e32 v20, s12, v20
	s_delay_alu instid0(VALU_DEP_1) | instskip(NEXT) | instid1(VALU_DEP_1)
	v_lshlrev_b32_e32 v53, 2, v20
	v_ashrrev_i32_e32 v54, 31, v53
	s_delay_alu instid0(VALU_DEP_1) | instskip(SKIP_1) | instid1(VALU_DEP_1)
	v_lshlrev_b64_e32 v[53:54], 3, v[53:54]
	s_wait_kmcnt 0x0
	v_add_co_u32 v61, vcc_lo, s4, v53
	s_wait_alu 0xfffd
	s_delay_alu instid0(VALU_DEP_2)
	v_add_co_ci_u32_e64 v62, null, s5, v54, vcc_lo
	global_load_b128 v[53:56], v[17:18], off offset:64
	s_clause 0x1
	global_load_b128 v[57:60], v[61:62], off
	global_load_b128 v[61:64], v[61:62], off offset:16
	v_add_co_u32 v17, vcc_lo, 0x200, v17
	s_wait_alu 0xfffd
	v_add_co_ci_u32_e64 v18, null, 0, v18, vcc_lo
	s_wait_loadcnt 0x1
	v_fma_f64 v[13:14], v[37:38], v[57:58], v[13:14]
	v_fma_f64 v[15:16], v[29:30], v[57:58], v[15:16]
	;; [unrolled: 1-line block ×4, first 2 shown]
	s_delay_alu instid0(VALU_DEP_4) | instskip(NEXT) | instid1(VALU_DEP_4)
	v_fma_f64 v[13:14], v[39:40], v[59:60], v[13:14]
	v_fma_f64 v[15:16], v[31:32], v[59:60], v[15:16]
	s_delay_alu instid0(VALU_DEP_4) | instskip(NEXT) | instid1(VALU_DEP_4)
	v_fma_f64 v[11:12], v[55:56], v[59:60], v[11:12]
	v_fma_f64 v[6:7], v[47:48], v[59:60], v[6:7]
	s_wait_loadcnt 0x0
	s_delay_alu instid0(VALU_DEP_4) | instskip(NEXT) | instid1(VALU_DEP_4)
	v_fma_f64 v[13:14], v[33:34], v[61:62], v[13:14]
	v_fma_f64 v[15:16], v[25:26], v[61:62], v[15:16]
	s_delay_alu instid0(VALU_DEP_4) | instskip(NEXT) | instid1(VALU_DEP_4)
	v_fma_f64 v[11:12], v[49:50], v[61:62], v[11:12]
	v_fma_f64 v[6:7], v[41:42], v[61:62], v[6:7]
	;; [unrolled: 3-line block ×4, first 2 shown]
	s_wait_alu 0xfffe
	s_and_not1_b32 exec_lo, exec_lo, s7
	s_cbranch_execnz .LBB5_17
; %bb.18:
	s_or_b32 exec_lo, exec_lo, s7
.LBB5_19:
	s_wait_alu 0xfffe
	s_or_b32 exec_lo, exec_lo, s3
	s_delay_alu instid0(SALU_CYCLE_1)
	s_mov_b32 s7, exec_lo
	v_cmpx_lt_u32_e32 11, v1
	s_cbranch_execz .LBB5_23
; %bb.20:
	s_mov_b32 s10, 0
.LBB5_21:                               ; =>This Inner Loop Header: Depth=1
	v_ashrrev_i32_e32 v20, 31, v19
	s_delay_alu instid0(VALU_DEP_1) | instskip(SKIP_1) | instid1(VALU_DEP_2)
	v_lshlrev_b64_e32 v[24:25], 2, v[19:20]
	v_add_nc_u32_e32 v19, 16, v19
	v_add_co_u32 v56, vcc_lo, s8, v24
	s_wait_alu 0xfffd
	s_delay_alu instid0(VALU_DEP_3)
	v_add_co_ci_u32_e64 v57, null, s9, v25, vcc_lo
	global_load_b32 v1, v[56:57], off
	s_clause 0x7
	global_load_b128 v[24:27], v[17:18], off offset:48
	global_load_b128 v[28:31], v[17:18], off offset:32
	;; [unrolled: 1-line block ×3, first 2 shown]
	global_load_b128 v[36:39], v[17:18], off
	global_load_b128 v[40:43], v[17:18], off offset:112
	global_load_b128 v[44:47], v[17:18], off offset:96
	;; [unrolled: 1-line block ×4, first 2 shown]
	s_clause 0x2
	global_load_b32 v20, v[56:57], off offset:16
	global_load_b32 v126, v[56:57], off offset:32
	global_load_b32 v128, v[56:57], off offset:48
	s_wait_loadcnt 0xb
	v_subrev_nc_u32_e32 v1, s12, v1
	s_delay_alu instid0(VALU_DEP_1) | instskip(SKIP_2) | instid1(VALU_DEP_2)
	v_lshlrev_b32_e32 v56, 2, v1
	s_wait_loadcnt 0x2
	v_subrev_nc_u32_e32 v1, s12, v20
	v_ashrrev_i32_e32 v57, 31, v56
	s_delay_alu instid0(VALU_DEP_2) | instskip(NEXT) | instid1(VALU_DEP_2)
	v_lshlrev_b32_e32 v116, 2, v1
	v_lshlrev_b64_e32 v[56:57], 3, v[56:57]
	s_wait_loadcnt 0x1
	v_subrev_nc_u32_e32 v1, s12, v126
	s_delay_alu instid0(VALU_DEP_3) | instskip(SKIP_1) | instid1(VALU_DEP_3)
	v_ashrrev_i32_e32 v117, 31, v116
	s_wait_kmcnt 0x0
	v_add_co_u32 v68, vcc_lo, s4, v56
	s_wait_alu 0xfffd
	v_add_co_ci_u32_e64 v69, null, s5, v57, vcc_lo
	v_lshlrev_b64_e32 v[116:117], 3, v[116:117]
	global_load_b128 v[56:59], v[68:69], off
	s_clause 0x1
	global_load_b128 v[60:63], v[17:18], off offset:560
	global_load_b128 v[64:67], v[17:18], off offset:544
	;; [unrolled: 1-line block ×3, first 2 shown]
	s_clause 0xa
	global_load_b128 v[72:75], v[17:18], off offset:528
	global_load_b128 v[76:79], v[17:18], off offset:512
	;; [unrolled: 1-line block ×11, first 2 shown]
	v_add_co_u32 v120, vcc_lo, s4, v116
	s_wait_alu 0xfffd
	v_add_co_ci_u32_e64 v121, null, s5, v117, vcc_lo
	global_load_b128 v[116:119], v[120:121], off
	s_wait_loadcnt 0xf
	v_fma_f64 v[13:14], v[36:37], v[56:57], v[13:14]
	v_fma_f64 v[11:12], v[52:53], v[56:57], v[11:12]
	v_fma_f64 v[6:7], v[44:45], v[56:57], v[6:7]
	s_delay_alu instid0(VALU_DEP_3)
	v_fma_f64 v[122:123], v[38:39], v[58:59], v[13:14]
	v_fma_f64 v[13:14], v[28:29], v[56:57], v[15:16]
	v_lshlrev_b32_e32 v28, 2, v1
	global_load_b128 v[36:39], v[17:18], off offset:1120
	v_fma_f64 v[11:12], v[54:55], v[58:59], v[11:12]
	v_fma_f64 v[6:7], v[46:47], v[58:59], v[6:7]
	v_subrev_nc_u32_e32 v1, s12, v128
	v_ashrrev_i32_e32 v29, 31, v28
	global_load_b128 v[52:55], v[17:18], off offset:1088
	v_lshlrev_b64_e32 v[28:29], 3, v[28:29]
	s_delay_alu instid0(VALU_DEP_1) | instskip(SKIP_1) | instid1(VALU_DEP_2)
	v_add_co_u32 v126, vcc_lo, s4, v28
	s_wait_alu 0xfffd
	v_add_co_ci_u32_e64 v127, null, s5, v29, vcc_lo
	s_wait_loadcnt 0xe
	v_fma_f64 v[32:33], v[32:33], v[68:69], v[122:123]
	v_fma_f64 v[124:125], v[30:31], v[58:59], v[13:14]
	global_load_b128 v[28:31], v[120:121], off offset:16
	global_load_b128 v[13:16], v[17:18], off offset:1104
	s_clause 0x1
	global_load_b128 v[44:47], v[126:127], off
	global_load_b128 v[56:59], v[126:127], off offset:16
	v_fma_f64 v[11:12], v[48:49], v[68:69], v[11:12]
	v_fma_f64 v[6:7], v[40:41], v[68:69], v[6:7]
	v_lshlrev_b32_e32 v40, 2, v1
	s_delay_alu instid0(VALU_DEP_1) | instskip(NEXT) | instid1(VALU_DEP_1)
	v_ashrrev_i32_e32 v41, 31, v40
	v_lshlrev_b64_e32 v[40:41], 3, v[40:41]
	v_fma_f64 v[120:121], v[34:35], v[70:71], v[32:33]
	v_fma_f64 v[24:25], v[24:25], v[68:69], v[124:125]
	s_delay_alu instid0(VALU_DEP_3) | instskip(SKIP_1) | instid1(VALU_DEP_4)
	v_add_co_u32 v124, vcc_lo, s4, v40
	s_wait_alu 0xfffd
	v_add_co_ci_u32_e64 v125, null, s5, v41, vcc_lo
	v_fma_f64 v[11:12], v[50:51], v[70:71], v[11:12]
	v_fma_f64 v[6:7], v[42:43], v[70:71], v[6:7]
	s_clause 0x1
	global_load_b128 v[32:35], v[17:18], off offset:1568
	global_load_b128 v[48:51], v[17:18], off offset:1632
	v_cmp_ge_i32_e32 vcc_lo, v19, v22
	s_wait_alu 0xfffe
	s_or_b32 s10, vcc_lo, s10
	s_wait_loadcnt 0x8
	v_fma_f64 v[76:77], v[76:77], v[116:117], v[120:121]
	v_fma_f64 v[122:123], v[26:27], v[70:71], v[24:25]
	s_clause 0x1
	global_load_b128 v[24:27], v[17:18], off offset:1536
	global_load_b128 v[40:43], v[17:18], off offset:1600
	global_load_b128 v[68:71], v[124:125], off
	v_fma_f64 v[11:12], v[92:93], v[116:117], v[11:12]
	v_fma_f64 v[6:7], v[84:85], v[116:117], v[6:7]
	;; [unrolled: 1-line block ×4, first 2 shown]
	s_delay_alu instid0(VALU_DEP_4) | instskip(NEXT) | instid1(VALU_DEP_4)
	v_fma_f64 v[11:12], v[94:95], v[118:119], v[11:12]
	v_fma_f64 v[6:7], v[86:87], v[118:119], v[6:7]
	s_delay_alu instid0(VALU_DEP_3)
	v_fma_f64 v[122:123], v[66:67], v[118:119], v[64:65]
	s_clause 0x3
	global_load_b128 v[64:67], v[17:18], off offset:1584
	global_load_b128 v[76:79], v[17:18], off offset:1552
	;; [unrolled: 1-line block ×5, first 2 shown]
	v_add_co_u32 v17, s3, 0x800, v17
	s_wait_alu 0xf1ff
	v_add_co_ci_u32_e64 v18, null, 0, v18, s3
	s_wait_loadcnt 0xd
	v_fma_f64 v[72:73], v[72:73], v[28:29], v[120:121]
	v_fma_f64 v[60:61], v[60:61], v[28:29], v[122:123]
	;; [unrolled: 1-line block ×4, first 2 shown]
	s_delay_alu instid0(VALU_DEP_4) | instskip(NEXT) | instid1(VALU_DEP_4)
	v_fma_f64 v[28:29], v[74:75], v[30:31], v[72:73]
	v_fma_f64 v[60:61], v[62:63], v[30:31], v[60:61]
	s_delay_alu instid0(VALU_DEP_4) | instskip(NEXT) | instid1(VALU_DEP_4)
	v_fma_f64 v[11:12], v[90:91], v[30:31], v[11:12]
	v_fma_f64 v[6:7], v[82:83], v[30:31], v[6:7]
	s_wait_loadcnt 0xb
	s_delay_alu instid0(VALU_DEP_4) | instskip(NEXT) | instid1(VALU_DEP_4)
	v_fma_f64 v[28:29], v[108:109], v[44:45], v[28:29]
	v_fma_f64 v[30:31], v[100:101], v[44:45], v[60:61]
	s_delay_alu instid0(VALU_DEP_4) | instskip(NEXT) | instid1(VALU_DEP_4)
	v_fma_f64 v[11:12], v[52:53], v[44:45], v[11:12]
	v_fma_f64 v[6:7], v[36:37], v[44:45], v[6:7]
	s_delay_alu instid0(VALU_DEP_4) | instskip(NEXT) | instid1(VALU_DEP_4)
	v_fma_f64 v[28:29], v[110:111], v[46:47], v[28:29]
	v_fma_f64 v[30:31], v[102:103], v[46:47], v[30:31]
	s_delay_alu instid0(VALU_DEP_4) | instskip(NEXT) | instid1(VALU_DEP_4)
	v_fma_f64 v[11:12], v[54:55], v[46:47], v[11:12]
	v_fma_f64 v[6:7], v[38:39], v[46:47], v[6:7]
	s_wait_loadcnt 0xa
	s_delay_alu instid0(VALU_DEP_4) | instskip(NEXT) | instid1(VALU_DEP_4)
	v_fma_f64 v[28:29], v[104:105], v[56:57], v[28:29]
	v_fma_f64 v[30:31], v[96:97], v[56:57], v[30:31]
	s_delay_alu instid0(VALU_DEP_4) | instskip(NEXT) | instid1(VALU_DEP_4)
	v_fma_f64 v[11:12], v[13:14], v[56:57], v[11:12]
	v_fma_f64 v[6:7], v[112:113], v[56:57], v[6:7]
	;; [unrolled: 13-line block ×4, first 2 shown]
	s_delay_alu instid0(VALU_DEP_4) | instskip(NEXT) | instid1(VALU_DEP_4)
	v_fma_f64 v[13:14], v[78:79], v[118:119], v[13:14]
	v_fma_f64 v[15:16], v[66:67], v[118:119], v[15:16]
	s_delay_alu instid0(VALU_DEP_4) | instskip(NEXT) | instid1(VALU_DEP_4)
	v_fma_f64 v[11:12], v[94:95], v[118:119], v[11:12]
	v_fma_f64 v[6:7], v[86:87], v[118:119], v[6:7]
	s_wait_alu 0xfffe
	s_and_not1_b32 exec_lo, exec_lo, s10
	s_cbranch_execnz .LBB5_21
; %bb.22:
	s_or_b32 exec_lo, exec_lo, s10
.LBB5_23:
	s_wait_alu 0xfffe
	s_or_b32 exec_lo, exec_lo, s7
.LBB5_24:
	s_wait_alu 0xfffe
	s_or_b32 exec_lo, exec_lo, s6
	s_cbranch_execz .LBB5_26
	s_branch .LBB5_37
.LBB5_25:
                                        ; implicit-def: $vgpr6_vgpr7
                                        ; implicit-def: $vgpr11_vgpr12
                                        ; implicit-def: $vgpr15_vgpr16
                                        ; implicit-def: $vgpr13_vgpr14
.LBB5_26:
	v_dual_mov_b32 v15, 0 :: v_dual_mov_b32 v6, 0
	v_dual_mov_b32 v11, 0 :: v_dual_mov_b32 v16, 0
	v_mov_b32_e32 v13, 0
	v_dual_mov_b32 v7, 0 :: v_dual_mov_b32 v12, 0
	v_mov_b32_e32 v14, 0
	s_and_saveexec_b32 s3, s2
	s_cbranch_execz .LBB5_36
; %bb.27:
	v_add_nc_u32_e32 v1, v23, v21
	v_mov_b32_e32 v13, 0
	v_dual_mov_b32 v14, 0 :: v_dual_mov_b32 v15, 0
	v_not_b32_e32 v6, v23
	s_delay_alu instid0(VALU_DEP_4) | instskip(SKIP_3) | instid1(VALU_DEP_3)
	v_subrev_nc_u32_e32 v1, s12, v1
	v_mov_b32_e32 v11, 0
	s_mov_b32 s2, exec_lo
	v_mov_b32_e32 v16, 0
	v_dual_mov_b32 v12, 0 :: v_dual_add_nc_u32 v1, 4, v1
	s_delay_alu instid0(VALU_DEP_1) | instskip(NEXT) | instid1(VALU_DEP_1)
	v_max_i32_e32 v1, v1, v22
	v_add3_u32 v1, s12, v1, v6
	v_mov_b32_e32 v6, 0
	v_mov_b32_e32 v7, 0
	s_delay_alu instid0(VALU_DEP_3) | instskip(NEXT) | instid1(VALU_DEP_1)
	v_sub_nc_u32_e32 v17, v1, v21
	v_and_b32_e32 v1, 12, v17
	s_delay_alu instid0(VALU_DEP_1)
	v_cmpx_ne_u32_e32 12, v1
	s_cbranch_execz .LBB5_31
; %bb.28:
	v_lshrrev_b32_e32 v1, 2, v17
	v_mov_b32_e32 v11, 0
	v_mov_b32_e32 v15, 0
	;; [unrolled: 1-line block ×3, first 2 shown]
	s_delay_alu instid0(VALU_DEP_4) | instskip(SKIP_3) | instid1(VALU_DEP_3)
	v_dual_mov_b32 v14, 0 :: v_dual_add_nc_u32 v1, 1, v1
	v_mov_b32_e32 v6, 0
	v_dual_mov_b32 v7, 0 :: v_dual_mov_b32 v16, 0
	s_mov_b32 s6, 0
	v_dual_mov_b32 v12, 0 :: v_dual_and_b32 v1, 3, v1
	s_delay_alu instid0(VALU_DEP_1)
	v_sub_nc_u32_e32 v18, 0, v1
.LBB5_29:                               ; =>This Inner Loop Header: Depth=1
	v_ashrrev_i32_e32 v1, 31, v0
	s_delay_alu instid0(VALU_DEP_2) | instskip(SKIP_2) | instid1(VALU_DEP_2)
	v_add_co_u32 v18, s7, v18, 1
	s_wait_alu 0xfffe
	s_or_b32 s6, s7, s6
	v_lshlrev_b64_e32 v[19:20], 2, v[0:1]
	v_add_nc_u32_e32 v0, 4, v0
	s_delay_alu instid0(VALU_DEP_2) | instskip(SKIP_1) | instid1(VALU_DEP_3)
	v_add_co_u32 v19, vcc_lo, s8, v19
	s_wait_alu 0xfffd
	v_add_co_ci_u32_e64 v20, null, s9, v20, vcc_lo
	global_load_b32 v1, v[19:20], off
	global_load_b128 v[23:26], v[4:5], off offset:16
	s_wait_loadcnt 0x1
	v_subrev_nc_u32_e32 v1, s12, v1
	s_delay_alu instid0(VALU_DEP_1) | instskip(NEXT) | instid1(VALU_DEP_1)
	v_lshlrev_b32_e32 v19, 2, v1
	v_ashrrev_i32_e32 v20, 31, v19
	s_delay_alu instid0(VALU_DEP_1) | instskip(SKIP_1) | instid1(VALU_DEP_1)
	v_lshlrev_b64_e32 v[19:20], 3, v[19:20]
	s_wait_kmcnt 0x0
	v_add_co_u32 v19, vcc_lo, s4, v19
	s_wait_alu 0xfffd
	s_delay_alu instid0(VALU_DEP_2)
	v_add_co_ci_u32_e64 v20, null, s5, v20, vcc_lo
	global_load_b128 v[27:30], v[4:5], off
	s_clause 0x1
	global_load_b128 v[31:34], v[19:20], off
	global_load_b128 v[35:38], v[19:20], off offset:16
	s_clause 0x5
	global_load_b128 v[39:42], v[4:5], off offset:32
	global_load_b128 v[43:46], v[4:5], off offset:48
	;; [unrolled: 1-line block ×6, first 2 shown]
	v_add_co_u32 v4, vcc_lo, 0x200, v4
	s_wait_alu 0xfffd
	v_add_co_ci_u32_e64 v5, null, 0, v5, vcc_lo
	s_wait_loadcnt 0x7
	v_fma_f64 v[13:14], v[27:28], v[31:32], v[13:14]
	v_fma_f64 v[15:16], v[29:30], v[31:32], v[15:16]
	;; [unrolled: 1-line block ×4, first 2 shown]
	s_wait_loadcnt 0x5
	s_delay_alu instid0(VALU_DEP_4) | instskip(NEXT) | instid1(VALU_DEP_4)
	v_fma_f64 v[13:14], v[39:40], v[33:34], v[13:14]
	v_fma_f64 v[15:16], v[41:42], v[33:34], v[15:16]
	s_wait_loadcnt 0x4
	s_delay_alu instid0(VALU_DEP_4) | instskip(NEXT) | instid1(VALU_DEP_4)
	v_fma_f64 v[11:12], v[43:44], v[33:34], v[11:12]
	v_fma_f64 v[6:7], v[45:46], v[33:34], v[6:7]
	;; [unrolled: 4-line block ×6, first 2 shown]
	s_wait_alu 0xfffe
	s_and_not1_b32 exec_lo, exec_lo, s6
	s_cbranch_execnz .LBB5_29
; %bb.30:
	s_or_b32 exec_lo, exec_lo, s6
.LBB5_31:
	s_wait_alu 0xfffe
	s_or_b32 exec_lo, exec_lo, s2
	s_delay_alu instid0(SALU_CYCLE_1)
	s_mov_b32 s6, exec_lo
	v_cmpx_lt_u32_e32 11, v17
	s_cbranch_execz .LBB5_35
; %bb.32:
	s_mov_b32 s7, 0
.LBB5_33:                               ; =>This Inner Loop Header: Depth=1
	v_ashrrev_i32_e32 v1, 31, v0
	s_delay_alu instid0(VALU_DEP_1) | instskip(SKIP_1) | instid1(VALU_DEP_2)
	v_lshlrev_b64_e32 v[17:18], 2, v[0:1]
	v_add_nc_u32_e32 v0, 16, v0
	v_add_co_u32 v23, vcc_lo, s8, v17
	s_wait_alu 0xfffd
	s_delay_alu instid0(VALU_DEP_3)
	v_add_co_ci_u32_e64 v24, null, s9, v18, vcc_lo
	s_clause 0x2
	global_load_b32 v1, v[23:24], off
	global_load_b32 v63, v[23:24], off offset:16
	global_load_b32 v103, v[23:24], off offset:32
	global_load_b128 v[17:20], v[4:5], off offset:16
	global_load_b32 v117, v[23:24], off offset:48
	s_wait_loadcnt 0x4
	v_subrev_nc_u32_e32 v1, s12, v1
	s_delay_alu instid0(VALU_DEP_1) | instskip(SKIP_2) | instid1(VALU_DEP_2)
	v_lshlrev_b32_e32 v23, 2, v1
	s_wait_loadcnt 0x3
	v_subrev_nc_u32_e32 v1, s12, v63
	v_ashrrev_i32_e32 v24, 31, v23
	s_delay_alu instid0(VALU_DEP_2) | instskip(SKIP_2) | instid1(VALU_DEP_3)
	v_lshlrev_b32_e32 v63, 2, v1
	s_wait_loadcnt 0x2
	v_subrev_nc_u32_e32 v1, s12, v103
	v_lshlrev_b64_e32 v[23:24], 3, v[23:24]
	s_delay_alu instid0(VALU_DEP_3) | instskip(NEXT) | instid1(VALU_DEP_3)
	v_ashrrev_i32_e32 v64, 31, v63
	v_lshlrev_b32_e32 v103, 2, v1
	s_wait_loadcnt 0x0
	v_subrev_nc_u32_e32 v1, s12, v117
	s_delay_alu instid0(VALU_DEP_3)
	v_lshlrev_b64_e32 v[63:64], 3, v[63:64]
	s_wait_kmcnt 0x0
	v_add_co_u32 v47, vcc_lo, s4, v23
	s_wait_alu 0xfffd
	v_add_co_ci_u32_e64 v48, null, s5, v24, vcc_lo
	v_ashrrev_i32_e32 v104, 31, v103
	global_load_b128 v[23:26], v[4:5], off
	global_load_b128 v[27:30], v[47:48], off
	s_clause 0x3
	global_load_b128 v[31:34], v[4:5], off offset:32
	global_load_b128 v[35:38], v[4:5], off offset:48
	;; [unrolled: 1-line block ×5, first 2 shown]
	s_clause 0x2
	global_load_b128 v[51:54], v[4:5], off offset:96
	global_load_b128 v[55:58], v[4:5], off offset:112
	;; [unrolled: 1-line block ×3, first 2 shown]
	v_add_co_u32 v87, vcc_lo, s4, v63
	s_wait_alu 0xfffd
	v_add_co_ci_u32_e64 v88, null, s5, v64, vcc_lo
	global_load_b128 v[63:66], v[4:5], off offset:512
	global_load_b128 v[67:70], v[87:88], off
	s_clause 0x3
	global_load_b128 v[71:74], v[4:5], off offset:544
	global_load_b128 v[75:78], v[4:5], off offset:560
	global_load_b128 v[79:82], v[4:5], off offset:576
	global_load_b128 v[83:86], v[4:5], off offset:592
	global_load_b128 v[87:90], v[87:88], off offset:16
	s_clause 0x2
	global_load_b128 v[91:94], v[4:5], off offset:608
	global_load_b128 v[95:98], v[4:5], off offset:624
	;; [unrolled: 1-line block ×3, first 2 shown]
	v_lshlrev_b64_e32 v[103:104], 3, v[103:104]
	s_delay_alu instid0(VALU_DEP_1) | instskip(SKIP_1) | instid1(VALU_DEP_2)
	v_add_co_u32 v111, vcc_lo, s4, v103
	s_wait_alu 0xfffd
	v_add_co_ci_u32_e64 v112, null, s5, v104, vcc_lo
	global_load_b128 v[103:106], v[4:5], off offset:1024
	global_load_b128 v[107:110], v[111:112], off
	s_wait_loadcnt 0x14
	v_fma_f64 v[23:24], v[23:24], v[27:28], v[13:14]
	v_fma_f64 v[25:26], v[25:26], v[27:28], v[15:16]
	;; [unrolled: 1-line block ×4, first 2 shown]
	s_clause 0x1
	global_load_b128 v[11:14], v[4:5], off offset:1056
	global_load_b128 v[15:18], v[4:5], off offset:1072
	s_wait_loadcnt 0x15
	v_fma_f64 v[19:20], v[31:32], v[29:30], v[23:24]
	v_fma_f64 v[115:116], v[33:34], v[29:30], v[25:26]
	s_wait_loadcnt 0x14
	v_fma_f64 v[35:36], v[35:36], v[29:30], v[113:114]
	v_fma_f64 v[6:7], v[37:38], v[29:30], v[6:7]
	s_clause 0x1
	global_load_b128 v[23:26], v[4:5], off offset:1088
	global_load_b128 v[27:30], v[4:5], off offset:1104
	;; [unrolled: 1-line block ×3, first 2 shown]
	s_wait_loadcnt 0x14
	v_fma_f64 v[19:20], v[39:40], v[47:48], v[19:20]
	v_fma_f64 v[111:112], v[41:42], v[47:48], v[115:116]
	;; [unrolled: 1-line block ×4, first 2 shown]
	s_clause 0x2
	global_load_b128 v[35:38], v[4:5], off offset:1120
	global_load_b128 v[39:42], v[4:5], off offset:1136
	;; [unrolled: 1-line block ×3, first 2 shown]
	v_lshlrev_b32_e32 v47, 2, v1
	s_delay_alu instid0(VALU_DEP_1) | instskip(NEXT) | instid1(VALU_DEP_1)
	v_ashrrev_i32_e32 v48, 31, v47
	v_lshlrev_b64_e32 v[47:48], 3, v[47:48]
	s_wait_loadcnt 0x16
	v_fma_f64 v[19:20], v[51:52], v[49:50], v[19:20]
	v_fma_f64 v[111:112], v[53:54], v[49:50], v[111:112]
	s_wait_loadcnt 0x15
	v_fma_f64 v[55:56], v[55:56], v[49:50], v[113:114]
	v_fma_f64 v[6:7], v[57:58], v[49:50], v[6:7]
	v_add_co_u32 v113, vcc_lo, s4, v47
	s_wait_alu 0xfffd
	v_add_co_ci_u32_e64 v114, null, s5, v48, vcc_lo
	global_load_b128 v[47:50], v[4:5], off offset:1536
	global_load_b128 v[51:54], v[113:114], off
	v_cmp_ge_i32_e32 vcc_lo, v0, v22
	s_wait_alu 0xfffe
	s_or_b32 s7, vcc_lo, s7
	s_wait_loadcnt 0x14
	v_fma_f64 v[19:20], v[63:64], v[67:68], v[19:20]
	v_fma_f64 v[63:64], v[65:66], v[67:68], v[111:112]
	;; [unrolled: 1-line block ×4, first 2 shown]
	s_clause 0x1
	global_load_b128 v[55:58], v[4:5], off offset:1568
	global_load_b128 v[59:62], v[4:5], off offset:1584
	s_wait_loadcnt 0x15
	v_fma_f64 v[19:20], v[71:72], v[69:70], v[19:20]
	v_fma_f64 v[111:112], v[73:74], v[69:70], v[63:64]
	s_wait_loadcnt 0x14
	v_fma_f64 v[75:76], v[75:76], v[69:70], v[65:66]
	v_fma_f64 v[6:7], v[77:78], v[69:70], v[6:7]
	s_clause 0x1
	global_load_b128 v[63:66], v[4:5], off offset:1600
	global_load_b128 v[67:70], v[4:5], off offset:1616
	;; [unrolled: 1-line block ×3, first 2 shown]
	s_wait_loadcnt 0x14
	v_fma_f64 v[19:20], v[79:80], v[87:88], v[19:20]
	v_fma_f64 v[111:112], v[81:82], v[87:88], v[111:112]
	;; [unrolled: 1-line block ×4, first 2 shown]
	s_clause 0x1
	global_load_b128 v[75:78], v[4:5], off offset:1632
	global_load_b128 v[79:82], v[4:5], off offset:1648
	v_add_co_u32 v4, s2, 0x800, v4
	s_wait_alu 0xf1ff
	v_add_co_ci_u32_e64 v5, null, 0, v5, s2
	s_wait_loadcnt 0x15
	v_fma_f64 v[19:20], v[91:92], v[89:90], v[19:20]
	v_fma_f64 v[85:86], v[93:94], v[89:90], v[111:112]
	s_wait_loadcnt 0x14
	v_fma_f64 v[83:84], v[95:96], v[89:90], v[83:84]
	v_fma_f64 v[6:7], v[97:98], v[89:90], v[6:7]
	s_wait_loadcnt 0x11
	s_delay_alu instid0(VALU_DEP_4) | instskip(NEXT) | instid1(VALU_DEP_4)
	v_fma_f64 v[19:20], v[103:104], v[107:108], v[19:20]
	v_fma_f64 v[85:86], v[105:106], v[107:108], v[85:86]
	s_delay_alu instid0(VALU_DEP_4) | instskip(NEXT) | instid1(VALU_DEP_4)
	v_fma_f64 v[83:84], v[99:100], v[107:108], v[83:84]
	v_fma_f64 v[6:7], v[101:102], v[107:108], v[6:7]
	s_wait_loadcnt 0x10
	s_delay_alu instid0(VALU_DEP_4) | instskip(NEXT) | instid1(VALU_DEP_4)
	v_fma_f64 v[11:12], v[11:12], v[109:110], v[19:20]
	v_fma_f64 v[13:14], v[13:14], v[109:110], v[85:86]
	s_wait_loadcnt 0xf
	s_delay_alu instid0(VALU_DEP_4) | instskip(NEXT) | instid1(VALU_DEP_4)
	v_fma_f64 v[15:16], v[15:16], v[109:110], v[83:84]
	v_fma_f64 v[6:7], v[17:18], v[109:110], v[6:7]
	s_wait_loadcnt 0xc
	s_delay_alu instid0(VALU_DEP_4) | instskip(NEXT) | instid1(VALU_DEP_4)
	v_fma_f64 v[11:12], v[23:24], v[31:32], v[11:12]
	v_fma_f64 v[13:14], v[25:26], v[31:32], v[13:14]
	s_delay_alu instid0(VALU_DEP_4) | instskip(NEXT) | instid1(VALU_DEP_4)
	v_fma_f64 v[15:16], v[27:28], v[31:32], v[15:16]
	v_fma_f64 v[6:7], v[29:30], v[31:32], v[6:7]
	s_wait_loadcnt 0xb
	s_delay_alu instid0(VALU_DEP_4) | instskip(NEXT) | instid1(VALU_DEP_4)
	v_fma_f64 v[11:12], v[35:36], v[33:34], v[11:12]
	v_fma_f64 v[13:14], v[37:38], v[33:34], v[13:14]
	s_wait_loadcnt 0xa
	s_delay_alu instid0(VALU_DEP_4) | instskip(NEXT) | instid1(VALU_DEP_4)
	;; [unrolled: 15-line block ×4, first 2 shown]
	v_fma_f64 v[11:12], v[79:80], v[73:74], v[19:20]
	v_fma_f64 v[6:7], v[81:82], v[73:74], v[6:7]
	s_wait_alu 0xfffe
	s_and_not1_b32 exec_lo, exec_lo, s7
	s_cbranch_execnz .LBB5_33
; %bb.34:
	s_or_b32 exec_lo, exec_lo, s7
.LBB5_35:
	s_wait_alu 0xfffe
	s_or_b32 exec_lo, exec_lo, s6
.LBB5_36:
	s_wait_alu 0xfffe
	s_or_b32 exec_lo, exec_lo, s3
.LBB5_37:
	v_mbcnt_lo_u32_b32 v24, -1, 0
	s_delay_alu instid0(VALU_DEP_1) | instskip(NEXT) | instid1(VALU_DEP_1)
	v_xor_b32_e32 v0, 2, v24
	v_cmp_gt_i32_e32 vcc_lo, 32, v0
	s_wait_alu 0xfffd
	v_cndmask_b32_e32 v0, v24, v0, vcc_lo
	s_delay_alu instid0(VALU_DEP_1)
	v_lshlrev_b32_e32 v17, 2, v0
	ds_bpermute_b32 v0, v17, v13
	ds_bpermute_b32 v1, v17, v14
	;; [unrolled: 1-line block ×8, first 2 shown]
	s_wait_dscnt 0x6
	v_add_f64_e32 v[17:18], v[13:14], v[0:1]
	s_wait_dscnt 0x4
	v_add_f64_e32 v[13:14], v[15:16], v[4:5]
	;; [unrolled: 2-line block ×4, first 2 shown]
	v_xor_b32_e32 v6, 1, v24
	s_delay_alu instid0(VALU_DEP_1) | instskip(SKIP_3) | instid1(VALU_DEP_2)
	v_cmp_gt_i32_e32 vcc_lo, 32, v6
	s_wait_alu 0xfffd
	v_cndmask_b32_e32 v6, v24, v6, vcc_lo
	v_cmp_eq_u32_e32 vcc_lo, 3, v21
	v_lshlrev_b32_e32 v7, 2, v6
	ds_bpermute_b32 v19, v7, v17
	ds_bpermute_b32 v20, v7, v18
	;; [unrolled: 1-line block ×8, first 2 shown]
	s_and_b32 exec_lo, exec_lo, vcc_lo
	s_cbranch_execz .LBB5_10
; %bb.38:
	s_wait_dscnt 0x6
	v_add_f64_e32 v[17:18], v[17:18], v[19:20]
	s_wait_dscnt 0x4
	v_add_f64_e32 v[13:14], v[13:14], v[15:16]
	s_wait_dscnt 0x2
	v_add_f64_e32 v[0:1], v[0:1], v[11:12]
	s_wait_dscnt 0x0
	v_add_f64_e32 v[11:12], v[4:5], v[6:7]
	s_load_b64 s[0:1], s[0:1], 0x50
	v_lshlrev_b32_e32 v10, 2, v10
	s_mov_b32 s2, exec_lo
	v_mul_f64_e32 v[4:5], v[2:3], v[17:18]
	v_mul_f64_e32 v[6:7], v[2:3], v[13:14]
	;; [unrolled: 1-line block ×4, first 2 shown]
	v_cmpx_eq_f64_e32 0, v[8:9]
	s_wait_alu 0xfffe
	s_xor_b32 s2, exec_lo, s2
	s_cbranch_execz .LBB5_40
; %bb.39:
	v_ashrrev_i32_e32 v11, 31, v10
	s_delay_alu instid0(VALU_DEP_1) | instskip(SKIP_1) | instid1(VALU_DEP_1)
	v_lshlrev_b64_e32 v[8:9], 3, v[10:11]
                                        ; implicit-def: $vgpr10
	s_wait_kmcnt 0x0
	v_add_co_u32 v8, vcc_lo, s0, v8
	s_wait_alu 0xfffd
	s_delay_alu instid0(VALU_DEP_2)
	v_add_co_ci_u32_e64 v9, null, s1, v9, vcc_lo
	s_clause 0x1
	global_store_b128 v[8:9], v[4:7], off
	global_store_b128 v[8:9], v[0:3], off offset:16
                                        ; implicit-def: $vgpr8_vgpr9
                                        ; implicit-def: $vgpr4_vgpr5
                                        ; implicit-def: $vgpr0_vgpr1
.LBB5_40:
	s_wait_alu 0xfffe
	s_and_not1_saveexec_b32 s2, s2
	s_cbranch_execz .LBB5_10
; %bb.41:
	v_ashrrev_i32_e32 v11, 31, v10
	s_delay_alu instid0(VALU_DEP_1) | instskip(SKIP_1) | instid1(VALU_DEP_1)
	v_lshlrev_b64_e32 v[10:11], 3, v[10:11]
	s_wait_kmcnt 0x0
	v_add_co_u32 v18, vcc_lo, s0, v10
	s_wait_alu 0xfffd
	s_delay_alu instid0(VALU_DEP_2)
	v_add_co_ci_u32_e64 v19, null, s1, v11, vcc_lo
	s_clause 0x1
	global_load_b128 v[10:13], v[18:19], off
	global_load_b128 v[14:17], v[18:19], off offset:16
	s_wait_loadcnt 0x1
	v_fma_f64 v[4:5], v[8:9], v[10:11], v[4:5]
	v_fma_f64 v[6:7], v[8:9], v[12:13], v[6:7]
	s_wait_loadcnt 0x0
	v_fma_f64 v[0:1], v[8:9], v[14:15], v[0:1]
	v_fma_f64 v[2:3], v[8:9], v[16:17], v[2:3]
	s_clause 0x1
	global_store_b128 v[18:19], v[4:7], off
	global_store_b128 v[18:19], v[0:3], off offset:16
	s_nop 0
	s_sendmsg sendmsg(MSG_DEALLOC_VGPRS)
	s_endpgm
	.section	.rodata,"a",@progbits
	.p2align	6, 0x0
	.amdhsa_kernel _ZN9rocsparseL18bsrxmvn_4x4_kernelILj128ELj4EdiidddEEvT3_20rocsparse_direction_NS_24const_host_device_scalarIT1_EES1_PKS1_PKT2_SA_S7_PKT4_PKT5_S5_PT6_21rocsparse_index_base_b
		.amdhsa_group_segment_fixed_size 0
		.amdhsa_private_segment_fixed_size 0
		.amdhsa_kernarg_size 96
		.amdhsa_user_sgpr_count 2
		.amdhsa_user_sgpr_dispatch_ptr 0
		.amdhsa_user_sgpr_queue_ptr 0
		.amdhsa_user_sgpr_kernarg_segment_ptr 1
		.amdhsa_user_sgpr_dispatch_id 0
		.amdhsa_user_sgpr_private_segment_size 0
		.amdhsa_wavefront_size32 1
		.amdhsa_uses_dynamic_stack 0
		.amdhsa_enable_private_segment 0
		.amdhsa_system_sgpr_workgroup_id_x 1
		.amdhsa_system_sgpr_workgroup_id_y 0
		.amdhsa_system_sgpr_workgroup_id_z 0
		.amdhsa_system_sgpr_workgroup_info 0
		.amdhsa_system_vgpr_workitem_id 0
		.amdhsa_next_free_vgpr 129
		.amdhsa_next_free_sgpr 14
		.amdhsa_reserve_vcc 1
		.amdhsa_float_round_mode_32 0
		.amdhsa_float_round_mode_16_64 0
		.amdhsa_float_denorm_mode_32 3
		.amdhsa_float_denorm_mode_16_64 3
		.amdhsa_fp16_overflow 0
		.amdhsa_workgroup_processor_mode 1
		.amdhsa_memory_ordered 1
		.amdhsa_forward_progress 1
		.amdhsa_inst_pref_size 44
		.amdhsa_round_robin_scheduling 0
		.amdhsa_exception_fp_ieee_invalid_op 0
		.amdhsa_exception_fp_denorm_src 0
		.amdhsa_exception_fp_ieee_div_zero 0
		.amdhsa_exception_fp_ieee_overflow 0
		.amdhsa_exception_fp_ieee_underflow 0
		.amdhsa_exception_fp_ieee_inexact 0
		.amdhsa_exception_int_div_zero 0
	.end_amdhsa_kernel
	.section	.text._ZN9rocsparseL18bsrxmvn_4x4_kernelILj128ELj4EdiidddEEvT3_20rocsparse_direction_NS_24const_host_device_scalarIT1_EES1_PKS1_PKT2_SA_S7_PKT4_PKT5_S5_PT6_21rocsparse_index_base_b,"axG",@progbits,_ZN9rocsparseL18bsrxmvn_4x4_kernelILj128ELj4EdiidddEEvT3_20rocsparse_direction_NS_24const_host_device_scalarIT1_EES1_PKS1_PKT2_SA_S7_PKT4_PKT5_S5_PT6_21rocsparse_index_base_b,comdat
.Lfunc_end5:
	.size	_ZN9rocsparseL18bsrxmvn_4x4_kernelILj128ELj4EdiidddEEvT3_20rocsparse_direction_NS_24const_host_device_scalarIT1_EES1_PKS1_PKT2_SA_S7_PKT4_PKT5_S5_PT6_21rocsparse_index_base_b, .Lfunc_end5-_ZN9rocsparseL18bsrxmvn_4x4_kernelILj128ELj4EdiidddEEvT3_20rocsparse_direction_NS_24const_host_device_scalarIT1_EES1_PKS1_PKT2_SA_S7_PKT4_PKT5_S5_PT6_21rocsparse_index_base_b
                                        ; -- End function
	.set _ZN9rocsparseL18bsrxmvn_4x4_kernelILj128ELj4EdiidddEEvT3_20rocsparse_direction_NS_24const_host_device_scalarIT1_EES1_PKS1_PKT2_SA_S7_PKT4_PKT5_S5_PT6_21rocsparse_index_base_b.num_vgpr, 129
	.set _ZN9rocsparseL18bsrxmvn_4x4_kernelILj128ELj4EdiidddEEvT3_20rocsparse_direction_NS_24const_host_device_scalarIT1_EES1_PKS1_PKT2_SA_S7_PKT4_PKT5_S5_PT6_21rocsparse_index_base_b.num_agpr, 0
	.set _ZN9rocsparseL18bsrxmvn_4x4_kernelILj128ELj4EdiidddEEvT3_20rocsparse_direction_NS_24const_host_device_scalarIT1_EES1_PKS1_PKT2_SA_S7_PKT4_PKT5_S5_PT6_21rocsparse_index_base_b.numbered_sgpr, 14
	.set _ZN9rocsparseL18bsrxmvn_4x4_kernelILj128ELj4EdiidddEEvT3_20rocsparse_direction_NS_24const_host_device_scalarIT1_EES1_PKS1_PKT2_SA_S7_PKT4_PKT5_S5_PT6_21rocsparse_index_base_b.num_named_barrier, 0
	.set _ZN9rocsparseL18bsrxmvn_4x4_kernelILj128ELj4EdiidddEEvT3_20rocsparse_direction_NS_24const_host_device_scalarIT1_EES1_PKS1_PKT2_SA_S7_PKT4_PKT5_S5_PT6_21rocsparse_index_base_b.private_seg_size, 0
	.set _ZN9rocsparseL18bsrxmvn_4x4_kernelILj128ELj4EdiidddEEvT3_20rocsparse_direction_NS_24const_host_device_scalarIT1_EES1_PKS1_PKT2_SA_S7_PKT4_PKT5_S5_PT6_21rocsparse_index_base_b.uses_vcc, 1
	.set _ZN9rocsparseL18bsrxmvn_4x4_kernelILj128ELj4EdiidddEEvT3_20rocsparse_direction_NS_24const_host_device_scalarIT1_EES1_PKS1_PKT2_SA_S7_PKT4_PKT5_S5_PT6_21rocsparse_index_base_b.uses_flat_scratch, 0
	.set _ZN9rocsparseL18bsrxmvn_4x4_kernelILj128ELj4EdiidddEEvT3_20rocsparse_direction_NS_24const_host_device_scalarIT1_EES1_PKS1_PKT2_SA_S7_PKT4_PKT5_S5_PT6_21rocsparse_index_base_b.has_dyn_sized_stack, 0
	.set _ZN9rocsparseL18bsrxmvn_4x4_kernelILj128ELj4EdiidddEEvT3_20rocsparse_direction_NS_24const_host_device_scalarIT1_EES1_PKS1_PKT2_SA_S7_PKT4_PKT5_S5_PT6_21rocsparse_index_base_b.has_recursion, 0
	.set _ZN9rocsparseL18bsrxmvn_4x4_kernelILj128ELj4EdiidddEEvT3_20rocsparse_direction_NS_24const_host_device_scalarIT1_EES1_PKS1_PKT2_SA_S7_PKT4_PKT5_S5_PT6_21rocsparse_index_base_b.has_indirect_call, 0
	.section	.AMDGPU.csdata,"",@progbits
; Kernel info:
; codeLenInByte = 5568
; TotalNumSgprs: 16
; NumVgprs: 129
; ScratchSize: 0
; MemoryBound: 1
; FloatMode: 240
; IeeeMode: 1
; LDSByteSize: 0 bytes/workgroup (compile time only)
; SGPRBlocks: 0
; VGPRBlocks: 16
; NumSGPRsForWavesPerEU: 16
; NumVGPRsForWavesPerEU: 129
; Occupancy: 10
; WaveLimiterHint : 1
; COMPUTE_PGM_RSRC2:SCRATCH_EN: 0
; COMPUTE_PGM_RSRC2:USER_SGPR: 2
; COMPUTE_PGM_RSRC2:TRAP_HANDLER: 0
; COMPUTE_PGM_RSRC2:TGID_X_EN: 1
; COMPUTE_PGM_RSRC2:TGID_Y_EN: 0
; COMPUTE_PGM_RSRC2:TGID_Z_EN: 0
; COMPUTE_PGM_RSRC2:TIDIG_COMP_CNT: 0
	.section	.text._ZN9rocsparseL18bsrxmvn_4x4_kernelILj128ELj8EdiidddEEvT3_20rocsparse_direction_NS_24const_host_device_scalarIT1_EES1_PKS1_PKT2_SA_S7_PKT4_PKT5_S5_PT6_21rocsparse_index_base_b,"axG",@progbits,_ZN9rocsparseL18bsrxmvn_4x4_kernelILj128ELj8EdiidddEEvT3_20rocsparse_direction_NS_24const_host_device_scalarIT1_EES1_PKS1_PKT2_SA_S7_PKT4_PKT5_S5_PT6_21rocsparse_index_base_b,comdat
	.globl	_ZN9rocsparseL18bsrxmvn_4x4_kernelILj128ELj8EdiidddEEvT3_20rocsparse_direction_NS_24const_host_device_scalarIT1_EES1_PKS1_PKT2_SA_S7_PKT4_PKT5_S5_PT6_21rocsparse_index_base_b ; -- Begin function _ZN9rocsparseL18bsrxmvn_4x4_kernelILj128ELj8EdiidddEEvT3_20rocsparse_direction_NS_24const_host_device_scalarIT1_EES1_PKS1_PKT2_SA_S7_PKT4_PKT5_S5_PT6_21rocsparse_index_base_b
	.p2align	8
	.type	_ZN9rocsparseL18bsrxmvn_4x4_kernelILj128ELj8EdiidddEEvT3_20rocsparse_direction_NS_24const_host_device_scalarIT1_EES1_PKS1_PKT2_SA_S7_PKT4_PKT5_S5_PT6_21rocsparse_index_base_b,@function
_ZN9rocsparseL18bsrxmvn_4x4_kernelILj128ELj8EdiidddEEvT3_20rocsparse_direction_NS_24const_host_device_scalarIT1_EES1_PKS1_PKT2_SA_S7_PKT4_PKT5_S5_PT6_21rocsparse_index_base_b: ; @_ZN9rocsparseL18bsrxmvn_4x4_kernelILj128ELj8EdiidddEEvT3_20rocsparse_direction_NS_24const_host_device_scalarIT1_EES1_PKS1_PKT2_SA_S7_PKT4_PKT5_S5_PT6_21rocsparse_index_base_b
; %bb.0:
	s_clause 0x2
	s_load_b64 s[12:13], s[0:1], 0x58
	s_load_b64 s[4:5], s[0:1], 0x8
	;; [unrolled: 1-line block ×3, first 2 shown]
	s_wait_kmcnt 0x0
	s_bitcmp1_b32 s13, 0
	v_dual_mov_b32 v2, s4 :: v_dual_mov_b32 v3, s5
	s_cselect_b32 s6, -1, 0
	s_delay_alu instid0(SALU_CYCLE_1)
	s_and_b32 vcc_lo, exec_lo, s6
	s_xor_b32 s6, s6, -1
	s_cbranch_vccnz .LBB6_2
; %bb.1:
	v_dual_mov_b32 v1, s4 :: v_dual_mov_b32 v2, s5
	flat_load_b64 v[2:3], v[1:2]
.LBB6_2:
	v_dual_mov_b32 v9, s3 :: v_dual_mov_b32 v8, s2
	s_and_not1_b32 vcc_lo, exec_lo, s6
	s_cbranch_vccnz .LBB6_4
; %bb.3:
	v_dual_mov_b32 v5, s3 :: v_dual_mov_b32 v4, s2
	flat_load_b64 v[8:9], v[4:5]
.LBB6_4:
	s_wait_loadcnt_dscnt 0x0
	v_cmp_neq_f64_e32 vcc_lo, 0, v[2:3]
	v_cmp_neq_f64_e64 s2, 1.0, v[8:9]
	s_or_b32 s2, vcc_lo, s2
	s_wait_alu 0xfffe
	s_and_saveexec_b32 s3, s2
	s_cbranch_execz .LBB6_10
; %bb.5:
	s_clause 0x1
	s_load_b64 s[4:5], s[0:1], 0x18
	s_load_b64 s[2:3], s[0:1], 0x0
	v_lshrrev_b32_e32 v1, 3, v0
	s_delay_alu instid0(VALU_DEP_1)
	v_lshl_or_b32 v10, ttmp9, 4, v1
	s_wait_kmcnt 0x0
	s_cmp_lg_u64 s[4:5], 0
	s_cbranch_scc0 .LBB6_11
; %bb.6:
	s_load_b32 s6, s[0:1], 0x10
	s_mov_b32 s7, 0
                                        ; implicit-def: $vgpr1
	s_wait_kmcnt 0x0
	v_cmp_gt_i32_e32 vcc_lo, s6, v10
	s_mov_b32 s6, 0
	s_and_saveexec_b32 s8, vcc_lo
	s_delay_alu instid0(SALU_CYCLE_1)
	s_xor_b32 s8, exec_lo, s8
	s_cbranch_execz .LBB6_8
; %bb.7:
	v_ashrrev_i32_e32 v11, 31, v10
	s_mov_b32 s6, exec_lo
	s_delay_alu instid0(VALU_DEP_1) | instskip(NEXT) | instid1(VALU_DEP_1)
	v_lshlrev_b64_e32 v[4:5], 2, v[10:11]
	v_add_co_u32 v4, vcc_lo, s4, v4
	s_delay_alu instid0(VALU_DEP_1)
	v_add_co_ci_u32_e64 v5, null, s5, v5, vcc_lo
	global_load_b32 v1, v[4:5], off
	s_wait_loadcnt 0x0
	v_subrev_nc_u32_e32 v1, s12, v1
.LBB6_8:
	s_or_b32 exec_lo, exec_lo, s8
	s_delay_alu instid0(SALU_CYCLE_1)
	s_and_b32 vcc_lo, exec_lo, s7
	s_wait_alu 0xfffe
	s_cbranch_vccz .LBB6_12
.LBB6_9:
	v_cmp_gt_i32_e32 vcc_lo, s2, v10
	s_and_not1_b32 s2, s6, exec_lo
	s_and_b32 s4, vcc_lo, exec_lo
	s_wait_alu 0xfffe
	s_or_b32 s6, s2, s4
	s_wait_alu 0xfffe
	s_and_b32 exec_lo, exec_lo, s6
	s_cbranch_execnz .LBB6_13
.LBB6_10:
	s_nop 0
	s_sendmsg sendmsg(MSG_DEALLOC_VGPRS)
	s_endpgm
.LBB6_11:
	s_mov_b32 s6, 0
                                        ; implicit-def: $vgpr1
	s_cbranch_execnz .LBB6_9
.LBB6_12:
	v_mov_b32_e32 v10, v1
	s_and_b32 exec_lo, exec_lo, s6
	s_cbranch_execz .LBB6_10
.LBB6_13:
	s_load_b256 s[4:11], s[0:1], 0x20
	s_delay_alu instid0(VALU_DEP_1) | instskip(SKIP_1) | instid1(VALU_DEP_2)
	v_ashrrev_i32_e32 v11, 31, v10
	v_and_b32_e32 v21, 7, v0
	v_lshlrev_b64_e32 v[4:5], 2, v[10:11]
	s_wait_kmcnt 0x0
	s_delay_alu instid0(VALU_DEP_1) | instskip(SKIP_1) | instid1(VALU_DEP_2)
	v_add_co_u32 v6, vcc_lo, s4, v4
	s_wait_alu 0xfffd
	v_add_co_ci_u32_e64 v7, null, s5, v5, vcc_lo
	v_add_co_u32 v1, vcc_lo, s6, v4
	s_wait_alu 0xfffd
	v_add_co_ci_u32_e64 v4, null, s7, v5, vcc_lo
	global_load_b32 v23, v[6:7], off
	v_add_co_u32 v6, vcc_lo, v6, 4
	s_wait_alu 0xfffd
	v_add_co_ci_u32_e64 v5, null, 0, v7, vcc_lo
	s_cmp_eq_u64 s[6:7], 0
	s_load_b64 s[4:5], s[0:1], 0x40
	s_cselect_b32 vcc_lo, -1, 0
	s_cmp_eq_u32 s3, 1
	s_wait_alu 0xfffe
	v_dual_cndmask_b32 v5, v4, v5 :: v_dual_cndmask_b32 v4, v1, v6
	global_load_b32 v6, v[4:5], off
	s_wait_loadcnt 0x1
	v_subrev_nc_u32_e32 v0, s12, v23
	s_delay_alu instid0(VALU_DEP_1) | instskip(NEXT) | instid1(VALU_DEP_1)
	v_add_nc_u32_e32 v0, v0, v21
	v_ashrrev_i32_e32 v1, 31, v0
	s_wait_loadcnt 0x0
	v_subrev_nc_u32_e32 v22, s12, v6
	s_delay_alu instid0(VALU_DEP_2) | instskip(NEXT) | instid1(VALU_DEP_2)
	v_lshlrev_b64_e32 v[4:5], 7, v[0:1]
	v_cmp_lt_i32_e64 s2, v0, v22
	s_delay_alu instid0(VALU_DEP_2) | instskip(SKIP_1) | instid1(VALU_DEP_3)
	v_add_co_u32 v4, vcc_lo, s10, v4
	s_wait_alu 0xfffd
	v_add_co_ci_u32_e64 v5, null, s11, v5, vcc_lo
	s_cbranch_scc1 .LBB6_25
; %bb.14:
	v_dual_mov_b32 v15, 0 :: v_dual_mov_b32 v6, 0
	v_dual_mov_b32 v11, 0 :: v_dual_mov_b32 v16, 0
	v_mov_b32_e32 v13, 0
	v_dual_mov_b32 v7, 0 :: v_dual_mov_b32 v12, 0
	v_mov_b32_e32 v14, 0
	s_and_saveexec_b32 s6, s2
	s_cbranch_execz .LBB6_24
; %bb.15:
	v_add_nc_u32_e32 v1, v23, v21
	v_mov_b32_e32 v13, 0
	v_dual_mov_b32 v14, 0 :: v_dual_mov_b32 v15, 0
	v_not_b32_e32 v6, v23
	s_delay_alu instid0(VALU_DEP_4) | instskip(SKIP_2) | instid1(VALU_DEP_3)
	v_subrev_nc_u32_e32 v1, s12, v1
	v_mov_b32_e32 v11, 0
	v_dual_mov_b32 v12, 0 :: v_dual_mov_b32 v19, v0
	v_dual_mov_b32 v16, 0 :: v_dual_add_nc_u32 v1, 8, v1
	s_delay_alu instid0(VALU_DEP_1) | instskip(NEXT) | instid1(VALU_DEP_1)
	v_max_i32_e32 v1, v1, v22
	v_add3_u32 v1, s12, v1, v6
	v_mov_b32_e32 v6, 0
	v_mov_b32_e32 v7, 0
	s_delay_alu instid0(VALU_DEP_3) | instskip(NEXT) | instid1(VALU_DEP_1)
	v_sub_nc_u32_e32 v1, v1, v21
	v_and_b32_e32 v17, 24, v1
	s_delay_alu instid0(VALU_DEP_1)
	v_cmp_ne_u32_e32 vcc_lo, 24, v17
	v_dual_mov_b32 v18, v5 :: v_dual_mov_b32 v17, v4
	s_and_saveexec_b32 s3, vcc_lo
	s_cbranch_execz .LBB6_19
; %bb.16:
	v_lshrrev_b32_e32 v6, 3, v1
	v_mov_b32_e32 v15, 0
	v_mov_b32_e32 v13, 0
	s_mov_b32 s7, 0
	s_delay_alu instid0(VALU_DEP_3) | instskip(SKIP_3) | instid1(VALU_DEP_4)
	v_dual_mov_b32 v18, v5 :: v_dual_add_nc_u32 v11, 1, v6
	v_mov_b32_e32 v6, 0
	v_mov_b32_e32 v7, 0
	v_dual_mov_b32 v17, v4 :: v_dual_mov_b32 v16, 0
	v_and_b32_e32 v19, 3, v11
	v_dual_mov_b32 v11, 0 :: v_dual_mov_b32 v14, 0
	v_mov_b32_e32 v12, 0
	s_delay_alu instid0(VALU_DEP_3)
	v_sub_nc_u32_e32 v24, 0, v19
	v_mov_b32_e32 v19, v0
.LBB6_17:                               ; =>This Inner Loop Header: Depth=1
	s_delay_alu instid0(VALU_DEP_1) | instskip(NEXT) | instid1(VALU_DEP_3)
	v_ashrrev_i32_e32 v20, 31, v19
	v_add_co_u32 v24, s10, v24, 1
	s_wait_alu 0xfffe
	s_or_b32 s7, s10, s7
	s_delay_alu instid0(VALU_DEP_2) | instskip(SKIP_1) | instid1(VALU_DEP_2)
	v_lshlrev_b64_e32 v[25:26], 2, v[19:20]
	v_add_nc_u32_e32 v19, 8, v19
	v_add_co_u32 v25, vcc_lo, s8, v25
	s_wait_alu 0xfffd
	s_delay_alu instid0(VALU_DEP_3)
	v_add_co_ci_u32_e64 v26, null, s9, v26, vcc_lo
	global_load_b32 v20, v[25:26], off
	s_clause 0x6
	global_load_b128 v[25:28], v[17:18], off offset:48
	global_load_b128 v[29:32], v[17:18], off offset:32
	;; [unrolled: 1-line block ×3, first 2 shown]
	global_load_b128 v[37:40], v[17:18], off
	global_load_b128 v[41:44], v[17:18], off offset:112
	global_load_b128 v[45:48], v[17:18], off offset:96
	;; [unrolled: 1-line block ×3, first 2 shown]
	s_wait_loadcnt 0x7
	v_subrev_nc_u32_e32 v20, s12, v20
	s_delay_alu instid0(VALU_DEP_1) | instskip(NEXT) | instid1(VALU_DEP_1)
	v_lshlrev_b32_e32 v53, 2, v20
	v_ashrrev_i32_e32 v54, 31, v53
	s_delay_alu instid0(VALU_DEP_1) | instskip(SKIP_1) | instid1(VALU_DEP_1)
	v_lshlrev_b64_e32 v[53:54], 3, v[53:54]
	s_wait_kmcnt 0x0
	v_add_co_u32 v61, vcc_lo, s4, v53
	s_wait_alu 0xfffd
	s_delay_alu instid0(VALU_DEP_2)
	v_add_co_ci_u32_e64 v62, null, s5, v54, vcc_lo
	global_load_b128 v[53:56], v[17:18], off offset:64
	s_clause 0x1
	global_load_b128 v[57:60], v[61:62], off
	global_load_b128 v[61:64], v[61:62], off offset:16
	v_add_co_u32 v17, vcc_lo, 0x400, v17
	s_wait_alu 0xfffd
	v_add_co_ci_u32_e64 v18, null, 0, v18, vcc_lo
	s_wait_loadcnt 0x1
	v_fma_f64 v[13:14], v[37:38], v[57:58], v[13:14]
	v_fma_f64 v[15:16], v[29:30], v[57:58], v[15:16]
	v_fma_f64 v[11:12], v[53:54], v[57:58], v[11:12]
	v_fma_f64 v[6:7], v[45:46], v[57:58], v[6:7]
	s_delay_alu instid0(VALU_DEP_4) | instskip(NEXT) | instid1(VALU_DEP_4)
	v_fma_f64 v[13:14], v[39:40], v[59:60], v[13:14]
	v_fma_f64 v[15:16], v[31:32], v[59:60], v[15:16]
	s_delay_alu instid0(VALU_DEP_4) | instskip(NEXT) | instid1(VALU_DEP_4)
	v_fma_f64 v[11:12], v[55:56], v[59:60], v[11:12]
	v_fma_f64 v[6:7], v[47:48], v[59:60], v[6:7]
	s_wait_loadcnt 0x0
	s_delay_alu instid0(VALU_DEP_4) | instskip(NEXT) | instid1(VALU_DEP_4)
	v_fma_f64 v[13:14], v[33:34], v[61:62], v[13:14]
	v_fma_f64 v[15:16], v[25:26], v[61:62], v[15:16]
	s_delay_alu instid0(VALU_DEP_4) | instskip(NEXT) | instid1(VALU_DEP_4)
	v_fma_f64 v[11:12], v[49:50], v[61:62], v[11:12]
	v_fma_f64 v[6:7], v[41:42], v[61:62], v[6:7]
	;; [unrolled: 3-line block ×4, first 2 shown]
	s_wait_alu 0xfffe
	s_and_not1_b32 exec_lo, exec_lo, s7
	s_cbranch_execnz .LBB6_17
; %bb.18:
	s_or_b32 exec_lo, exec_lo, s7
.LBB6_19:
	s_wait_alu 0xfffe
	s_or_b32 exec_lo, exec_lo, s3
	s_delay_alu instid0(SALU_CYCLE_1)
	s_mov_b32 s7, exec_lo
	v_cmpx_lt_u32_e32 23, v1
	s_cbranch_execz .LBB6_23
; %bb.20:
	s_mov_b32 s10, 0
.LBB6_21:                               ; =>This Inner Loop Header: Depth=1
	v_ashrrev_i32_e32 v20, 31, v19
	s_delay_alu instid0(VALU_DEP_1) | instskip(SKIP_1) | instid1(VALU_DEP_2)
	v_lshlrev_b64_e32 v[24:25], 2, v[19:20]
	v_add_nc_u32_e32 v19, 32, v19
	v_add_co_u32 v56, vcc_lo, s8, v24
	s_wait_alu 0xfffd
	s_delay_alu instid0(VALU_DEP_3)
	v_add_co_ci_u32_e64 v57, null, s9, v25, vcc_lo
	global_load_b32 v1, v[56:57], off
	s_clause 0x7
	global_load_b128 v[24:27], v[17:18], off offset:48
	global_load_b128 v[28:31], v[17:18], off offset:32
	;; [unrolled: 1-line block ×3, first 2 shown]
	global_load_b128 v[36:39], v[17:18], off
	global_load_b128 v[40:43], v[17:18], off offset:112
	global_load_b128 v[44:47], v[17:18], off offset:96
	;; [unrolled: 1-line block ×4, first 2 shown]
	s_clause 0x2
	global_load_b32 v20, v[56:57], off offset:32
	global_load_b32 v126, v[56:57], off offset:64
	;; [unrolled: 1-line block ×3, first 2 shown]
	s_wait_loadcnt 0xb
	v_subrev_nc_u32_e32 v1, s12, v1
	s_delay_alu instid0(VALU_DEP_1) | instskip(SKIP_2) | instid1(VALU_DEP_2)
	v_lshlrev_b32_e32 v56, 2, v1
	s_wait_loadcnt 0x2
	v_subrev_nc_u32_e32 v1, s12, v20
	v_ashrrev_i32_e32 v57, 31, v56
	s_delay_alu instid0(VALU_DEP_2) | instskip(NEXT) | instid1(VALU_DEP_2)
	v_lshlrev_b32_e32 v116, 2, v1
	v_lshlrev_b64_e32 v[56:57], 3, v[56:57]
	s_wait_loadcnt 0x1
	v_subrev_nc_u32_e32 v1, s12, v126
	s_delay_alu instid0(VALU_DEP_3) | instskip(SKIP_1) | instid1(VALU_DEP_3)
	v_ashrrev_i32_e32 v117, 31, v116
	s_wait_kmcnt 0x0
	v_add_co_u32 v68, vcc_lo, s4, v56
	s_wait_alu 0xfffd
	v_add_co_ci_u32_e64 v69, null, s5, v57, vcc_lo
	v_lshlrev_b64_e32 v[116:117], 3, v[116:117]
	global_load_b128 v[56:59], v[68:69], off
	s_clause 0x1
	global_load_b128 v[60:63], v[17:18], off offset:1072
	global_load_b128 v[64:67], v[17:18], off offset:1056
	;; [unrolled: 1-line block ×3, first 2 shown]
	s_clause 0xa
	global_load_b128 v[72:75], v[17:18], off offset:1040
	global_load_b128 v[76:79], v[17:18], off offset:1024
	;; [unrolled: 1-line block ×11, first 2 shown]
	v_add_co_u32 v120, vcc_lo, s4, v116
	s_wait_alu 0xfffd
	v_add_co_ci_u32_e64 v121, null, s5, v117, vcc_lo
	global_load_b128 v[116:119], v[120:121], off
	s_wait_loadcnt 0xf
	v_fma_f64 v[13:14], v[36:37], v[56:57], v[13:14]
	v_fma_f64 v[11:12], v[52:53], v[56:57], v[11:12]
	;; [unrolled: 1-line block ×3, first 2 shown]
	s_delay_alu instid0(VALU_DEP_3)
	v_fma_f64 v[122:123], v[38:39], v[58:59], v[13:14]
	v_fma_f64 v[13:14], v[28:29], v[56:57], v[15:16]
	v_lshlrev_b32_e32 v28, 2, v1
	global_load_b128 v[36:39], v[17:18], off offset:2144
	v_fma_f64 v[11:12], v[54:55], v[58:59], v[11:12]
	v_fma_f64 v[6:7], v[46:47], v[58:59], v[6:7]
	v_subrev_nc_u32_e32 v1, s12, v128
	v_ashrrev_i32_e32 v29, 31, v28
	global_load_b128 v[52:55], v[17:18], off offset:2112
	v_lshlrev_b64_e32 v[28:29], 3, v[28:29]
	s_delay_alu instid0(VALU_DEP_1) | instskip(SKIP_1) | instid1(VALU_DEP_2)
	v_add_co_u32 v126, vcc_lo, s4, v28
	s_wait_alu 0xfffd
	v_add_co_ci_u32_e64 v127, null, s5, v29, vcc_lo
	s_wait_loadcnt 0xe
	v_fma_f64 v[32:33], v[32:33], v[68:69], v[122:123]
	v_fma_f64 v[124:125], v[30:31], v[58:59], v[13:14]
	global_load_b128 v[28:31], v[120:121], off offset:16
	global_load_b128 v[13:16], v[17:18], off offset:2128
	s_clause 0x1
	global_load_b128 v[44:47], v[126:127], off
	global_load_b128 v[56:59], v[126:127], off offset:16
	v_fma_f64 v[11:12], v[48:49], v[68:69], v[11:12]
	v_fma_f64 v[6:7], v[40:41], v[68:69], v[6:7]
	v_lshlrev_b32_e32 v40, 2, v1
	s_delay_alu instid0(VALU_DEP_1) | instskip(NEXT) | instid1(VALU_DEP_1)
	v_ashrrev_i32_e32 v41, 31, v40
	v_lshlrev_b64_e32 v[40:41], 3, v[40:41]
	v_fma_f64 v[120:121], v[34:35], v[70:71], v[32:33]
	v_fma_f64 v[24:25], v[24:25], v[68:69], v[124:125]
	s_delay_alu instid0(VALU_DEP_3) | instskip(SKIP_1) | instid1(VALU_DEP_4)
	v_add_co_u32 v124, vcc_lo, s4, v40
	s_wait_alu 0xfffd
	v_add_co_ci_u32_e64 v125, null, s5, v41, vcc_lo
	v_fma_f64 v[11:12], v[50:51], v[70:71], v[11:12]
	v_fma_f64 v[6:7], v[42:43], v[70:71], v[6:7]
	s_clause 0x1
	global_load_b128 v[32:35], v[17:18], off offset:3104
	global_load_b128 v[48:51], v[17:18], off offset:3168
	v_cmp_ge_i32_e32 vcc_lo, v19, v22
	s_wait_alu 0xfffe
	s_or_b32 s10, vcc_lo, s10
	s_wait_loadcnt 0x8
	v_fma_f64 v[76:77], v[76:77], v[116:117], v[120:121]
	v_fma_f64 v[122:123], v[26:27], v[70:71], v[24:25]
	s_clause 0x1
	global_load_b128 v[24:27], v[17:18], off offset:3072
	global_load_b128 v[40:43], v[17:18], off offset:3136
	global_load_b128 v[68:71], v[124:125], off
	v_fma_f64 v[11:12], v[92:93], v[116:117], v[11:12]
	v_fma_f64 v[6:7], v[84:85], v[116:117], v[6:7]
	;; [unrolled: 1-line block ×4, first 2 shown]
	s_delay_alu instid0(VALU_DEP_4) | instskip(NEXT) | instid1(VALU_DEP_4)
	v_fma_f64 v[11:12], v[94:95], v[118:119], v[11:12]
	v_fma_f64 v[6:7], v[86:87], v[118:119], v[6:7]
	s_delay_alu instid0(VALU_DEP_3)
	v_fma_f64 v[122:123], v[66:67], v[118:119], v[64:65]
	s_clause 0x3
	global_load_b128 v[64:67], v[17:18], off offset:3120
	global_load_b128 v[76:79], v[17:18], off offset:3088
	global_load_b128 v[84:87], v[17:18], off offset:3184
	global_load_b128 v[92:95], v[17:18], off offset:3152
	global_load_b128 v[116:119], v[124:125], off offset:16
	v_add_co_u32 v17, s3, 0x1000, v17
	s_wait_alu 0xf1ff
	v_add_co_ci_u32_e64 v18, null, 0, v18, s3
	s_wait_loadcnt 0xd
	v_fma_f64 v[72:73], v[72:73], v[28:29], v[120:121]
	v_fma_f64 v[60:61], v[60:61], v[28:29], v[122:123]
	;; [unrolled: 1-line block ×4, first 2 shown]
	s_delay_alu instid0(VALU_DEP_4) | instskip(NEXT) | instid1(VALU_DEP_4)
	v_fma_f64 v[28:29], v[74:75], v[30:31], v[72:73]
	v_fma_f64 v[60:61], v[62:63], v[30:31], v[60:61]
	s_delay_alu instid0(VALU_DEP_4) | instskip(NEXT) | instid1(VALU_DEP_4)
	v_fma_f64 v[11:12], v[90:91], v[30:31], v[11:12]
	v_fma_f64 v[6:7], v[82:83], v[30:31], v[6:7]
	s_wait_loadcnt 0xb
	s_delay_alu instid0(VALU_DEP_4) | instskip(NEXT) | instid1(VALU_DEP_4)
	v_fma_f64 v[28:29], v[108:109], v[44:45], v[28:29]
	v_fma_f64 v[30:31], v[100:101], v[44:45], v[60:61]
	s_delay_alu instid0(VALU_DEP_4) | instskip(NEXT) | instid1(VALU_DEP_4)
	v_fma_f64 v[11:12], v[52:53], v[44:45], v[11:12]
	v_fma_f64 v[6:7], v[36:37], v[44:45], v[6:7]
	s_delay_alu instid0(VALU_DEP_4) | instskip(NEXT) | instid1(VALU_DEP_4)
	v_fma_f64 v[28:29], v[110:111], v[46:47], v[28:29]
	v_fma_f64 v[30:31], v[102:103], v[46:47], v[30:31]
	s_delay_alu instid0(VALU_DEP_4) | instskip(NEXT) | instid1(VALU_DEP_4)
	v_fma_f64 v[11:12], v[54:55], v[46:47], v[11:12]
	v_fma_f64 v[6:7], v[38:39], v[46:47], v[6:7]
	s_wait_loadcnt 0xa
	s_delay_alu instid0(VALU_DEP_4) | instskip(NEXT) | instid1(VALU_DEP_4)
	v_fma_f64 v[28:29], v[104:105], v[56:57], v[28:29]
	v_fma_f64 v[30:31], v[96:97], v[56:57], v[30:31]
	s_delay_alu instid0(VALU_DEP_4) | instskip(NEXT) | instid1(VALU_DEP_4)
	v_fma_f64 v[11:12], v[13:14], v[56:57], v[11:12]
	v_fma_f64 v[6:7], v[112:113], v[56:57], v[6:7]
	;; [unrolled: 13-line block ×4, first 2 shown]
	s_delay_alu instid0(VALU_DEP_4) | instskip(NEXT) | instid1(VALU_DEP_4)
	v_fma_f64 v[13:14], v[78:79], v[118:119], v[13:14]
	v_fma_f64 v[15:16], v[66:67], v[118:119], v[15:16]
	s_delay_alu instid0(VALU_DEP_4) | instskip(NEXT) | instid1(VALU_DEP_4)
	v_fma_f64 v[11:12], v[94:95], v[118:119], v[11:12]
	v_fma_f64 v[6:7], v[86:87], v[118:119], v[6:7]
	s_wait_alu 0xfffe
	s_and_not1_b32 exec_lo, exec_lo, s10
	s_cbranch_execnz .LBB6_21
; %bb.22:
	s_or_b32 exec_lo, exec_lo, s10
.LBB6_23:
	s_wait_alu 0xfffe
	s_or_b32 exec_lo, exec_lo, s7
.LBB6_24:
	s_wait_alu 0xfffe
	s_or_b32 exec_lo, exec_lo, s6
	s_cbranch_execz .LBB6_26
	s_branch .LBB6_37
.LBB6_25:
                                        ; implicit-def: $vgpr6_vgpr7
                                        ; implicit-def: $vgpr11_vgpr12
                                        ; implicit-def: $vgpr15_vgpr16
                                        ; implicit-def: $vgpr13_vgpr14
.LBB6_26:
	v_dual_mov_b32 v15, 0 :: v_dual_mov_b32 v6, 0
	v_dual_mov_b32 v11, 0 :: v_dual_mov_b32 v16, 0
	v_mov_b32_e32 v13, 0
	v_dual_mov_b32 v7, 0 :: v_dual_mov_b32 v12, 0
	v_mov_b32_e32 v14, 0
	s_and_saveexec_b32 s3, s2
	s_cbranch_execz .LBB6_36
; %bb.27:
	v_add_nc_u32_e32 v1, v23, v21
	v_mov_b32_e32 v13, 0
	v_dual_mov_b32 v14, 0 :: v_dual_mov_b32 v15, 0
	v_not_b32_e32 v6, v23
	s_delay_alu instid0(VALU_DEP_4) | instskip(SKIP_3) | instid1(VALU_DEP_3)
	v_subrev_nc_u32_e32 v1, s12, v1
	v_mov_b32_e32 v11, 0
	s_mov_b32 s2, exec_lo
	v_mov_b32_e32 v16, 0
	v_dual_mov_b32 v12, 0 :: v_dual_add_nc_u32 v1, 8, v1
	s_delay_alu instid0(VALU_DEP_1) | instskip(NEXT) | instid1(VALU_DEP_1)
	v_max_i32_e32 v1, v1, v22
	v_add3_u32 v1, s12, v1, v6
	v_mov_b32_e32 v6, 0
	v_mov_b32_e32 v7, 0
	s_delay_alu instid0(VALU_DEP_3) | instskip(NEXT) | instid1(VALU_DEP_1)
	v_sub_nc_u32_e32 v17, v1, v21
	v_and_b32_e32 v1, 24, v17
	s_delay_alu instid0(VALU_DEP_1)
	v_cmpx_ne_u32_e32 24, v1
	s_cbranch_execz .LBB6_31
; %bb.28:
	v_lshrrev_b32_e32 v1, 3, v17
	v_mov_b32_e32 v11, 0
	v_mov_b32_e32 v15, 0
	;; [unrolled: 1-line block ×3, first 2 shown]
	s_delay_alu instid0(VALU_DEP_4) | instskip(SKIP_3) | instid1(VALU_DEP_3)
	v_dual_mov_b32 v14, 0 :: v_dual_add_nc_u32 v1, 1, v1
	v_mov_b32_e32 v6, 0
	v_dual_mov_b32 v7, 0 :: v_dual_mov_b32 v16, 0
	s_mov_b32 s6, 0
	v_dual_mov_b32 v12, 0 :: v_dual_and_b32 v1, 3, v1
	s_delay_alu instid0(VALU_DEP_1)
	v_sub_nc_u32_e32 v18, 0, v1
.LBB6_29:                               ; =>This Inner Loop Header: Depth=1
	v_ashrrev_i32_e32 v1, 31, v0
	s_delay_alu instid0(VALU_DEP_2) | instskip(SKIP_2) | instid1(VALU_DEP_2)
	v_add_co_u32 v18, s7, v18, 1
	s_wait_alu 0xfffe
	s_or_b32 s6, s7, s6
	v_lshlrev_b64_e32 v[19:20], 2, v[0:1]
	v_add_nc_u32_e32 v0, 8, v0
	s_delay_alu instid0(VALU_DEP_2) | instskip(SKIP_1) | instid1(VALU_DEP_3)
	v_add_co_u32 v19, vcc_lo, s8, v19
	s_wait_alu 0xfffd
	v_add_co_ci_u32_e64 v20, null, s9, v20, vcc_lo
	global_load_b32 v1, v[19:20], off
	global_load_b128 v[23:26], v[4:5], off offset:16
	s_wait_loadcnt 0x1
	v_subrev_nc_u32_e32 v1, s12, v1
	s_delay_alu instid0(VALU_DEP_1) | instskip(NEXT) | instid1(VALU_DEP_1)
	v_lshlrev_b32_e32 v19, 2, v1
	v_ashrrev_i32_e32 v20, 31, v19
	s_delay_alu instid0(VALU_DEP_1) | instskip(SKIP_1) | instid1(VALU_DEP_1)
	v_lshlrev_b64_e32 v[19:20], 3, v[19:20]
	s_wait_kmcnt 0x0
	v_add_co_u32 v19, vcc_lo, s4, v19
	s_wait_alu 0xfffd
	s_delay_alu instid0(VALU_DEP_2)
	v_add_co_ci_u32_e64 v20, null, s5, v20, vcc_lo
	global_load_b128 v[27:30], v[4:5], off
	s_clause 0x1
	global_load_b128 v[31:34], v[19:20], off
	global_load_b128 v[35:38], v[19:20], off offset:16
	s_clause 0x5
	global_load_b128 v[39:42], v[4:5], off offset:32
	global_load_b128 v[43:46], v[4:5], off offset:48
	;; [unrolled: 1-line block ×6, first 2 shown]
	v_add_co_u32 v4, vcc_lo, 0x400, v4
	s_wait_alu 0xfffd
	v_add_co_ci_u32_e64 v5, null, 0, v5, vcc_lo
	s_wait_loadcnt 0x7
	v_fma_f64 v[13:14], v[27:28], v[31:32], v[13:14]
	v_fma_f64 v[15:16], v[29:30], v[31:32], v[15:16]
	;; [unrolled: 1-line block ×4, first 2 shown]
	s_wait_loadcnt 0x5
	s_delay_alu instid0(VALU_DEP_4) | instskip(NEXT) | instid1(VALU_DEP_4)
	v_fma_f64 v[13:14], v[39:40], v[33:34], v[13:14]
	v_fma_f64 v[15:16], v[41:42], v[33:34], v[15:16]
	s_wait_loadcnt 0x4
	s_delay_alu instid0(VALU_DEP_4) | instskip(NEXT) | instid1(VALU_DEP_4)
	v_fma_f64 v[11:12], v[43:44], v[33:34], v[11:12]
	v_fma_f64 v[6:7], v[45:46], v[33:34], v[6:7]
	;; [unrolled: 4-line block ×6, first 2 shown]
	s_wait_alu 0xfffe
	s_and_not1_b32 exec_lo, exec_lo, s6
	s_cbranch_execnz .LBB6_29
; %bb.30:
	s_or_b32 exec_lo, exec_lo, s6
.LBB6_31:
	s_wait_alu 0xfffe
	s_or_b32 exec_lo, exec_lo, s2
	s_delay_alu instid0(SALU_CYCLE_1)
	s_mov_b32 s6, exec_lo
	v_cmpx_lt_u32_e32 23, v17
	s_cbranch_execz .LBB6_35
; %bb.32:
	s_mov_b32 s7, 0
.LBB6_33:                               ; =>This Inner Loop Header: Depth=1
	v_ashrrev_i32_e32 v1, 31, v0
	s_delay_alu instid0(VALU_DEP_1) | instskip(SKIP_1) | instid1(VALU_DEP_2)
	v_lshlrev_b64_e32 v[17:18], 2, v[0:1]
	v_add_nc_u32_e32 v0, 32, v0
	v_add_co_u32 v23, vcc_lo, s8, v17
	s_wait_alu 0xfffd
	s_delay_alu instid0(VALU_DEP_3)
	v_add_co_ci_u32_e64 v24, null, s9, v18, vcc_lo
	s_clause 0x2
	global_load_b32 v1, v[23:24], off
	global_load_b32 v63, v[23:24], off offset:32
	global_load_b32 v103, v[23:24], off offset:64
	global_load_b128 v[17:20], v[4:5], off offset:16
	global_load_b32 v117, v[23:24], off offset:96
	s_wait_loadcnt 0x4
	v_subrev_nc_u32_e32 v1, s12, v1
	s_delay_alu instid0(VALU_DEP_1) | instskip(SKIP_2) | instid1(VALU_DEP_2)
	v_lshlrev_b32_e32 v23, 2, v1
	s_wait_loadcnt 0x3
	v_subrev_nc_u32_e32 v1, s12, v63
	v_ashrrev_i32_e32 v24, 31, v23
	s_delay_alu instid0(VALU_DEP_2) | instskip(SKIP_2) | instid1(VALU_DEP_3)
	v_lshlrev_b32_e32 v63, 2, v1
	s_wait_loadcnt 0x2
	v_subrev_nc_u32_e32 v1, s12, v103
	v_lshlrev_b64_e32 v[23:24], 3, v[23:24]
	s_delay_alu instid0(VALU_DEP_3) | instskip(NEXT) | instid1(VALU_DEP_3)
	v_ashrrev_i32_e32 v64, 31, v63
	v_lshlrev_b32_e32 v103, 2, v1
	s_wait_loadcnt 0x0
	v_subrev_nc_u32_e32 v1, s12, v117
	s_delay_alu instid0(VALU_DEP_3)
	v_lshlrev_b64_e32 v[63:64], 3, v[63:64]
	s_wait_kmcnt 0x0
	v_add_co_u32 v47, vcc_lo, s4, v23
	s_wait_alu 0xfffd
	v_add_co_ci_u32_e64 v48, null, s5, v24, vcc_lo
	v_ashrrev_i32_e32 v104, 31, v103
	global_load_b128 v[23:26], v[4:5], off
	global_load_b128 v[27:30], v[47:48], off
	s_clause 0x3
	global_load_b128 v[31:34], v[4:5], off offset:32
	global_load_b128 v[35:38], v[4:5], off offset:48
	;; [unrolled: 1-line block ×5, first 2 shown]
	s_clause 0x2
	global_load_b128 v[51:54], v[4:5], off offset:96
	global_load_b128 v[55:58], v[4:5], off offset:112
	;; [unrolled: 1-line block ×3, first 2 shown]
	v_add_co_u32 v87, vcc_lo, s4, v63
	s_wait_alu 0xfffd
	v_add_co_ci_u32_e64 v88, null, s5, v64, vcc_lo
	global_load_b128 v[63:66], v[4:5], off offset:1024
	global_load_b128 v[67:70], v[87:88], off
	s_clause 0x3
	global_load_b128 v[71:74], v[4:5], off offset:1056
	global_load_b128 v[75:78], v[4:5], off offset:1072
	global_load_b128 v[79:82], v[4:5], off offset:1088
	global_load_b128 v[83:86], v[4:5], off offset:1104
	global_load_b128 v[87:90], v[87:88], off offset:16
	s_clause 0x2
	global_load_b128 v[91:94], v[4:5], off offset:1120
	global_load_b128 v[95:98], v[4:5], off offset:1136
	;; [unrolled: 1-line block ×3, first 2 shown]
	v_lshlrev_b64_e32 v[103:104], 3, v[103:104]
	s_delay_alu instid0(VALU_DEP_1) | instskip(SKIP_1) | instid1(VALU_DEP_2)
	v_add_co_u32 v111, vcc_lo, s4, v103
	s_wait_alu 0xfffd
	v_add_co_ci_u32_e64 v112, null, s5, v104, vcc_lo
	global_load_b128 v[103:106], v[4:5], off offset:2048
	global_load_b128 v[107:110], v[111:112], off
	s_wait_loadcnt 0x14
	v_fma_f64 v[23:24], v[23:24], v[27:28], v[13:14]
	v_fma_f64 v[25:26], v[25:26], v[27:28], v[15:16]
	;; [unrolled: 1-line block ×4, first 2 shown]
	s_clause 0x1
	global_load_b128 v[11:14], v[4:5], off offset:2080
	global_load_b128 v[15:18], v[4:5], off offset:2096
	s_wait_loadcnt 0x15
	v_fma_f64 v[19:20], v[31:32], v[29:30], v[23:24]
	v_fma_f64 v[115:116], v[33:34], v[29:30], v[25:26]
	s_wait_loadcnt 0x14
	v_fma_f64 v[35:36], v[35:36], v[29:30], v[113:114]
	v_fma_f64 v[6:7], v[37:38], v[29:30], v[6:7]
	s_clause 0x1
	global_load_b128 v[23:26], v[4:5], off offset:2112
	global_load_b128 v[27:30], v[4:5], off offset:2128
	;; [unrolled: 1-line block ×3, first 2 shown]
	s_wait_loadcnt 0x14
	v_fma_f64 v[19:20], v[39:40], v[47:48], v[19:20]
	v_fma_f64 v[111:112], v[41:42], v[47:48], v[115:116]
	;; [unrolled: 1-line block ×4, first 2 shown]
	s_clause 0x2
	global_load_b128 v[35:38], v[4:5], off offset:2144
	global_load_b128 v[39:42], v[4:5], off offset:2160
	;; [unrolled: 1-line block ×3, first 2 shown]
	v_lshlrev_b32_e32 v47, 2, v1
	s_delay_alu instid0(VALU_DEP_1) | instskip(NEXT) | instid1(VALU_DEP_1)
	v_ashrrev_i32_e32 v48, 31, v47
	v_lshlrev_b64_e32 v[47:48], 3, v[47:48]
	s_wait_loadcnt 0x16
	v_fma_f64 v[19:20], v[51:52], v[49:50], v[19:20]
	v_fma_f64 v[111:112], v[53:54], v[49:50], v[111:112]
	s_wait_loadcnt 0x15
	v_fma_f64 v[55:56], v[55:56], v[49:50], v[113:114]
	v_fma_f64 v[6:7], v[57:58], v[49:50], v[6:7]
	v_add_co_u32 v113, vcc_lo, s4, v47
	s_wait_alu 0xfffd
	v_add_co_ci_u32_e64 v114, null, s5, v48, vcc_lo
	global_load_b128 v[47:50], v[4:5], off offset:3072
	global_load_b128 v[51:54], v[113:114], off
	v_cmp_ge_i32_e32 vcc_lo, v0, v22
	s_wait_alu 0xfffe
	s_or_b32 s7, vcc_lo, s7
	s_wait_loadcnt 0x14
	v_fma_f64 v[19:20], v[63:64], v[67:68], v[19:20]
	v_fma_f64 v[63:64], v[65:66], v[67:68], v[111:112]
	;; [unrolled: 1-line block ×4, first 2 shown]
	s_clause 0x1
	global_load_b128 v[55:58], v[4:5], off offset:3104
	global_load_b128 v[59:62], v[4:5], off offset:3120
	s_wait_loadcnt 0x15
	v_fma_f64 v[19:20], v[71:72], v[69:70], v[19:20]
	v_fma_f64 v[111:112], v[73:74], v[69:70], v[63:64]
	s_wait_loadcnt 0x14
	v_fma_f64 v[75:76], v[75:76], v[69:70], v[65:66]
	v_fma_f64 v[6:7], v[77:78], v[69:70], v[6:7]
	s_clause 0x1
	global_load_b128 v[63:66], v[4:5], off offset:3136
	global_load_b128 v[67:70], v[4:5], off offset:3152
	;; [unrolled: 1-line block ×3, first 2 shown]
	s_wait_loadcnt 0x14
	v_fma_f64 v[19:20], v[79:80], v[87:88], v[19:20]
	v_fma_f64 v[111:112], v[81:82], v[87:88], v[111:112]
	;; [unrolled: 1-line block ×4, first 2 shown]
	s_clause 0x1
	global_load_b128 v[75:78], v[4:5], off offset:3168
	global_load_b128 v[79:82], v[4:5], off offset:3184
	v_add_co_u32 v4, s2, 0x1000, v4
	s_wait_alu 0xf1ff
	v_add_co_ci_u32_e64 v5, null, 0, v5, s2
	s_wait_loadcnt 0x15
	v_fma_f64 v[19:20], v[91:92], v[89:90], v[19:20]
	v_fma_f64 v[85:86], v[93:94], v[89:90], v[111:112]
	s_wait_loadcnt 0x14
	v_fma_f64 v[83:84], v[95:96], v[89:90], v[83:84]
	v_fma_f64 v[6:7], v[97:98], v[89:90], v[6:7]
	s_wait_loadcnt 0x11
	s_delay_alu instid0(VALU_DEP_4) | instskip(NEXT) | instid1(VALU_DEP_4)
	v_fma_f64 v[19:20], v[103:104], v[107:108], v[19:20]
	v_fma_f64 v[85:86], v[105:106], v[107:108], v[85:86]
	s_delay_alu instid0(VALU_DEP_4) | instskip(NEXT) | instid1(VALU_DEP_4)
	v_fma_f64 v[83:84], v[99:100], v[107:108], v[83:84]
	v_fma_f64 v[6:7], v[101:102], v[107:108], v[6:7]
	s_wait_loadcnt 0x10
	s_delay_alu instid0(VALU_DEP_4) | instskip(NEXT) | instid1(VALU_DEP_4)
	v_fma_f64 v[11:12], v[11:12], v[109:110], v[19:20]
	v_fma_f64 v[13:14], v[13:14], v[109:110], v[85:86]
	s_wait_loadcnt 0xf
	s_delay_alu instid0(VALU_DEP_4) | instskip(NEXT) | instid1(VALU_DEP_4)
	v_fma_f64 v[15:16], v[15:16], v[109:110], v[83:84]
	v_fma_f64 v[6:7], v[17:18], v[109:110], v[6:7]
	s_wait_loadcnt 0xc
	s_delay_alu instid0(VALU_DEP_4) | instskip(NEXT) | instid1(VALU_DEP_4)
	v_fma_f64 v[11:12], v[23:24], v[31:32], v[11:12]
	v_fma_f64 v[13:14], v[25:26], v[31:32], v[13:14]
	s_delay_alu instid0(VALU_DEP_4) | instskip(NEXT) | instid1(VALU_DEP_4)
	v_fma_f64 v[15:16], v[27:28], v[31:32], v[15:16]
	v_fma_f64 v[6:7], v[29:30], v[31:32], v[6:7]
	s_wait_loadcnt 0xb
	s_delay_alu instid0(VALU_DEP_4) | instskip(NEXT) | instid1(VALU_DEP_4)
	v_fma_f64 v[11:12], v[35:36], v[33:34], v[11:12]
	v_fma_f64 v[13:14], v[37:38], v[33:34], v[13:14]
	s_wait_loadcnt 0xa
	s_delay_alu instid0(VALU_DEP_4) | instskip(NEXT) | instid1(VALU_DEP_4)
	v_fma_f64 v[15:16], v[39:40], v[33:34], v[15:16]
	v_fma_f64 v[6:7], v[41:42], v[33:34], v[6:7]
	s_wait_loadcnt 0x7
	s_delay_alu instid0(VALU_DEP_4) | instskip(NEXT) | instid1(VALU_DEP_4)
	v_fma_f64 v[11:12], v[47:48], v[51:52], v[11:12]
	v_fma_f64 v[13:14], v[49:50], v[51:52], v[13:14]
	s_delay_alu instid0(VALU_DEP_4) | instskip(NEXT) | instid1(VALU_DEP_4)
	v_fma_f64 v[15:16], v[43:44], v[51:52], v[15:16]
	v_fma_f64 v[6:7], v[45:46], v[51:52], v[6:7]
	s_wait_loadcnt 0x6
	s_delay_alu instid0(VALU_DEP_4) | instskip(NEXT) | instid1(VALU_DEP_4)
	v_fma_f64 v[11:12], v[55:56], v[53:54], v[11:12]
	v_fma_f64 v[13:14], v[57:58], v[53:54], v[13:14]
	s_wait_loadcnt 0x5
	s_delay_alu instid0(VALU_DEP_4) | instskip(NEXT) | instid1(VALU_DEP_4)
	v_fma_f64 v[15:16], v[59:60], v[53:54], v[15:16]
	v_fma_f64 v[6:7], v[61:62], v[53:54], v[6:7]
	s_wait_loadcnt 0x2
	s_delay_alu instid0(VALU_DEP_4) | instskip(NEXT) | instid1(VALU_DEP_4)
	v_fma_f64 v[11:12], v[63:64], v[71:72], v[11:12]
	v_fma_f64 v[17:18], v[65:66], v[71:72], v[13:14]
	s_delay_alu instid0(VALU_DEP_4) | instskip(NEXT) | instid1(VALU_DEP_4)
	v_fma_f64 v[19:20], v[67:68], v[71:72], v[15:16]
	v_fma_f64 v[6:7], v[69:70], v[71:72], v[6:7]
	s_wait_loadcnt 0x1
	s_delay_alu instid0(VALU_DEP_4) | instskip(NEXT) | instid1(VALU_DEP_4)
	v_fma_f64 v[13:14], v[75:76], v[73:74], v[11:12]
	v_fma_f64 v[15:16], v[77:78], v[73:74], v[17:18]
	s_wait_loadcnt 0x0
	s_delay_alu instid0(VALU_DEP_4) | instskip(NEXT) | instid1(VALU_DEP_4)
	v_fma_f64 v[11:12], v[79:80], v[73:74], v[19:20]
	v_fma_f64 v[6:7], v[81:82], v[73:74], v[6:7]
	s_wait_alu 0xfffe
	s_and_not1_b32 exec_lo, exec_lo, s7
	s_cbranch_execnz .LBB6_33
; %bb.34:
	s_or_b32 exec_lo, exec_lo, s7
.LBB6_35:
	s_wait_alu 0xfffe
	s_or_b32 exec_lo, exec_lo, s6
.LBB6_36:
	s_wait_alu 0xfffe
	s_or_b32 exec_lo, exec_lo, s3
.LBB6_37:
	v_mbcnt_lo_u32_b32 v24, -1, 0
	s_delay_alu instid0(VALU_DEP_1) | instskip(NEXT) | instid1(VALU_DEP_1)
	v_xor_b32_e32 v0, 4, v24
	v_cmp_gt_i32_e32 vcc_lo, 32, v0
	s_wait_alu 0xfffd
	v_cndmask_b32_e32 v0, v24, v0, vcc_lo
	s_delay_alu instid0(VALU_DEP_1)
	v_lshlrev_b32_e32 v20, 2, v0
	ds_bpermute_b32 v0, v20, v13
	ds_bpermute_b32 v1, v20, v14
	;; [unrolled: 1-line block ×8, first 2 shown]
	s_wait_dscnt 0x6
	v_add_f64_e32 v[0:1], v[13:14], v[0:1]
	s_wait_dscnt 0x4
	v_add_f64_e32 v[4:5], v[15:16], v[4:5]
	;; [unrolled: 2-line block ×4, first 2 shown]
	v_xor_b32_e32 v6, 2, v24
	s_delay_alu instid0(VALU_DEP_1) | instskip(SKIP_2) | instid1(VALU_DEP_1)
	v_cmp_gt_i32_e32 vcc_lo, 32, v6
	s_wait_alu 0xfffd
	v_cndmask_b32_e32 v6, v24, v6, vcc_lo
	v_lshlrev_b32_e32 v11, 2, v6
	ds_bpermute_b32 v6, v11, v0
	ds_bpermute_b32 v7, v11, v1
	;; [unrolled: 1-line block ×8, first 2 shown]
	s_wait_dscnt 0x6
	v_add_f64_e32 v[11:12], v[0:1], v[6:7]
	s_wait_dscnt 0x4
	v_add_f64_e32 v[6:7], v[4:5], v[17:18]
	;; [unrolled: 2-line block ×3, first 2 shown]
	v_xor_b32_e32 v13, 1, v24
	s_wait_dscnt 0x0
	v_add_f64_e32 v[4:5], v[15:16], v[22:23]
	s_delay_alu instid0(VALU_DEP_2) | instskip(SKIP_3) | instid1(VALU_DEP_2)
	v_cmp_gt_i32_e32 vcc_lo, 32, v13
	s_wait_alu 0xfffd
	v_cndmask_b32_e32 v13, v24, v13, vcc_lo
	v_cmp_eq_u32_e32 vcc_lo, 7, v21
	v_lshlrev_b32_e32 v14, 2, v13
	ds_bpermute_b32 v19, v14, v11
	ds_bpermute_b32 v20, v14, v12
	;; [unrolled: 1-line block ×8, first 2 shown]
	s_and_b32 exec_lo, exec_lo, vcc_lo
	s_cbranch_execz .LBB6_10
; %bb.38:
	s_wait_dscnt 0x6
	v_add_f64_e32 v[11:12], v[11:12], v[19:20]
	s_wait_dscnt 0x4
	v_add_f64_e32 v[6:7], v[6:7], v[17:18]
	;; [unrolled: 2-line block ×4, first 2 shown]
	s_load_b64 s[0:1], s[0:1], 0x50
	v_lshlrev_b32_e32 v10, 2, v10
	s_mov_b32 s2, exec_lo
	v_mul_f64_e32 v[4:5], v[2:3], v[11:12]
	v_mul_f64_e32 v[6:7], v[2:3], v[6:7]
	;; [unrolled: 1-line block ×4, first 2 shown]
	v_cmpx_eq_f64_e32 0, v[8:9]
	s_wait_alu 0xfffe
	s_xor_b32 s2, exec_lo, s2
	s_cbranch_execz .LBB6_40
; %bb.39:
	v_ashrrev_i32_e32 v11, 31, v10
	s_delay_alu instid0(VALU_DEP_1) | instskip(SKIP_1) | instid1(VALU_DEP_1)
	v_lshlrev_b64_e32 v[8:9], 3, v[10:11]
                                        ; implicit-def: $vgpr10
	s_wait_kmcnt 0x0
	v_add_co_u32 v8, vcc_lo, s0, v8
	s_wait_alu 0xfffd
	s_delay_alu instid0(VALU_DEP_2)
	v_add_co_ci_u32_e64 v9, null, s1, v9, vcc_lo
	s_clause 0x1
	global_store_b128 v[8:9], v[4:7], off
	global_store_b128 v[8:9], v[0:3], off offset:16
                                        ; implicit-def: $vgpr8_vgpr9
                                        ; implicit-def: $vgpr4_vgpr5
                                        ; implicit-def: $vgpr0_vgpr1
.LBB6_40:
	s_wait_alu 0xfffe
	s_and_not1_saveexec_b32 s2, s2
	s_cbranch_execz .LBB6_10
; %bb.41:
	v_ashrrev_i32_e32 v11, 31, v10
	s_delay_alu instid0(VALU_DEP_1) | instskip(SKIP_1) | instid1(VALU_DEP_1)
	v_lshlrev_b64_e32 v[10:11], 3, v[10:11]
	s_wait_kmcnt 0x0
	v_add_co_u32 v18, vcc_lo, s0, v10
	s_wait_alu 0xfffd
	s_delay_alu instid0(VALU_DEP_2)
	v_add_co_ci_u32_e64 v19, null, s1, v11, vcc_lo
	s_clause 0x1
	global_load_b128 v[10:13], v[18:19], off
	global_load_b128 v[14:17], v[18:19], off offset:16
	s_wait_loadcnt 0x1
	v_fma_f64 v[4:5], v[8:9], v[10:11], v[4:5]
	v_fma_f64 v[6:7], v[8:9], v[12:13], v[6:7]
	s_wait_loadcnt 0x0
	v_fma_f64 v[0:1], v[8:9], v[14:15], v[0:1]
	v_fma_f64 v[2:3], v[8:9], v[16:17], v[2:3]
	s_clause 0x1
	global_store_b128 v[18:19], v[4:7], off
	global_store_b128 v[18:19], v[0:3], off offset:16
	s_nop 0
	s_sendmsg sendmsg(MSG_DEALLOC_VGPRS)
	s_endpgm
	.section	.rodata,"a",@progbits
	.p2align	6, 0x0
	.amdhsa_kernel _ZN9rocsparseL18bsrxmvn_4x4_kernelILj128ELj8EdiidddEEvT3_20rocsparse_direction_NS_24const_host_device_scalarIT1_EES1_PKS1_PKT2_SA_S7_PKT4_PKT5_S5_PT6_21rocsparse_index_base_b
		.amdhsa_group_segment_fixed_size 0
		.amdhsa_private_segment_fixed_size 0
		.amdhsa_kernarg_size 96
		.amdhsa_user_sgpr_count 2
		.amdhsa_user_sgpr_dispatch_ptr 0
		.amdhsa_user_sgpr_queue_ptr 0
		.amdhsa_user_sgpr_kernarg_segment_ptr 1
		.amdhsa_user_sgpr_dispatch_id 0
		.amdhsa_user_sgpr_private_segment_size 0
		.amdhsa_wavefront_size32 1
		.amdhsa_uses_dynamic_stack 0
		.amdhsa_enable_private_segment 0
		.amdhsa_system_sgpr_workgroup_id_x 1
		.amdhsa_system_sgpr_workgroup_id_y 0
		.amdhsa_system_sgpr_workgroup_id_z 0
		.amdhsa_system_sgpr_workgroup_info 0
		.amdhsa_system_vgpr_workitem_id 0
		.amdhsa_next_free_vgpr 129
		.amdhsa_next_free_sgpr 14
		.amdhsa_reserve_vcc 1
		.amdhsa_float_round_mode_32 0
		.amdhsa_float_round_mode_16_64 0
		.amdhsa_float_denorm_mode_32 3
		.amdhsa_float_denorm_mode_16_64 3
		.amdhsa_fp16_overflow 0
		.amdhsa_workgroup_processor_mode 1
		.amdhsa_memory_ordered 1
		.amdhsa_forward_progress 1
		.amdhsa_inst_pref_size 45
		.amdhsa_round_robin_scheduling 0
		.amdhsa_exception_fp_ieee_invalid_op 0
		.amdhsa_exception_fp_denorm_src 0
		.amdhsa_exception_fp_ieee_div_zero 0
		.amdhsa_exception_fp_ieee_overflow 0
		.amdhsa_exception_fp_ieee_underflow 0
		.amdhsa_exception_fp_ieee_inexact 0
		.amdhsa_exception_int_div_zero 0
	.end_amdhsa_kernel
	.section	.text._ZN9rocsparseL18bsrxmvn_4x4_kernelILj128ELj8EdiidddEEvT3_20rocsparse_direction_NS_24const_host_device_scalarIT1_EES1_PKS1_PKT2_SA_S7_PKT4_PKT5_S5_PT6_21rocsparse_index_base_b,"axG",@progbits,_ZN9rocsparseL18bsrxmvn_4x4_kernelILj128ELj8EdiidddEEvT3_20rocsparse_direction_NS_24const_host_device_scalarIT1_EES1_PKS1_PKT2_SA_S7_PKT4_PKT5_S5_PT6_21rocsparse_index_base_b,comdat
.Lfunc_end6:
	.size	_ZN9rocsparseL18bsrxmvn_4x4_kernelILj128ELj8EdiidddEEvT3_20rocsparse_direction_NS_24const_host_device_scalarIT1_EES1_PKS1_PKT2_SA_S7_PKT4_PKT5_S5_PT6_21rocsparse_index_base_b, .Lfunc_end6-_ZN9rocsparseL18bsrxmvn_4x4_kernelILj128ELj8EdiidddEEvT3_20rocsparse_direction_NS_24const_host_device_scalarIT1_EES1_PKS1_PKT2_SA_S7_PKT4_PKT5_S5_PT6_21rocsparse_index_base_b
                                        ; -- End function
	.set _ZN9rocsparseL18bsrxmvn_4x4_kernelILj128ELj8EdiidddEEvT3_20rocsparse_direction_NS_24const_host_device_scalarIT1_EES1_PKS1_PKT2_SA_S7_PKT4_PKT5_S5_PT6_21rocsparse_index_base_b.num_vgpr, 129
	.set _ZN9rocsparseL18bsrxmvn_4x4_kernelILj128ELj8EdiidddEEvT3_20rocsparse_direction_NS_24const_host_device_scalarIT1_EES1_PKS1_PKT2_SA_S7_PKT4_PKT5_S5_PT6_21rocsparse_index_base_b.num_agpr, 0
	.set _ZN9rocsparseL18bsrxmvn_4x4_kernelILj128ELj8EdiidddEEvT3_20rocsparse_direction_NS_24const_host_device_scalarIT1_EES1_PKS1_PKT2_SA_S7_PKT4_PKT5_S5_PT6_21rocsparse_index_base_b.numbered_sgpr, 14
	.set _ZN9rocsparseL18bsrxmvn_4x4_kernelILj128ELj8EdiidddEEvT3_20rocsparse_direction_NS_24const_host_device_scalarIT1_EES1_PKS1_PKT2_SA_S7_PKT4_PKT5_S5_PT6_21rocsparse_index_base_b.num_named_barrier, 0
	.set _ZN9rocsparseL18bsrxmvn_4x4_kernelILj128ELj8EdiidddEEvT3_20rocsparse_direction_NS_24const_host_device_scalarIT1_EES1_PKS1_PKT2_SA_S7_PKT4_PKT5_S5_PT6_21rocsparse_index_base_b.private_seg_size, 0
	.set _ZN9rocsparseL18bsrxmvn_4x4_kernelILj128ELj8EdiidddEEvT3_20rocsparse_direction_NS_24const_host_device_scalarIT1_EES1_PKS1_PKT2_SA_S7_PKT4_PKT5_S5_PT6_21rocsparse_index_base_b.uses_vcc, 1
	.set _ZN9rocsparseL18bsrxmvn_4x4_kernelILj128ELj8EdiidddEEvT3_20rocsparse_direction_NS_24const_host_device_scalarIT1_EES1_PKS1_PKT2_SA_S7_PKT4_PKT5_S5_PT6_21rocsparse_index_base_b.uses_flat_scratch, 0
	.set _ZN9rocsparseL18bsrxmvn_4x4_kernelILj128ELj8EdiidddEEvT3_20rocsparse_direction_NS_24const_host_device_scalarIT1_EES1_PKS1_PKT2_SA_S7_PKT4_PKT5_S5_PT6_21rocsparse_index_base_b.has_dyn_sized_stack, 0
	.set _ZN9rocsparseL18bsrxmvn_4x4_kernelILj128ELj8EdiidddEEvT3_20rocsparse_direction_NS_24const_host_device_scalarIT1_EES1_PKS1_PKT2_SA_S7_PKT4_PKT5_S5_PT6_21rocsparse_index_base_b.has_recursion, 0
	.set _ZN9rocsparseL18bsrxmvn_4x4_kernelILj128ELj8EdiidddEEvT3_20rocsparse_direction_NS_24const_host_device_scalarIT1_EES1_PKS1_PKT2_SA_S7_PKT4_PKT5_S5_PT6_21rocsparse_index_base_b.has_indirect_call, 0
	.section	.AMDGPU.csdata,"",@progbits
; Kernel info:
; codeLenInByte = 5688
; TotalNumSgprs: 16
; NumVgprs: 129
; ScratchSize: 0
; MemoryBound: 1
; FloatMode: 240
; IeeeMode: 1
; LDSByteSize: 0 bytes/workgroup (compile time only)
; SGPRBlocks: 0
; VGPRBlocks: 16
; NumSGPRsForWavesPerEU: 16
; NumVGPRsForWavesPerEU: 129
; Occupancy: 10
; WaveLimiterHint : 1
; COMPUTE_PGM_RSRC2:SCRATCH_EN: 0
; COMPUTE_PGM_RSRC2:USER_SGPR: 2
; COMPUTE_PGM_RSRC2:TRAP_HANDLER: 0
; COMPUTE_PGM_RSRC2:TGID_X_EN: 1
; COMPUTE_PGM_RSRC2:TGID_Y_EN: 0
; COMPUTE_PGM_RSRC2:TGID_Z_EN: 0
; COMPUTE_PGM_RSRC2:TIDIG_COMP_CNT: 0
	.section	.text._ZN9rocsparseL18bsrxmvn_4x4_kernelILj128ELj16EdiidddEEvT3_20rocsparse_direction_NS_24const_host_device_scalarIT1_EES1_PKS1_PKT2_SA_S7_PKT4_PKT5_S5_PT6_21rocsparse_index_base_b,"axG",@progbits,_ZN9rocsparseL18bsrxmvn_4x4_kernelILj128ELj16EdiidddEEvT3_20rocsparse_direction_NS_24const_host_device_scalarIT1_EES1_PKS1_PKT2_SA_S7_PKT4_PKT5_S5_PT6_21rocsparse_index_base_b,comdat
	.globl	_ZN9rocsparseL18bsrxmvn_4x4_kernelILj128ELj16EdiidddEEvT3_20rocsparse_direction_NS_24const_host_device_scalarIT1_EES1_PKS1_PKT2_SA_S7_PKT4_PKT5_S5_PT6_21rocsparse_index_base_b ; -- Begin function _ZN9rocsparseL18bsrxmvn_4x4_kernelILj128ELj16EdiidddEEvT3_20rocsparse_direction_NS_24const_host_device_scalarIT1_EES1_PKS1_PKT2_SA_S7_PKT4_PKT5_S5_PT6_21rocsparse_index_base_b
	.p2align	8
	.type	_ZN9rocsparseL18bsrxmvn_4x4_kernelILj128ELj16EdiidddEEvT3_20rocsparse_direction_NS_24const_host_device_scalarIT1_EES1_PKS1_PKT2_SA_S7_PKT4_PKT5_S5_PT6_21rocsparse_index_base_b,@function
_ZN9rocsparseL18bsrxmvn_4x4_kernelILj128ELj16EdiidddEEvT3_20rocsparse_direction_NS_24const_host_device_scalarIT1_EES1_PKS1_PKT2_SA_S7_PKT4_PKT5_S5_PT6_21rocsparse_index_base_b: ; @_ZN9rocsparseL18bsrxmvn_4x4_kernelILj128ELj16EdiidddEEvT3_20rocsparse_direction_NS_24const_host_device_scalarIT1_EES1_PKS1_PKT2_SA_S7_PKT4_PKT5_S5_PT6_21rocsparse_index_base_b
; %bb.0:
	s_clause 0x2
	s_load_b64 s[12:13], s[0:1], 0x58
	s_load_b64 s[4:5], s[0:1], 0x8
	s_load_b64 s[2:3], s[0:1], 0x48
	s_wait_kmcnt 0x0
	s_bitcmp1_b32 s13, 0
	v_dual_mov_b32 v2, s4 :: v_dual_mov_b32 v3, s5
	s_cselect_b32 s6, -1, 0
	s_delay_alu instid0(SALU_CYCLE_1)
	s_and_b32 vcc_lo, exec_lo, s6
	s_xor_b32 s6, s6, -1
	s_cbranch_vccnz .LBB7_2
; %bb.1:
	v_dual_mov_b32 v1, s4 :: v_dual_mov_b32 v2, s5
	flat_load_b64 v[2:3], v[1:2]
.LBB7_2:
	v_dual_mov_b32 v9, s3 :: v_dual_mov_b32 v8, s2
	s_and_not1_b32 vcc_lo, exec_lo, s6
	s_cbranch_vccnz .LBB7_4
; %bb.3:
	v_dual_mov_b32 v5, s3 :: v_dual_mov_b32 v4, s2
	flat_load_b64 v[8:9], v[4:5]
.LBB7_4:
	s_wait_loadcnt_dscnt 0x0
	v_cmp_neq_f64_e32 vcc_lo, 0, v[2:3]
	v_cmp_neq_f64_e64 s2, 1.0, v[8:9]
	s_or_b32 s2, vcc_lo, s2
	s_wait_alu 0xfffe
	s_and_saveexec_b32 s3, s2
	s_cbranch_execz .LBB7_10
; %bb.5:
	s_clause 0x1
	s_load_b64 s[4:5], s[0:1], 0x18
	s_load_b64 s[2:3], s[0:1], 0x0
	v_lshrrev_b32_e32 v1, 4, v0
	s_delay_alu instid0(VALU_DEP_1)
	v_lshl_or_b32 v10, ttmp9, 3, v1
	s_wait_kmcnt 0x0
	s_cmp_lg_u64 s[4:5], 0
	s_cbranch_scc0 .LBB7_11
; %bb.6:
	s_load_b32 s6, s[0:1], 0x10
	s_mov_b32 s7, 0
                                        ; implicit-def: $vgpr1
	s_wait_kmcnt 0x0
	v_cmp_gt_i32_e32 vcc_lo, s6, v10
	s_mov_b32 s6, 0
	s_and_saveexec_b32 s8, vcc_lo
	s_delay_alu instid0(SALU_CYCLE_1)
	s_xor_b32 s8, exec_lo, s8
	s_cbranch_execz .LBB7_8
; %bb.7:
	v_ashrrev_i32_e32 v11, 31, v10
	s_mov_b32 s6, exec_lo
	s_delay_alu instid0(VALU_DEP_1) | instskip(NEXT) | instid1(VALU_DEP_1)
	v_lshlrev_b64_e32 v[4:5], 2, v[10:11]
	v_add_co_u32 v4, vcc_lo, s4, v4
	s_delay_alu instid0(VALU_DEP_1)
	v_add_co_ci_u32_e64 v5, null, s5, v5, vcc_lo
	global_load_b32 v1, v[4:5], off
	s_wait_loadcnt 0x0
	v_subrev_nc_u32_e32 v1, s12, v1
.LBB7_8:
	s_or_b32 exec_lo, exec_lo, s8
	s_delay_alu instid0(SALU_CYCLE_1)
	s_and_b32 vcc_lo, exec_lo, s7
	s_wait_alu 0xfffe
	s_cbranch_vccz .LBB7_12
.LBB7_9:
	v_cmp_gt_i32_e32 vcc_lo, s2, v10
	s_and_not1_b32 s2, s6, exec_lo
	s_and_b32 s4, vcc_lo, exec_lo
	s_wait_alu 0xfffe
	s_or_b32 s6, s2, s4
	s_wait_alu 0xfffe
	s_and_b32 exec_lo, exec_lo, s6
	s_cbranch_execnz .LBB7_13
.LBB7_10:
	s_nop 0
	s_sendmsg sendmsg(MSG_DEALLOC_VGPRS)
	s_endpgm
.LBB7_11:
	s_mov_b32 s6, 0
                                        ; implicit-def: $vgpr1
	s_cbranch_execnz .LBB7_9
.LBB7_12:
	v_mov_b32_e32 v10, v1
	s_and_b32 exec_lo, exec_lo, s6
	s_cbranch_execz .LBB7_10
.LBB7_13:
	s_load_b256 s[4:11], s[0:1], 0x20
	s_delay_alu instid0(VALU_DEP_1) | instskip(SKIP_1) | instid1(VALU_DEP_2)
	v_ashrrev_i32_e32 v11, 31, v10
	v_and_b32_e32 v21, 15, v0
	v_lshlrev_b64_e32 v[4:5], 2, v[10:11]
	s_wait_kmcnt 0x0
	s_delay_alu instid0(VALU_DEP_1) | instskip(SKIP_1) | instid1(VALU_DEP_2)
	v_add_co_u32 v6, vcc_lo, s4, v4
	s_wait_alu 0xfffd
	v_add_co_ci_u32_e64 v7, null, s5, v5, vcc_lo
	v_add_co_u32 v1, vcc_lo, s6, v4
	s_wait_alu 0xfffd
	v_add_co_ci_u32_e64 v4, null, s7, v5, vcc_lo
	global_load_b32 v23, v[6:7], off
	v_add_co_u32 v6, vcc_lo, v6, 4
	s_wait_alu 0xfffd
	v_add_co_ci_u32_e64 v5, null, 0, v7, vcc_lo
	s_cmp_eq_u64 s[6:7], 0
	s_load_b64 s[4:5], s[0:1], 0x40
	s_cselect_b32 vcc_lo, -1, 0
	s_cmp_eq_u32 s3, 1
	s_wait_alu 0xfffe
	v_dual_cndmask_b32 v5, v4, v5 :: v_dual_cndmask_b32 v4, v1, v6
	global_load_b32 v6, v[4:5], off
	s_wait_loadcnt 0x1
	v_subrev_nc_u32_e32 v0, s12, v23
	s_delay_alu instid0(VALU_DEP_1) | instskip(NEXT) | instid1(VALU_DEP_1)
	v_add_nc_u32_e32 v0, v0, v21
	v_ashrrev_i32_e32 v1, 31, v0
	s_wait_loadcnt 0x0
	v_subrev_nc_u32_e32 v22, s12, v6
	s_delay_alu instid0(VALU_DEP_2) | instskip(NEXT) | instid1(VALU_DEP_2)
	v_lshlrev_b64_e32 v[4:5], 7, v[0:1]
	v_cmp_lt_i32_e64 s2, v0, v22
	s_delay_alu instid0(VALU_DEP_2) | instskip(SKIP_1) | instid1(VALU_DEP_3)
	v_add_co_u32 v4, vcc_lo, s10, v4
	s_wait_alu 0xfffd
	v_add_co_ci_u32_e64 v5, null, s11, v5, vcc_lo
	s_cbranch_scc1 .LBB7_25
; %bb.14:
	v_dual_mov_b32 v15, 0 :: v_dual_mov_b32 v6, 0
	v_dual_mov_b32 v11, 0 :: v_dual_mov_b32 v16, 0
	v_mov_b32_e32 v13, 0
	v_dual_mov_b32 v7, 0 :: v_dual_mov_b32 v12, 0
	v_mov_b32_e32 v14, 0
	s_and_saveexec_b32 s6, s2
	s_cbranch_execz .LBB7_24
; %bb.15:
	v_add_nc_u32_e32 v1, v23, v21
	v_mov_b32_e32 v13, 0
	v_dual_mov_b32 v14, 0 :: v_dual_mov_b32 v15, 0
	v_not_b32_e32 v6, v23
	s_delay_alu instid0(VALU_DEP_4) | instskip(SKIP_2) | instid1(VALU_DEP_3)
	v_subrev_nc_u32_e32 v1, s12, v1
	v_mov_b32_e32 v11, 0
	v_dual_mov_b32 v12, 0 :: v_dual_mov_b32 v19, v0
	v_dual_mov_b32 v16, 0 :: v_dual_add_nc_u32 v1, 16, v1
	s_delay_alu instid0(VALU_DEP_1) | instskip(NEXT) | instid1(VALU_DEP_1)
	v_max_i32_e32 v1, v1, v22
	v_add3_u32 v1, s12, v1, v6
	v_mov_b32_e32 v6, 0
	v_mov_b32_e32 v7, 0
	s_delay_alu instid0(VALU_DEP_3) | instskip(NEXT) | instid1(VALU_DEP_1)
	v_sub_nc_u32_e32 v1, v1, v21
	v_and_b32_e32 v17, 48, v1
	s_delay_alu instid0(VALU_DEP_1)
	v_cmp_ne_u32_e32 vcc_lo, 48, v17
	v_dual_mov_b32 v18, v5 :: v_dual_mov_b32 v17, v4
	s_and_saveexec_b32 s3, vcc_lo
	s_cbranch_execz .LBB7_19
; %bb.16:
	v_lshrrev_b32_e32 v6, 4, v1
	v_mov_b32_e32 v15, 0
	v_mov_b32_e32 v13, 0
	s_mov_b32 s7, 0
	s_delay_alu instid0(VALU_DEP_3) | instskip(SKIP_3) | instid1(VALU_DEP_4)
	v_dual_mov_b32 v18, v5 :: v_dual_add_nc_u32 v11, 1, v6
	v_mov_b32_e32 v6, 0
	v_mov_b32_e32 v7, 0
	v_dual_mov_b32 v17, v4 :: v_dual_mov_b32 v16, 0
	v_and_b32_e32 v19, 3, v11
	v_dual_mov_b32 v11, 0 :: v_dual_mov_b32 v14, 0
	v_mov_b32_e32 v12, 0
	s_delay_alu instid0(VALU_DEP_3)
	v_sub_nc_u32_e32 v24, 0, v19
	v_mov_b32_e32 v19, v0
.LBB7_17:                               ; =>This Inner Loop Header: Depth=1
	s_delay_alu instid0(VALU_DEP_1) | instskip(NEXT) | instid1(VALU_DEP_3)
	v_ashrrev_i32_e32 v20, 31, v19
	v_add_co_u32 v24, s10, v24, 1
	s_wait_alu 0xfffe
	s_or_b32 s7, s10, s7
	s_delay_alu instid0(VALU_DEP_2) | instskip(SKIP_1) | instid1(VALU_DEP_2)
	v_lshlrev_b64_e32 v[25:26], 2, v[19:20]
	v_add_nc_u32_e32 v19, 16, v19
	v_add_co_u32 v25, vcc_lo, s8, v25
	s_wait_alu 0xfffd
	s_delay_alu instid0(VALU_DEP_3)
	v_add_co_ci_u32_e64 v26, null, s9, v26, vcc_lo
	global_load_b32 v20, v[25:26], off
	s_clause 0x6
	global_load_b128 v[25:28], v[17:18], off offset:48
	global_load_b128 v[29:32], v[17:18], off offset:32
	;; [unrolled: 1-line block ×3, first 2 shown]
	global_load_b128 v[37:40], v[17:18], off
	global_load_b128 v[41:44], v[17:18], off offset:112
	global_load_b128 v[45:48], v[17:18], off offset:96
	;; [unrolled: 1-line block ×3, first 2 shown]
	s_wait_loadcnt 0x7
	v_subrev_nc_u32_e32 v20, s12, v20
	s_delay_alu instid0(VALU_DEP_1) | instskip(NEXT) | instid1(VALU_DEP_1)
	v_lshlrev_b32_e32 v53, 2, v20
	v_ashrrev_i32_e32 v54, 31, v53
	s_delay_alu instid0(VALU_DEP_1) | instskip(SKIP_1) | instid1(VALU_DEP_1)
	v_lshlrev_b64_e32 v[53:54], 3, v[53:54]
	s_wait_kmcnt 0x0
	v_add_co_u32 v61, vcc_lo, s4, v53
	s_wait_alu 0xfffd
	s_delay_alu instid0(VALU_DEP_2)
	v_add_co_ci_u32_e64 v62, null, s5, v54, vcc_lo
	global_load_b128 v[53:56], v[17:18], off offset:64
	s_clause 0x1
	global_load_b128 v[57:60], v[61:62], off
	global_load_b128 v[61:64], v[61:62], off offset:16
	v_add_co_u32 v17, vcc_lo, 0x800, v17
	s_wait_alu 0xfffd
	v_add_co_ci_u32_e64 v18, null, 0, v18, vcc_lo
	s_wait_loadcnt 0x1
	v_fma_f64 v[13:14], v[37:38], v[57:58], v[13:14]
	v_fma_f64 v[15:16], v[29:30], v[57:58], v[15:16]
	;; [unrolled: 1-line block ×4, first 2 shown]
	s_delay_alu instid0(VALU_DEP_4) | instskip(NEXT) | instid1(VALU_DEP_4)
	v_fma_f64 v[13:14], v[39:40], v[59:60], v[13:14]
	v_fma_f64 v[15:16], v[31:32], v[59:60], v[15:16]
	s_delay_alu instid0(VALU_DEP_4) | instskip(NEXT) | instid1(VALU_DEP_4)
	v_fma_f64 v[11:12], v[55:56], v[59:60], v[11:12]
	v_fma_f64 v[6:7], v[47:48], v[59:60], v[6:7]
	s_wait_loadcnt 0x0
	s_delay_alu instid0(VALU_DEP_4) | instskip(NEXT) | instid1(VALU_DEP_4)
	v_fma_f64 v[13:14], v[33:34], v[61:62], v[13:14]
	v_fma_f64 v[15:16], v[25:26], v[61:62], v[15:16]
	s_delay_alu instid0(VALU_DEP_4) | instskip(NEXT) | instid1(VALU_DEP_4)
	v_fma_f64 v[11:12], v[49:50], v[61:62], v[11:12]
	v_fma_f64 v[6:7], v[41:42], v[61:62], v[6:7]
	;; [unrolled: 3-line block ×4, first 2 shown]
	s_wait_alu 0xfffe
	s_and_not1_b32 exec_lo, exec_lo, s7
	s_cbranch_execnz .LBB7_17
; %bb.18:
	s_or_b32 exec_lo, exec_lo, s7
.LBB7_19:
	s_wait_alu 0xfffe
	s_or_b32 exec_lo, exec_lo, s3
	s_delay_alu instid0(SALU_CYCLE_1)
	s_mov_b32 s7, exec_lo
	v_cmpx_lt_u32_e32 47, v1
	s_cbranch_execz .LBB7_23
; %bb.20:
	s_mov_b32 s10, 0
.LBB7_21:                               ; =>This Inner Loop Header: Depth=1
	v_ashrrev_i32_e32 v20, 31, v19
	s_delay_alu instid0(VALU_DEP_1) | instskip(SKIP_1) | instid1(VALU_DEP_2)
	v_lshlrev_b64_e32 v[24:25], 2, v[19:20]
	v_add_nc_u32_e32 v19, 64, v19
	v_add_co_u32 v56, vcc_lo, s8, v24
	s_wait_alu 0xfffd
	s_delay_alu instid0(VALU_DEP_3)
	v_add_co_ci_u32_e64 v57, null, s9, v25, vcc_lo
	global_load_b32 v1, v[56:57], off
	s_clause 0x7
	global_load_b128 v[24:27], v[17:18], off offset:48
	global_load_b128 v[28:31], v[17:18], off offset:32
	;; [unrolled: 1-line block ×3, first 2 shown]
	global_load_b128 v[36:39], v[17:18], off
	global_load_b128 v[40:43], v[17:18], off offset:112
	global_load_b128 v[44:47], v[17:18], off offset:96
	;; [unrolled: 1-line block ×4, first 2 shown]
	s_clause 0x2
	global_load_b32 v20, v[56:57], off offset:64
	global_load_b32 v126, v[56:57], off offset:128
	;; [unrolled: 1-line block ×3, first 2 shown]
	s_wait_loadcnt 0xb
	v_subrev_nc_u32_e32 v1, s12, v1
	s_delay_alu instid0(VALU_DEP_1) | instskip(SKIP_2) | instid1(VALU_DEP_2)
	v_lshlrev_b32_e32 v56, 2, v1
	s_wait_loadcnt 0x2
	v_subrev_nc_u32_e32 v1, s12, v20
	v_ashrrev_i32_e32 v57, 31, v56
	s_delay_alu instid0(VALU_DEP_2) | instskip(NEXT) | instid1(VALU_DEP_2)
	v_lshlrev_b32_e32 v116, 2, v1
	v_lshlrev_b64_e32 v[56:57], 3, v[56:57]
	s_wait_loadcnt 0x1
	v_subrev_nc_u32_e32 v1, s12, v126
	s_delay_alu instid0(VALU_DEP_3) | instskip(SKIP_1) | instid1(VALU_DEP_3)
	v_ashrrev_i32_e32 v117, 31, v116
	s_wait_kmcnt 0x0
	v_add_co_u32 v68, vcc_lo, s4, v56
	s_wait_alu 0xfffd
	v_add_co_ci_u32_e64 v69, null, s5, v57, vcc_lo
	v_lshlrev_b64_e32 v[116:117], 3, v[116:117]
	global_load_b128 v[56:59], v[68:69], off
	s_clause 0x1
	global_load_b128 v[60:63], v[17:18], off offset:2096
	global_load_b128 v[64:67], v[17:18], off offset:2080
	;; [unrolled: 1-line block ×3, first 2 shown]
	s_clause 0xa
	global_load_b128 v[72:75], v[17:18], off offset:2064
	global_load_b128 v[76:79], v[17:18], off offset:2048
	;; [unrolled: 1-line block ×11, first 2 shown]
	v_add_co_u32 v120, vcc_lo, s4, v116
	s_wait_alu 0xfffd
	v_add_co_ci_u32_e64 v121, null, s5, v117, vcc_lo
	global_load_b128 v[116:119], v[120:121], off
	s_wait_loadcnt 0xf
	v_fma_f64 v[13:14], v[36:37], v[56:57], v[13:14]
	v_fma_f64 v[11:12], v[52:53], v[56:57], v[11:12]
	;; [unrolled: 1-line block ×3, first 2 shown]
	s_delay_alu instid0(VALU_DEP_3)
	v_fma_f64 v[122:123], v[38:39], v[58:59], v[13:14]
	v_fma_f64 v[13:14], v[28:29], v[56:57], v[15:16]
	v_lshlrev_b32_e32 v28, 2, v1
	global_load_b128 v[36:39], v[17:18], off offset:4192
	v_fma_f64 v[11:12], v[54:55], v[58:59], v[11:12]
	v_fma_f64 v[6:7], v[46:47], v[58:59], v[6:7]
	v_subrev_nc_u32_e32 v1, s12, v128
	v_ashrrev_i32_e32 v29, 31, v28
	global_load_b128 v[52:55], v[17:18], off offset:4160
	v_lshlrev_b64_e32 v[28:29], 3, v[28:29]
	s_delay_alu instid0(VALU_DEP_1) | instskip(SKIP_1) | instid1(VALU_DEP_2)
	v_add_co_u32 v126, vcc_lo, s4, v28
	s_wait_alu 0xfffd
	v_add_co_ci_u32_e64 v127, null, s5, v29, vcc_lo
	s_wait_loadcnt 0xe
	v_fma_f64 v[32:33], v[32:33], v[68:69], v[122:123]
	v_fma_f64 v[124:125], v[30:31], v[58:59], v[13:14]
	global_load_b128 v[28:31], v[120:121], off offset:16
	global_load_b128 v[13:16], v[17:18], off offset:4176
	s_clause 0x1
	global_load_b128 v[44:47], v[126:127], off
	global_load_b128 v[56:59], v[126:127], off offset:16
	v_fma_f64 v[11:12], v[48:49], v[68:69], v[11:12]
	v_fma_f64 v[6:7], v[40:41], v[68:69], v[6:7]
	v_lshlrev_b32_e32 v40, 2, v1
	s_delay_alu instid0(VALU_DEP_1) | instskip(NEXT) | instid1(VALU_DEP_1)
	v_ashrrev_i32_e32 v41, 31, v40
	v_lshlrev_b64_e32 v[40:41], 3, v[40:41]
	v_fma_f64 v[120:121], v[34:35], v[70:71], v[32:33]
	v_fma_f64 v[24:25], v[24:25], v[68:69], v[124:125]
	s_delay_alu instid0(VALU_DEP_3) | instskip(SKIP_1) | instid1(VALU_DEP_4)
	v_add_co_u32 v124, vcc_lo, s4, v40
	s_wait_alu 0xfffd
	v_add_co_ci_u32_e64 v125, null, s5, v41, vcc_lo
	v_fma_f64 v[11:12], v[50:51], v[70:71], v[11:12]
	v_fma_f64 v[6:7], v[42:43], v[70:71], v[6:7]
	s_clause 0x1
	global_load_b128 v[32:35], v[17:18], off offset:6176
	global_load_b128 v[48:51], v[17:18], off offset:6240
	v_cmp_ge_i32_e32 vcc_lo, v19, v22
	s_wait_alu 0xfffe
	s_or_b32 s10, vcc_lo, s10
	s_wait_loadcnt 0x8
	v_fma_f64 v[76:77], v[76:77], v[116:117], v[120:121]
	v_fma_f64 v[122:123], v[26:27], v[70:71], v[24:25]
	s_clause 0x1
	global_load_b128 v[24:27], v[17:18], off offset:6144
	global_load_b128 v[40:43], v[17:18], off offset:6208
	global_load_b128 v[68:71], v[124:125], off
	v_fma_f64 v[11:12], v[92:93], v[116:117], v[11:12]
	v_fma_f64 v[6:7], v[84:85], v[116:117], v[6:7]
	;; [unrolled: 1-line block ×4, first 2 shown]
	s_delay_alu instid0(VALU_DEP_4) | instskip(NEXT) | instid1(VALU_DEP_4)
	v_fma_f64 v[11:12], v[94:95], v[118:119], v[11:12]
	v_fma_f64 v[6:7], v[86:87], v[118:119], v[6:7]
	s_delay_alu instid0(VALU_DEP_3)
	v_fma_f64 v[122:123], v[66:67], v[118:119], v[64:65]
	s_clause 0x3
	global_load_b128 v[64:67], v[17:18], off offset:6192
	global_load_b128 v[76:79], v[17:18], off offset:6160
	;; [unrolled: 1-line block ×5, first 2 shown]
	v_add_co_u32 v17, s3, 0x2000, v17
	s_wait_alu 0xf1ff
	v_add_co_ci_u32_e64 v18, null, 0, v18, s3
	s_wait_loadcnt 0xd
	v_fma_f64 v[72:73], v[72:73], v[28:29], v[120:121]
	v_fma_f64 v[60:61], v[60:61], v[28:29], v[122:123]
	;; [unrolled: 1-line block ×4, first 2 shown]
	s_delay_alu instid0(VALU_DEP_4) | instskip(NEXT) | instid1(VALU_DEP_4)
	v_fma_f64 v[28:29], v[74:75], v[30:31], v[72:73]
	v_fma_f64 v[60:61], v[62:63], v[30:31], v[60:61]
	s_delay_alu instid0(VALU_DEP_4) | instskip(NEXT) | instid1(VALU_DEP_4)
	v_fma_f64 v[11:12], v[90:91], v[30:31], v[11:12]
	v_fma_f64 v[6:7], v[82:83], v[30:31], v[6:7]
	s_wait_loadcnt 0xb
	s_delay_alu instid0(VALU_DEP_4) | instskip(NEXT) | instid1(VALU_DEP_4)
	v_fma_f64 v[28:29], v[108:109], v[44:45], v[28:29]
	v_fma_f64 v[30:31], v[100:101], v[44:45], v[60:61]
	s_delay_alu instid0(VALU_DEP_4) | instskip(NEXT) | instid1(VALU_DEP_4)
	v_fma_f64 v[11:12], v[52:53], v[44:45], v[11:12]
	v_fma_f64 v[6:7], v[36:37], v[44:45], v[6:7]
	s_delay_alu instid0(VALU_DEP_4) | instskip(NEXT) | instid1(VALU_DEP_4)
	v_fma_f64 v[28:29], v[110:111], v[46:47], v[28:29]
	v_fma_f64 v[30:31], v[102:103], v[46:47], v[30:31]
	s_delay_alu instid0(VALU_DEP_4) | instskip(NEXT) | instid1(VALU_DEP_4)
	v_fma_f64 v[11:12], v[54:55], v[46:47], v[11:12]
	v_fma_f64 v[6:7], v[38:39], v[46:47], v[6:7]
	s_wait_loadcnt 0xa
	s_delay_alu instid0(VALU_DEP_4) | instskip(NEXT) | instid1(VALU_DEP_4)
	v_fma_f64 v[28:29], v[104:105], v[56:57], v[28:29]
	v_fma_f64 v[30:31], v[96:97], v[56:57], v[30:31]
	s_delay_alu instid0(VALU_DEP_4) | instskip(NEXT) | instid1(VALU_DEP_4)
	v_fma_f64 v[11:12], v[13:14], v[56:57], v[11:12]
	v_fma_f64 v[6:7], v[112:113], v[56:57], v[6:7]
	;; [unrolled: 13-line block ×4, first 2 shown]
	s_delay_alu instid0(VALU_DEP_4) | instskip(NEXT) | instid1(VALU_DEP_4)
	v_fma_f64 v[13:14], v[78:79], v[118:119], v[13:14]
	v_fma_f64 v[15:16], v[66:67], v[118:119], v[15:16]
	s_delay_alu instid0(VALU_DEP_4) | instskip(NEXT) | instid1(VALU_DEP_4)
	v_fma_f64 v[11:12], v[94:95], v[118:119], v[11:12]
	v_fma_f64 v[6:7], v[86:87], v[118:119], v[6:7]
	s_wait_alu 0xfffe
	s_and_not1_b32 exec_lo, exec_lo, s10
	s_cbranch_execnz .LBB7_21
; %bb.22:
	s_or_b32 exec_lo, exec_lo, s10
.LBB7_23:
	s_wait_alu 0xfffe
	s_or_b32 exec_lo, exec_lo, s7
.LBB7_24:
	s_wait_alu 0xfffe
	s_or_b32 exec_lo, exec_lo, s6
	s_cbranch_execz .LBB7_26
	s_branch .LBB7_37
.LBB7_25:
                                        ; implicit-def: $vgpr6_vgpr7
                                        ; implicit-def: $vgpr11_vgpr12
                                        ; implicit-def: $vgpr15_vgpr16
                                        ; implicit-def: $vgpr13_vgpr14
.LBB7_26:
	v_dual_mov_b32 v15, 0 :: v_dual_mov_b32 v6, 0
	v_dual_mov_b32 v11, 0 :: v_dual_mov_b32 v16, 0
	v_mov_b32_e32 v13, 0
	v_dual_mov_b32 v7, 0 :: v_dual_mov_b32 v12, 0
	v_mov_b32_e32 v14, 0
	s_and_saveexec_b32 s3, s2
	s_cbranch_execz .LBB7_36
; %bb.27:
	v_add_nc_u32_e32 v1, v23, v21
	v_mov_b32_e32 v13, 0
	v_dual_mov_b32 v14, 0 :: v_dual_mov_b32 v15, 0
	v_not_b32_e32 v6, v23
	s_delay_alu instid0(VALU_DEP_4) | instskip(SKIP_3) | instid1(VALU_DEP_3)
	v_subrev_nc_u32_e32 v1, s12, v1
	v_mov_b32_e32 v11, 0
	s_mov_b32 s2, exec_lo
	v_mov_b32_e32 v16, 0
	v_dual_mov_b32 v12, 0 :: v_dual_add_nc_u32 v1, 16, v1
	s_delay_alu instid0(VALU_DEP_1) | instskip(NEXT) | instid1(VALU_DEP_1)
	v_max_i32_e32 v1, v1, v22
	v_add3_u32 v1, s12, v1, v6
	v_mov_b32_e32 v6, 0
	v_mov_b32_e32 v7, 0
	s_delay_alu instid0(VALU_DEP_3) | instskip(NEXT) | instid1(VALU_DEP_1)
	v_sub_nc_u32_e32 v17, v1, v21
	v_and_b32_e32 v1, 48, v17
	s_delay_alu instid0(VALU_DEP_1)
	v_cmpx_ne_u32_e32 48, v1
	s_cbranch_execz .LBB7_31
; %bb.28:
	v_lshrrev_b32_e32 v1, 4, v17
	v_mov_b32_e32 v11, 0
	v_mov_b32_e32 v15, 0
	;; [unrolled: 1-line block ×3, first 2 shown]
	s_delay_alu instid0(VALU_DEP_4) | instskip(SKIP_3) | instid1(VALU_DEP_3)
	v_dual_mov_b32 v14, 0 :: v_dual_add_nc_u32 v1, 1, v1
	v_mov_b32_e32 v6, 0
	v_dual_mov_b32 v7, 0 :: v_dual_mov_b32 v16, 0
	s_mov_b32 s6, 0
	v_dual_mov_b32 v12, 0 :: v_dual_and_b32 v1, 3, v1
	s_delay_alu instid0(VALU_DEP_1)
	v_sub_nc_u32_e32 v18, 0, v1
.LBB7_29:                               ; =>This Inner Loop Header: Depth=1
	v_ashrrev_i32_e32 v1, 31, v0
	s_delay_alu instid0(VALU_DEP_2) | instskip(SKIP_2) | instid1(VALU_DEP_2)
	v_add_co_u32 v18, s7, v18, 1
	s_wait_alu 0xfffe
	s_or_b32 s6, s7, s6
	v_lshlrev_b64_e32 v[19:20], 2, v[0:1]
	v_add_nc_u32_e32 v0, 16, v0
	s_delay_alu instid0(VALU_DEP_2) | instskip(SKIP_1) | instid1(VALU_DEP_3)
	v_add_co_u32 v19, vcc_lo, s8, v19
	s_wait_alu 0xfffd
	v_add_co_ci_u32_e64 v20, null, s9, v20, vcc_lo
	global_load_b32 v1, v[19:20], off
	global_load_b128 v[23:26], v[4:5], off offset:16
	s_wait_loadcnt 0x1
	v_subrev_nc_u32_e32 v1, s12, v1
	s_delay_alu instid0(VALU_DEP_1) | instskip(NEXT) | instid1(VALU_DEP_1)
	v_lshlrev_b32_e32 v19, 2, v1
	v_ashrrev_i32_e32 v20, 31, v19
	s_delay_alu instid0(VALU_DEP_1) | instskip(SKIP_1) | instid1(VALU_DEP_1)
	v_lshlrev_b64_e32 v[19:20], 3, v[19:20]
	s_wait_kmcnt 0x0
	v_add_co_u32 v19, vcc_lo, s4, v19
	s_wait_alu 0xfffd
	s_delay_alu instid0(VALU_DEP_2)
	v_add_co_ci_u32_e64 v20, null, s5, v20, vcc_lo
	global_load_b128 v[27:30], v[4:5], off
	s_clause 0x1
	global_load_b128 v[31:34], v[19:20], off
	global_load_b128 v[35:38], v[19:20], off offset:16
	s_clause 0x5
	global_load_b128 v[39:42], v[4:5], off offset:32
	global_load_b128 v[43:46], v[4:5], off offset:48
	;; [unrolled: 1-line block ×6, first 2 shown]
	v_add_co_u32 v4, vcc_lo, 0x800, v4
	s_wait_alu 0xfffd
	v_add_co_ci_u32_e64 v5, null, 0, v5, vcc_lo
	s_wait_loadcnt 0x7
	v_fma_f64 v[13:14], v[27:28], v[31:32], v[13:14]
	v_fma_f64 v[15:16], v[29:30], v[31:32], v[15:16]
	v_fma_f64 v[11:12], v[23:24], v[31:32], v[11:12]
	v_fma_f64 v[6:7], v[25:26], v[31:32], v[6:7]
	s_wait_loadcnt 0x5
	s_delay_alu instid0(VALU_DEP_4) | instskip(NEXT) | instid1(VALU_DEP_4)
	v_fma_f64 v[13:14], v[39:40], v[33:34], v[13:14]
	v_fma_f64 v[15:16], v[41:42], v[33:34], v[15:16]
	s_wait_loadcnt 0x4
	s_delay_alu instid0(VALU_DEP_4) | instskip(NEXT) | instid1(VALU_DEP_4)
	v_fma_f64 v[11:12], v[43:44], v[33:34], v[11:12]
	v_fma_f64 v[6:7], v[45:46], v[33:34], v[6:7]
	;; [unrolled: 4-line block ×6, first 2 shown]
	s_wait_alu 0xfffe
	s_and_not1_b32 exec_lo, exec_lo, s6
	s_cbranch_execnz .LBB7_29
; %bb.30:
	s_or_b32 exec_lo, exec_lo, s6
.LBB7_31:
	s_wait_alu 0xfffe
	s_or_b32 exec_lo, exec_lo, s2
	s_delay_alu instid0(SALU_CYCLE_1)
	s_mov_b32 s6, exec_lo
	v_cmpx_lt_u32_e32 47, v17
	s_cbranch_execz .LBB7_35
; %bb.32:
	s_mov_b32 s7, 0
.LBB7_33:                               ; =>This Inner Loop Header: Depth=1
	v_ashrrev_i32_e32 v1, 31, v0
	s_delay_alu instid0(VALU_DEP_1) | instskip(SKIP_1) | instid1(VALU_DEP_2)
	v_lshlrev_b64_e32 v[17:18], 2, v[0:1]
	v_add_nc_u32_e32 v0, 64, v0
	v_add_co_u32 v23, vcc_lo, s8, v17
	s_wait_alu 0xfffd
	s_delay_alu instid0(VALU_DEP_3)
	v_add_co_ci_u32_e64 v24, null, s9, v18, vcc_lo
	s_clause 0x2
	global_load_b32 v1, v[23:24], off
	global_load_b32 v63, v[23:24], off offset:64
	global_load_b32 v103, v[23:24], off offset:128
	global_load_b128 v[17:20], v[4:5], off offset:16
	global_load_b32 v117, v[23:24], off offset:192
	s_wait_loadcnt 0x4
	v_subrev_nc_u32_e32 v1, s12, v1
	s_delay_alu instid0(VALU_DEP_1) | instskip(SKIP_2) | instid1(VALU_DEP_2)
	v_lshlrev_b32_e32 v23, 2, v1
	s_wait_loadcnt 0x3
	v_subrev_nc_u32_e32 v1, s12, v63
	v_ashrrev_i32_e32 v24, 31, v23
	s_delay_alu instid0(VALU_DEP_2) | instskip(SKIP_2) | instid1(VALU_DEP_3)
	v_lshlrev_b32_e32 v63, 2, v1
	s_wait_loadcnt 0x2
	v_subrev_nc_u32_e32 v1, s12, v103
	v_lshlrev_b64_e32 v[23:24], 3, v[23:24]
	s_delay_alu instid0(VALU_DEP_3) | instskip(NEXT) | instid1(VALU_DEP_3)
	v_ashrrev_i32_e32 v64, 31, v63
	v_lshlrev_b32_e32 v103, 2, v1
	s_wait_loadcnt 0x0
	v_subrev_nc_u32_e32 v1, s12, v117
	s_delay_alu instid0(VALU_DEP_3)
	v_lshlrev_b64_e32 v[63:64], 3, v[63:64]
	s_wait_kmcnt 0x0
	v_add_co_u32 v47, vcc_lo, s4, v23
	s_wait_alu 0xfffd
	v_add_co_ci_u32_e64 v48, null, s5, v24, vcc_lo
	v_ashrrev_i32_e32 v104, 31, v103
	global_load_b128 v[23:26], v[4:5], off
	global_load_b128 v[27:30], v[47:48], off
	s_clause 0x3
	global_load_b128 v[31:34], v[4:5], off offset:32
	global_load_b128 v[35:38], v[4:5], off offset:48
	global_load_b128 v[39:42], v[4:5], off offset:64
	global_load_b128 v[43:46], v[4:5], off offset:80
	global_load_b128 v[47:50], v[47:48], off offset:16
	s_clause 0x2
	global_load_b128 v[51:54], v[4:5], off offset:96
	global_load_b128 v[55:58], v[4:5], off offset:112
	;; [unrolled: 1-line block ×3, first 2 shown]
	v_add_co_u32 v87, vcc_lo, s4, v63
	s_wait_alu 0xfffd
	v_add_co_ci_u32_e64 v88, null, s5, v64, vcc_lo
	global_load_b128 v[63:66], v[4:5], off offset:2048
	global_load_b128 v[67:70], v[87:88], off
	s_clause 0x3
	global_load_b128 v[71:74], v[4:5], off offset:2080
	global_load_b128 v[75:78], v[4:5], off offset:2096
	;; [unrolled: 1-line block ×5, first 2 shown]
	s_clause 0x2
	global_load_b128 v[91:94], v[4:5], off offset:2144
	global_load_b128 v[95:98], v[4:5], off offset:2160
	global_load_b128 v[99:102], v[4:5], off offset:4112
	v_lshlrev_b64_e32 v[103:104], 3, v[103:104]
	s_delay_alu instid0(VALU_DEP_1) | instskip(SKIP_1) | instid1(VALU_DEP_2)
	v_add_co_u32 v111, vcc_lo, s4, v103
	s_wait_alu 0xfffd
	v_add_co_ci_u32_e64 v112, null, s5, v104, vcc_lo
	global_load_b128 v[103:106], v[4:5], off offset:4096
	global_load_b128 v[107:110], v[111:112], off
	s_wait_loadcnt 0x14
	v_fma_f64 v[23:24], v[23:24], v[27:28], v[13:14]
	v_fma_f64 v[25:26], v[25:26], v[27:28], v[15:16]
	;; [unrolled: 1-line block ×4, first 2 shown]
	s_clause 0x1
	global_load_b128 v[11:14], v[4:5], off offset:4128
	global_load_b128 v[15:18], v[4:5], off offset:4144
	s_wait_loadcnt 0x15
	v_fma_f64 v[19:20], v[31:32], v[29:30], v[23:24]
	v_fma_f64 v[115:116], v[33:34], v[29:30], v[25:26]
	s_wait_loadcnt 0x14
	v_fma_f64 v[35:36], v[35:36], v[29:30], v[113:114]
	v_fma_f64 v[6:7], v[37:38], v[29:30], v[6:7]
	s_clause 0x1
	global_load_b128 v[23:26], v[4:5], off offset:4160
	global_load_b128 v[27:30], v[4:5], off offset:4176
	;; [unrolled: 1-line block ×3, first 2 shown]
	s_wait_loadcnt 0x14
	v_fma_f64 v[19:20], v[39:40], v[47:48], v[19:20]
	v_fma_f64 v[111:112], v[41:42], v[47:48], v[115:116]
	;; [unrolled: 1-line block ×4, first 2 shown]
	s_clause 0x2
	global_load_b128 v[35:38], v[4:5], off offset:4192
	global_load_b128 v[39:42], v[4:5], off offset:4208
	;; [unrolled: 1-line block ×3, first 2 shown]
	v_lshlrev_b32_e32 v47, 2, v1
	s_delay_alu instid0(VALU_DEP_1) | instskip(NEXT) | instid1(VALU_DEP_1)
	v_ashrrev_i32_e32 v48, 31, v47
	v_lshlrev_b64_e32 v[47:48], 3, v[47:48]
	s_wait_loadcnt 0x16
	v_fma_f64 v[19:20], v[51:52], v[49:50], v[19:20]
	v_fma_f64 v[111:112], v[53:54], v[49:50], v[111:112]
	s_wait_loadcnt 0x15
	v_fma_f64 v[55:56], v[55:56], v[49:50], v[113:114]
	v_fma_f64 v[6:7], v[57:58], v[49:50], v[6:7]
	v_add_co_u32 v113, vcc_lo, s4, v47
	s_wait_alu 0xfffd
	v_add_co_ci_u32_e64 v114, null, s5, v48, vcc_lo
	global_load_b128 v[47:50], v[4:5], off offset:6144
	global_load_b128 v[51:54], v[113:114], off
	v_cmp_ge_i32_e32 vcc_lo, v0, v22
	s_wait_alu 0xfffe
	s_or_b32 s7, vcc_lo, s7
	s_wait_loadcnt 0x14
	v_fma_f64 v[19:20], v[63:64], v[67:68], v[19:20]
	v_fma_f64 v[63:64], v[65:66], v[67:68], v[111:112]
	v_fma_f64 v[65:66], v[59:60], v[67:68], v[55:56]
	v_fma_f64 v[6:7], v[61:62], v[67:68], v[6:7]
	s_clause 0x1
	global_load_b128 v[55:58], v[4:5], off offset:6176
	global_load_b128 v[59:62], v[4:5], off offset:6192
	s_wait_loadcnt 0x15
	v_fma_f64 v[19:20], v[71:72], v[69:70], v[19:20]
	v_fma_f64 v[111:112], v[73:74], v[69:70], v[63:64]
	s_wait_loadcnt 0x14
	v_fma_f64 v[75:76], v[75:76], v[69:70], v[65:66]
	v_fma_f64 v[6:7], v[77:78], v[69:70], v[6:7]
	s_clause 0x1
	global_load_b128 v[63:66], v[4:5], off offset:6208
	global_load_b128 v[67:70], v[4:5], off offset:6224
	;; [unrolled: 1-line block ×3, first 2 shown]
	s_wait_loadcnt 0x14
	v_fma_f64 v[19:20], v[79:80], v[87:88], v[19:20]
	v_fma_f64 v[111:112], v[81:82], v[87:88], v[111:112]
	;; [unrolled: 1-line block ×4, first 2 shown]
	s_clause 0x1
	global_load_b128 v[75:78], v[4:5], off offset:6240
	global_load_b128 v[79:82], v[4:5], off offset:6256
	v_add_co_u32 v4, s2, 0x2000, v4
	s_wait_alu 0xf1ff
	v_add_co_ci_u32_e64 v5, null, 0, v5, s2
	s_wait_loadcnt 0x15
	v_fma_f64 v[19:20], v[91:92], v[89:90], v[19:20]
	v_fma_f64 v[85:86], v[93:94], v[89:90], v[111:112]
	s_wait_loadcnt 0x14
	v_fma_f64 v[83:84], v[95:96], v[89:90], v[83:84]
	v_fma_f64 v[6:7], v[97:98], v[89:90], v[6:7]
	s_wait_loadcnt 0x11
	s_delay_alu instid0(VALU_DEP_4) | instskip(NEXT) | instid1(VALU_DEP_4)
	v_fma_f64 v[19:20], v[103:104], v[107:108], v[19:20]
	v_fma_f64 v[85:86], v[105:106], v[107:108], v[85:86]
	s_delay_alu instid0(VALU_DEP_4) | instskip(NEXT) | instid1(VALU_DEP_4)
	v_fma_f64 v[83:84], v[99:100], v[107:108], v[83:84]
	v_fma_f64 v[6:7], v[101:102], v[107:108], v[6:7]
	s_wait_loadcnt 0x10
	s_delay_alu instid0(VALU_DEP_4) | instskip(NEXT) | instid1(VALU_DEP_4)
	v_fma_f64 v[11:12], v[11:12], v[109:110], v[19:20]
	v_fma_f64 v[13:14], v[13:14], v[109:110], v[85:86]
	s_wait_loadcnt 0xf
	s_delay_alu instid0(VALU_DEP_4) | instskip(NEXT) | instid1(VALU_DEP_4)
	v_fma_f64 v[15:16], v[15:16], v[109:110], v[83:84]
	v_fma_f64 v[6:7], v[17:18], v[109:110], v[6:7]
	s_wait_loadcnt 0xc
	s_delay_alu instid0(VALU_DEP_4) | instskip(NEXT) | instid1(VALU_DEP_4)
	v_fma_f64 v[11:12], v[23:24], v[31:32], v[11:12]
	v_fma_f64 v[13:14], v[25:26], v[31:32], v[13:14]
	s_delay_alu instid0(VALU_DEP_4) | instskip(NEXT) | instid1(VALU_DEP_4)
	v_fma_f64 v[15:16], v[27:28], v[31:32], v[15:16]
	v_fma_f64 v[6:7], v[29:30], v[31:32], v[6:7]
	s_wait_loadcnt 0xb
	s_delay_alu instid0(VALU_DEP_4) | instskip(NEXT) | instid1(VALU_DEP_4)
	v_fma_f64 v[11:12], v[35:36], v[33:34], v[11:12]
	v_fma_f64 v[13:14], v[37:38], v[33:34], v[13:14]
	s_wait_loadcnt 0xa
	s_delay_alu instid0(VALU_DEP_4) | instskip(NEXT) | instid1(VALU_DEP_4)
	;; [unrolled: 15-line block ×4, first 2 shown]
	v_fma_f64 v[11:12], v[79:80], v[73:74], v[19:20]
	v_fma_f64 v[6:7], v[81:82], v[73:74], v[6:7]
	s_wait_alu 0xfffe
	s_and_not1_b32 exec_lo, exec_lo, s7
	s_cbranch_execnz .LBB7_33
; %bb.34:
	s_or_b32 exec_lo, exec_lo, s7
.LBB7_35:
	s_wait_alu 0xfffe
	s_or_b32 exec_lo, exec_lo, s6
.LBB7_36:
	s_wait_alu 0xfffe
	s_or_b32 exec_lo, exec_lo, s3
.LBB7_37:
	v_mbcnt_lo_u32_b32 v24, -1, 0
	s_delay_alu instid0(VALU_DEP_1) | instskip(NEXT) | instid1(VALU_DEP_1)
	v_xor_b32_e32 v0, 8, v24
	v_cmp_gt_i32_e32 vcc_lo, 32, v0
	s_wait_alu 0xfffd
	v_cndmask_b32_e32 v0, v24, v0, vcc_lo
	s_delay_alu instid0(VALU_DEP_1)
	v_lshlrev_b32_e32 v20, 2, v0
	ds_bpermute_b32 v0, v20, v13
	ds_bpermute_b32 v1, v20, v14
	s_wait_dscnt 0x0
	v_add_f64_e32 v[0:1], v[13:14], v[0:1]
	v_xor_b32_e32 v13, 4, v24
	s_delay_alu instid0(VALU_DEP_1)
	v_cmp_gt_i32_e32 vcc_lo, 32, v13
	s_wait_alu 0xfffd
	v_cndmask_b32_e32 v13, v24, v13, vcc_lo
	ds_bpermute_b32 v4, v20, v15
	ds_bpermute_b32 v5, v20, v16
	;; [unrolled: 1-line block ×6, first 2 shown]
	s_wait_dscnt 0x4
	v_add_f64_e32 v[4:5], v[15:16], v[4:5]
	s_wait_dscnt 0x2
	v_add_f64_e32 v[11:12], v[11:12], v[17:18]
	;; [unrolled: 2-line block ×3, first 2 shown]
	v_lshlrev_b32_e32 v20, 2, v13
	ds_bpermute_b32 v13, v20, v0
	ds_bpermute_b32 v14, v20, v1
	s_wait_dscnt 0x0
	v_add_f64_e32 v[0:1], v[0:1], v[13:14]
	ds_bpermute_b32 v15, v20, v4
	ds_bpermute_b32 v16, v20, v5
	;; [unrolled: 1-line block ×6, first 2 shown]
	s_wait_dscnt 0x4
	v_add_f64_e32 v[4:5], v[4:5], v[15:16]
	s_wait_dscnt 0x2
	v_add_f64_e32 v[13:14], v[11:12], v[17:18]
	s_wait_dscnt 0x0
	v_add_f64_e32 v[15:16], v[6:7], v[19:20]
	v_xor_b32_e32 v6, 2, v24
	s_delay_alu instid0(VALU_DEP_1) | instskip(SKIP_2) | instid1(VALU_DEP_1)
	v_cmp_gt_i32_e32 vcc_lo, 32, v6
	s_wait_alu 0xfffd
	v_cndmask_b32_e32 v6, v24, v6, vcc_lo
	v_lshlrev_b32_e32 v11, 2, v6
	ds_bpermute_b32 v6, v11, v0
	ds_bpermute_b32 v7, v11, v1
	;; [unrolled: 1-line block ×8, first 2 shown]
	s_wait_dscnt 0x6
	v_add_f64_e32 v[11:12], v[0:1], v[6:7]
	s_wait_dscnt 0x4
	v_add_f64_e32 v[6:7], v[4:5], v[17:18]
	;; [unrolled: 2-line block ×3, first 2 shown]
	v_xor_b32_e32 v13, 1, v24
	s_wait_dscnt 0x0
	v_add_f64_e32 v[4:5], v[15:16], v[22:23]
	s_delay_alu instid0(VALU_DEP_2) | instskip(SKIP_3) | instid1(VALU_DEP_2)
	v_cmp_gt_i32_e32 vcc_lo, 32, v13
	s_wait_alu 0xfffd
	v_cndmask_b32_e32 v13, v24, v13, vcc_lo
	v_cmp_eq_u32_e32 vcc_lo, 15, v21
	v_lshlrev_b32_e32 v14, 2, v13
	ds_bpermute_b32 v19, v14, v11
	ds_bpermute_b32 v20, v14, v12
	;; [unrolled: 1-line block ×8, first 2 shown]
	s_and_b32 exec_lo, exec_lo, vcc_lo
	s_cbranch_execz .LBB7_10
; %bb.38:
	s_wait_dscnt 0x6
	v_add_f64_e32 v[11:12], v[11:12], v[19:20]
	s_wait_dscnt 0x4
	v_add_f64_e32 v[6:7], v[6:7], v[17:18]
	;; [unrolled: 2-line block ×4, first 2 shown]
	s_load_b64 s[0:1], s[0:1], 0x50
	v_lshlrev_b32_e32 v10, 2, v10
	s_mov_b32 s2, exec_lo
	v_mul_f64_e32 v[4:5], v[2:3], v[11:12]
	v_mul_f64_e32 v[6:7], v[2:3], v[6:7]
	v_mul_f64_e32 v[0:1], v[2:3], v[0:1]
	v_mul_f64_e32 v[2:3], v[2:3], v[13:14]
	v_cmpx_eq_f64_e32 0, v[8:9]
	s_wait_alu 0xfffe
	s_xor_b32 s2, exec_lo, s2
	s_cbranch_execz .LBB7_40
; %bb.39:
	v_ashrrev_i32_e32 v11, 31, v10
	s_delay_alu instid0(VALU_DEP_1) | instskip(SKIP_1) | instid1(VALU_DEP_1)
	v_lshlrev_b64_e32 v[8:9], 3, v[10:11]
                                        ; implicit-def: $vgpr10
	s_wait_kmcnt 0x0
	v_add_co_u32 v8, vcc_lo, s0, v8
	s_wait_alu 0xfffd
	s_delay_alu instid0(VALU_DEP_2)
	v_add_co_ci_u32_e64 v9, null, s1, v9, vcc_lo
	s_clause 0x1
	global_store_b128 v[8:9], v[4:7], off
	global_store_b128 v[8:9], v[0:3], off offset:16
                                        ; implicit-def: $vgpr8_vgpr9
                                        ; implicit-def: $vgpr4_vgpr5
                                        ; implicit-def: $vgpr0_vgpr1
.LBB7_40:
	s_wait_alu 0xfffe
	s_and_not1_saveexec_b32 s2, s2
	s_cbranch_execz .LBB7_10
; %bb.41:
	v_ashrrev_i32_e32 v11, 31, v10
	s_delay_alu instid0(VALU_DEP_1) | instskip(SKIP_1) | instid1(VALU_DEP_1)
	v_lshlrev_b64_e32 v[10:11], 3, v[10:11]
	s_wait_kmcnt 0x0
	v_add_co_u32 v18, vcc_lo, s0, v10
	s_wait_alu 0xfffd
	s_delay_alu instid0(VALU_DEP_2)
	v_add_co_ci_u32_e64 v19, null, s1, v11, vcc_lo
	s_clause 0x1
	global_load_b128 v[10:13], v[18:19], off
	global_load_b128 v[14:17], v[18:19], off offset:16
	s_wait_loadcnt 0x1
	v_fma_f64 v[4:5], v[8:9], v[10:11], v[4:5]
	v_fma_f64 v[6:7], v[8:9], v[12:13], v[6:7]
	s_wait_loadcnt 0x0
	v_fma_f64 v[0:1], v[8:9], v[14:15], v[0:1]
	v_fma_f64 v[2:3], v[8:9], v[16:17], v[2:3]
	s_clause 0x1
	global_store_b128 v[18:19], v[4:7], off
	global_store_b128 v[18:19], v[0:3], off offset:16
	s_nop 0
	s_sendmsg sendmsg(MSG_DEALLOC_VGPRS)
	s_endpgm
	.section	.rodata,"a",@progbits
	.p2align	6, 0x0
	.amdhsa_kernel _ZN9rocsparseL18bsrxmvn_4x4_kernelILj128ELj16EdiidddEEvT3_20rocsparse_direction_NS_24const_host_device_scalarIT1_EES1_PKS1_PKT2_SA_S7_PKT4_PKT5_S5_PT6_21rocsparse_index_base_b
		.amdhsa_group_segment_fixed_size 0
		.amdhsa_private_segment_fixed_size 0
		.amdhsa_kernarg_size 96
		.amdhsa_user_sgpr_count 2
		.amdhsa_user_sgpr_dispatch_ptr 0
		.amdhsa_user_sgpr_queue_ptr 0
		.amdhsa_user_sgpr_kernarg_segment_ptr 1
		.amdhsa_user_sgpr_dispatch_id 0
		.amdhsa_user_sgpr_private_segment_size 0
		.amdhsa_wavefront_size32 1
		.amdhsa_uses_dynamic_stack 0
		.amdhsa_enable_private_segment 0
		.amdhsa_system_sgpr_workgroup_id_x 1
		.amdhsa_system_sgpr_workgroup_id_y 0
		.amdhsa_system_sgpr_workgroup_id_z 0
		.amdhsa_system_sgpr_workgroup_info 0
		.amdhsa_system_vgpr_workitem_id 0
		.amdhsa_next_free_vgpr 129
		.amdhsa_next_free_sgpr 14
		.amdhsa_reserve_vcc 1
		.amdhsa_float_round_mode_32 0
		.amdhsa_float_round_mode_16_64 0
		.amdhsa_float_denorm_mode_32 3
		.amdhsa_float_denorm_mode_16_64 3
		.amdhsa_fp16_overflow 0
		.amdhsa_workgroup_processor_mode 1
		.amdhsa_memory_ordered 1
		.amdhsa_forward_progress 1
		.amdhsa_inst_pref_size 46
		.amdhsa_round_robin_scheduling 0
		.amdhsa_exception_fp_ieee_invalid_op 0
		.amdhsa_exception_fp_denorm_src 0
		.amdhsa_exception_fp_ieee_div_zero 0
		.amdhsa_exception_fp_ieee_overflow 0
		.amdhsa_exception_fp_ieee_underflow 0
		.amdhsa_exception_fp_ieee_inexact 0
		.amdhsa_exception_int_div_zero 0
	.end_amdhsa_kernel
	.section	.text._ZN9rocsparseL18bsrxmvn_4x4_kernelILj128ELj16EdiidddEEvT3_20rocsparse_direction_NS_24const_host_device_scalarIT1_EES1_PKS1_PKT2_SA_S7_PKT4_PKT5_S5_PT6_21rocsparse_index_base_b,"axG",@progbits,_ZN9rocsparseL18bsrxmvn_4x4_kernelILj128ELj16EdiidddEEvT3_20rocsparse_direction_NS_24const_host_device_scalarIT1_EES1_PKS1_PKT2_SA_S7_PKT4_PKT5_S5_PT6_21rocsparse_index_base_b,comdat
.Lfunc_end7:
	.size	_ZN9rocsparseL18bsrxmvn_4x4_kernelILj128ELj16EdiidddEEvT3_20rocsparse_direction_NS_24const_host_device_scalarIT1_EES1_PKS1_PKT2_SA_S7_PKT4_PKT5_S5_PT6_21rocsparse_index_base_b, .Lfunc_end7-_ZN9rocsparseL18bsrxmvn_4x4_kernelILj128ELj16EdiidddEEvT3_20rocsparse_direction_NS_24const_host_device_scalarIT1_EES1_PKS1_PKT2_SA_S7_PKT4_PKT5_S5_PT6_21rocsparse_index_base_b
                                        ; -- End function
	.set _ZN9rocsparseL18bsrxmvn_4x4_kernelILj128ELj16EdiidddEEvT3_20rocsparse_direction_NS_24const_host_device_scalarIT1_EES1_PKS1_PKT2_SA_S7_PKT4_PKT5_S5_PT6_21rocsparse_index_base_b.num_vgpr, 129
	.set _ZN9rocsparseL18bsrxmvn_4x4_kernelILj128ELj16EdiidddEEvT3_20rocsparse_direction_NS_24const_host_device_scalarIT1_EES1_PKS1_PKT2_SA_S7_PKT4_PKT5_S5_PT6_21rocsparse_index_base_b.num_agpr, 0
	.set _ZN9rocsparseL18bsrxmvn_4x4_kernelILj128ELj16EdiidddEEvT3_20rocsparse_direction_NS_24const_host_device_scalarIT1_EES1_PKS1_PKT2_SA_S7_PKT4_PKT5_S5_PT6_21rocsparse_index_base_b.numbered_sgpr, 14
	.set _ZN9rocsparseL18bsrxmvn_4x4_kernelILj128ELj16EdiidddEEvT3_20rocsparse_direction_NS_24const_host_device_scalarIT1_EES1_PKS1_PKT2_SA_S7_PKT4_PKT5_S5_PT6_21rocsparse_index_base_b.num_named_barrier, 0
	.set _ZN9rocsparseL18bsrxmvn_4x4_kernelILj128ELj16EdiidddEEvT3_20rocsparse_direction_NS_24const_host_device_scalarIT1_EES1_PKS1_PKT2_SA_S7_PKT4_PKT5_S5_PT6_21rocsparse_index_base_b.private_seg_size, 0
	.set _ZN9rocsparseL18bsrxmvn_4x4_kernelILj128ELj16EdiidddEEvT3_20rocsparse_direction_NS_24const_host_device_scalarIT1_EES1_PKS1_PKT2_SA_S7_PKT4_PKT5_S5_PT6_21rocsparse_index_base_b.uses_vcc, 1
	.set _ZN9rocsparseL18bsrxmvn_4x4_kernelILj128ELj16EdiidddEEvT3_20rocsparse_direction_NS_24const_host_device_scalarIT1_EES1_PKS1_PKT2_SA_S7_PKT4_PKT5_S5_PT6_21rocsparse_index_base_b.uses_flat_scratch, 0
	.set _ZN9rocsparseL18bsrxmvn_4x4_kernelILj128ELj16EdiidddEEvT3_20rocsparse_direction_NS_24const_host_device_scalarIT1_EES1_PKS1_PKT2_SA_S7_PKT4_PKT5_S5_PT6_21rocsparse_index_base_b.has_dyn_sized_stack, 0
	.set _ZN9rocsparseL18bsrxmvn_4x4_kernelILj128ELj16EdiidddEEvT3_20rocsparse_direction_NS_24const_host_device_scalarIT1_EES1_PKS1_PKT2_SA_S7_PKT4_PKT5_S5_PT6_21rocsparse_index_base_b.has_recursion, 0
	.set _ZN9rocsparseL18bsrxmvn_4x4_kernelILj128ELj16EdiidddEEvT3_20rocsparse_direction_NS_24const_host_device_scalarIT1_EES1_PKS1_PKT2_SA_S7_PKT4_PKT5_S5_PT6_21rocsparse_index_base_b.has_indirect_call, 0
	.section	.AMDGPU.csdata,"",@progbits
; Kernel info:
; codeLenInByte = 5808
; TotalNumSgprs: 16
; NumVgprs: 129
; ScratchSize: 0
; MemoryBound: 1
; FloatMode: 240
; IeeeMode: 1
; LDSByteSize: 0 bytes/workgroup (compile time only)
; SGPRBlocks: 0
; VGPRBlocks: 16
; NumSGPRsForWavesPerEU: 16
; NumVGPRsForWavesPerEU: 129
; Occupancy: 10
; WaveLimiterHint : 1
; COMPUTE_PGM_RSRC2:SCRATCH_EN: 0
; COMPUTE_PGM_RSRC2:USER_SGPR: 2
; COMPUTE_PGM_RSRC2:TRAP_HANDLER: 0
; COMPUTE_PGM_RSRC2:TGID_X_EN: 1
; COMPUTE_PGM_RSRC2:TGID_Y_EN: 0
; COMPUTE_PGM_RSRC2:TGID_Z_EN: 0
; COMPUTE_PGM_RSRC2:TIDIG_COMP_CNT: 0
	.section	.text._ZN9rocsparseL18bsrxmvn_4x4_kernelILj128ELj32EdiidddEEvT3_20rocsparse_direction_NS_24const_host_device_scalarIT1_EES1_PKS1_PKT2_SA_S7_PKT4_PKT5_S5_PT6_21rocsparse_index_base_b,"axG",@progbits,_ZN9rocsparseL18bsrxmvn_4x4_kernelILj128ELj32EdiidddEEvT3_20rocsparse_direction_NS_24const_host_device_scalarIT1_EES1_PKS1_PKT2_SA_S7_PKT4_PKT5_S5_PT6_21rocsparse_index_base_b,comdat
	.globl	_ZN9rocsparseL18bsrxmvn_4x4_kernelILj128ELj32EdiidddEEvT3_20rocsparse_direction_NS_24const_host_device_scalarIT1_EES1_PKS1_PKT2_SA_S7_PKT4_PKT5_S5_PT6_21rocsparse_index_base_b ; -- Begin function _ZN9rocsparseL18bsrxmvn_4x4_kernelILj128ELj32EdiidddEEvT3_20rocsparse_direction_NS_24const_host_device_scalarIT1_EES1_PKS1_PKT2_SA_S7_PKT4_PKT5_S5_PT6_21rocsparse_index_base_b
	.p2align	8
	.type	_ZN9rocsparseL18bsrxmvn_4x4_kernelILj128ELj32EdiidddEEvT3_20rocsparse_direction_NS_24const_host_device_scalarIT1_EES1_PKS1_PKT2_SA_S7_PKT4_PKT5_S5_PT6_21rocsparse_index_base_b,@function
_ZN9rocsparseL18bsrxmvn_4x4_kernelILj128ELj32EdiidddEEvT3_20rocsparse_direction_NS_24const_host_device_scalarIT1_EES1_PKS1_PKT2_SA_S7_PKT4_PKT5_S5_PT6_21rocsparse_index_base_b: ; @_ZN9rocsparseL18bsrxmvn_4x4_kernelILj128ELj32EdiidddEEvT3_20rocsparse_direction_NS_24const_host_device_scalarIT1_EES1_PKS1_PKT2_SA_S7_PKT4_PKT5_S5_PT6_21rocsparse_index_base_b
; %bb.0:
	s_clause 0x2
	s_load_b64 s[12:13], s[0:1], 0x58
	s_load_b64 s[4:5], s[0:1], 0x8
	;; [unrolled: 1-line block ×3, first 2 shown]
	s_wait_kmcnt 0x0
	s_bitcmp1_b32 s13, 0
	v_dual_mov_b32 v2, s4 :: v_dual_mov_b32 v3, s5
	s_cselect_b32 s6, -1, 0
	s_delay_alu instid0(SALU_CYCLE_1)
	s_and_b32 vcc_lo, exec_lo, s6
	s_xor_b32 s6, s6, -1
	s_cbranch_vccnz .LBB8_2
; %bb.1:
	v_dual_mov_b32 v1, s4 :: v_dual_mov_b32 v2, s5
	flat_load_b64 v[2:3], v[1:2]
.LBB8_2:
	v_dual_mov_b32 v9, s3 :: v_dual_mov_b32 v8, s2
	s_and_not1_b32 vcc_lo, exec_lo, s6
	s_cbranch_vccnz .LBB8_4
; %bb.3:
	v_dual_mov_b32 v5, s3 :: v_dual_mov_b32 v4, s2
	flat_load_b64 v[8:9], v[4:5]
.LBB8_4:
	s_wait_loadcnt_dscnt 0x0
	v_cmp_neq_f64_e32 vcc_lo, 0, v[2:3]
	v_cmp_neq_f64_e64 s2, 1.0, v[8:9]
	s_or_b32 s2, vcc_lo, s2
	s_wait_alu 0xfffe
	s_and_saveexec_b32 s3, s2
	s_cbranch_execz .LBB8_10
; %bb.5:
	s_clause 0x1
	s_load_b64 s[4:5], s[0:1], 0x18
	s_load_b64 s[2:3], s[0:1], 0x0
	v_lshrrev_b32_e32 v1, 5, v0
	s_delay_alu instid0(VALU_DEP_1)
	v_lshl_or_b32 v10, ttmp9, 2, v1
	s_wait_kmcnt 0x0
	s_cmp_lg_u64 s[4:5], 0
	s_cbranch_scc0 .LBB8_11
; %bb.6:
	s_load_b32 s6, s[0:1], 0x10
	s_mov_b32 s7, 0
                                        ; implicit-def: $vgpr1
	s_wait_kmcnt 0x0
	v_cmp_gt_i32_e32 vcc_lo, s6, v10
	s_mov_b32 s6, 0
	s_and_saveexec_b32 s8, vcc_lo
	s_delay_alu instid0(SALU_CYCLE_1)
	s_xor_b32 s8, exec_lo, s8
	s_cbranch_execz .LBB8_8
; %bb.7:
	v_ashrrev_i32_e32 v11, 31, v10
	s_mov_b32 s6, exec_lo
	s_delay_alu instid0(VALU_DEP_1) | instskip(NEXT) | instid1(VALU_DEP_1)
	v_lshlrev_b64_e32 v[4:5], 2, v[10:11]
	v_add_co_u32 v4, vcc_lo, s4, v4
	s_delay_alu instid0(VALU_DEP_1)
	v_add_co_ci_u32_e64 v5, null, s5, v5, vcc_lo
	global_load_b32 v1, v[4:5], off
	s_wait_loadcnt 0x0
	v_subrev_nc_u32_e32 v1, s12, v1
.LBB8_8:
	s_or_b32 exec_lo, exec_lo, s8
	s_delay_alu instid0(SALU_CYCLE_1)
	s_and_b32 vcc_lo, exec_lo, s7
	s_wait_alu 0xfffe
	s_cbranch_vccz .LBB8_12
.LBB8_9:
	v_cmp_gt_i32_e32 vcc_lo, s2, v10
	s_and_not1_b32 s2, s6, exec_lo
	s_and_b32 s4, vcc_lo, exec_lo
	s_wait_alu 0xfffe
	s_or_b32 s6, s2, s4
	s_wait_alu 0xfffe
	s_and_b32 exec_lo, exec_lo, s6
	s_cbranch_execnz .LBB8_13
.LBB8_10:
	s_nop 0
	s_sendmsg sendmsg(MSG_DEALLOC_VGPRS)
	s_endpgm
.LBB8_11:
	s_mov_b32 s6, 0
                                        ; implicit-def: $vgpr1
	s_cbranch_execnz .LBB8_9
.LBB8_12:
	v_mov_b32_e32 v10, v1
	s_and_b32 exec_lo, exec_lo, s6
	s_cbranch_execz .LBB8_10
.LBB8_13:
	s_load_b256 s[4:11], s[0:1], 0x20
	s_delay_alu instid0(VALU_DEP_1) | instskip(SKIP_1) | instid1(VALU_DEP_2)
	v_ashrrev_i32_e32 v11, 31, v10
	v_and_b32_e32 v21, 31, v0
	v_lshlrev_b64_e32 v[4:5], 2, v[10:11]
	s_wait_kmcnt 0x0
	s_delay_alu instid0(VALU_DEP_1) | instskip(SKIP_1) | instid1(VALU_DEP_2)
	v_add_co_u32 v6, vcc_lo, s4, v4
	s_wait_alu 0xfffd
	v_add_co_ci_u32_e64 v7, null, s5, v5, vcc_lo
	v_add_co_u32 v1, vcc_lo, s6, v4
	s_wait_alu 0xfffd
	v_add_co_ci_u32_e64 v4, null, s7, v5, vcc_lo
	global_load_b32 v23, v[6:7], off
	v_add_co_u32 v6, vcc_lo, v6, 4
	s_wait_alu 0xfffd
	v_add_co_ci_u32_e64 v5, null, 0, v7, vcc_lo
	s_cmp_eq_u64 s[6:7], 0
	s_load_b64 s[4:5], s[0:1], 0x40
	s_cselect_b32 vcc_lo, -1, 0
	s_cmp_eq_u32 s3, 1
	s_wait_alu 0xfffe
	v_dual_cndmask_b32 v5, v4, v5 :: v_dual_cndmask_b32 v4, v1, v6
	global_load_b32 v6, v[4:5], off
	s_wait_loadcnt 0x1
	v_subrev_nc_u32_e32 v0, s12, v23
	s_delay_alu instid0(VALU_DEP_1) | instskip(NEXT) | instid1(VALU_DEP_1)
	v_add_nc_u32_e32 v0, v0, v21
	v_ashrrev_i32_e32 v1, 31, v0
	s_wait_loadcnt 0x0
	v_subrev_nc_u32_e32 v22, s12, v6
	s_delay_alu instid0(VALU_DEP_2) | instskip(NEXT) | instid1(VALU_DEP_2)
	v_lshlrev_b64_e32 v[4:5], 7, v[0:1]
	v_cmp_lt_i32_e64 s2, v0, v22
	s_delay_alu instid0(VALU_DEP_2) | instskip(SKIP_1) | instid1(VALU_DEP_3)
	v_add_co_u32 v4, vcc_lo, s10, v4
	s_wait_alu 0xfffd
	v_add_co_ci_u32_e64 v5, null, s11, v5, vcc_lo
	s_cbranch_scc1 .LBB8_25
; %bb.14:
	v_dual_mov_b32 v15, 0 :: v_dual_mov_b32 v6, 0
	v_dual_mov_b32 v11, 0 :: v_dual_mov_b32 v16, 0
	v_mov_b32_e32 v13, 0
	v_dual_mov_b32 v7, 0 :: v_dual_mov_b32 v12, 0
	v_mov_b32_e32 v14, 0
	s_and_saveexec_b32 s6, s2
	s_cbranch_execz .LBB8_24
; %bb.15:
	v_add_nc_u32_e32 v1, v23, v21
	v_mov_b32_e32 v13, 0
	v_dual_mov_b32 v14, 0 :: v_dual_mov_b32 v15, 0
	v_not_b32_e32 v6, v23
	s_delay_alu instid0(VALU_DEP_4) | instskip(SKIP_2) | instid1(VALU_DEP_3)
	v_subrev_nc_u32_e32 v1, s12, v1
	v_mov_b32_e32 v11, 0
	v_dual_mov_b32 v12, 0 :: v_dual_mov_b32 v19, v0
	v_dual_mov_b32 v16, 0 :: v_dual_add_nc_u32 v1, 32, v1
	s_delay_alu instid0(VALU_DEP_1) | instskip(NEXT) | instid1(VALU_DEP_1)
	v_max_i32_e32 v1, v1, v22
	v_add3_u32 v1, s12, v1, v6
	v_mov_b32_e32 v6, 0
	v_mov_b32_e32 v7, 0
	s_delay_alu instid0(VALU_DEP_3) | instskip(NEXT) | instid1(VALU_DEP_1)
	v_sub_nc_u32_e32 v1, v1, v21
	v_and_b32_e32 v17, 0x60, v1
	s_delay_alu instid0(VALU_DEP_1)
	v_cmp_ne_u32_e32 vcc_lo, 0x60, v17
	v_dual_mov_b32 v18, v5 :: v_dual_mov_b32 v17, v4
	s_and_saveexec_b32 s3, vcc_lo
	s_cbranch_execz .LBB8_19
; %bb.16:
	v_lshrrev_b32_e32 v6, 5, v1
	v_mov_b32_e32 v15, 0
	v_mov_b32_e32 v13, 0
	s_mov_b32 s7, 0
	s_delay_alu instid0(VALU_DEP_3) | instskip(SKIP_3) | instid1(VALU_DEP_4)
	v_dual_mov_b32 v18, v5 :: v_dual_add_nc_u32 v11, 1, v6
	v_mov_b32_e32 v6, 0
	v_mov_b32_e32 v7, 0
	v_dual_mov_b32 v17, v4 :: v_dual_mov_b32 v16, 0
	v_and_b32_e32 v19, 3, v11
	v_dual_mov_b32 v11, 0 :: v_dual_mov_b32 v14, 0
	v_mov_b32_e32 v12, 0
	s_delay_alu instid0(VALU_DEP_3)
	v_sub_nc_u32_e32 v24, 0, v19
	v_mov_b32_e32 v19, v0
.LBB8_17:                               ; =>This Inner Loop Header: Depth=1
	s_delay_alu instid0(VALU_DEP_1) | instskip(NEXT) | instid1(VALU_DEP_3)
	v_ashrrev_i32_e32 v20, 31, v19
	v_add_co_u32 v24, s10, v24, 1
	s_wait_alu 0xfffe
	s_or_b32 s7, s10, s7
	s_delay_alu instid0(VALU_DEP_2) | instskip(SKIP_1) | instid1(VALU_DEP_2)
	v_lshlrev_b64_e32 v[25:26], 2, v[19:20]
	v_add_nc_u32_e32 v19, 32, v19
	v_add_co_u32 v25, vcc_lo, s8, v25
	s_wait_alu 0xfffd
	s_delay_alu instid0(VALU_DEP_3)
	v_add_co_ci_u32_e64 v26, null, s9, v26, vcc_lo
	global_load_b32 v20, v[25:26], off
	s_clause 0x6
	global_load_b128 v[25:28], v[17:18], off offset:48
	global_load_b128 v[29:32], v[17:18], off offset:32
	;; [unrolled: 1-line block ×3, first 2 shown]
	global_load_b128 v[37:40], v[17:18], off
	global_load_b128 v[41:44], v[17:18], off offset:112
	global_load_b128 v[45:48], v[17:18], off offset:96
	;; [unrolled: 1-line block ×3, first 2 shown]
	s_wait_loadcnt 0x7
	v_subrev_nc_u32_e32 v20, s12, v20
	s_delay_alu instid0(VALU_DEP_1) | instskip(NEXT) | instid1(VALU_DEP_1)
	v_lshlrev_b32_e32 v53, 2, v20
	v_ashrrev_i32_e32 v54, 31, v53
	s_delay_alu instid0(VALU_DEP_1) | instskip(SKIP_1) | instid1(VALU_DEP_1)
	v_lshlrev_b64_e32 v[53:54], 3, v[53:54]
	s_wait_kmcnt 0x0
	v_add_co_u32 v61, vcc_lo, s4, v53
	s_wait_alu 0xfffd
	s_delay_alu instid0(VALU_DEP_2)
	v_add_co_ci_u32_e64 v62, null, s5, v54, vcc_lo
	global_load_b128 v[53:56], v[17:18], off offset:64
	s_clause 0x1
	global_load_b128 v[57:60], v[61:62], off
	global_load_b128 v[61:64], v[61:62], off offset:16
	v_add_co_u32 v17, vcc_lo, 0x1000, v17
	s_wait_alu 0xfffd
	v_add_co_ci_u32_e64 v18, null, 0, v18, vcc_lo
	s_wait_loadcnt 0x1
	v_fma_f64 v[13:14], v[37:38], v[57:58], v[13:14]
	v_fma_f64 v[15:16], v[29:30], v[57:58], v[15:16]
	;; [unrolled: 1-line block ×4, first 2 shown]
	s_delay_alu instid0(VALU_DEP_4) | instskip(NEXT) | instid1(VALU_DEP_4)
	v_fma_f64 v[13:14], v[39:40], v[59:60], v[13:14]
	v_fma_f64 v[15:16], v[31:32], v[59:60], v[15:16]
	s_delay_alu instid0(VALU_DEP_4) | instskip(NEXT) | instid1(VALU_DEP_4)
	v_fma_f64 v[11:12], v[55:56], v[59:60], v[11:12]
	v_fma_f64 v[6:7], v[47:48], v[59:60], v[6:7]
	s_wait_loadcnt 0x0
	s_delay_alu instid0(VALU_DEP_4) | instskip(NEXT) | instid1(VALU_DEP_4)
	v_fma_f64 v[13:14], v[33:34], v[61:62], v[13:14]
	v_fma_f64 v[15:16], v[25:26], v[61:62], v[15:16]
	s_delay_alu instid0(VALU_DEP_4) | instskip(NEXT) | instid1(VALU_DEP_4)
	v_fma_f64 v[11:12], v[49:50], v[61:62], v[11:12]
	v_fma_f64 v[6:7], v[41:42], v[61:62], v[6:7]
	;; [unrolled: 3-line block ×4, first 2 shown]
	s_wait_alu 0xfffe
	s_and_not1_b32 exec_lo, exec_lo, s7
	s_cbranch_execnz .LBB8_17
; %bb.18:
	s_or_b32 exec_lo, exec_lo, s7
.LBB8_19:
	s_wait_alu 0xfffe
	s_or_b32 exec_lo, exec_lo, s3
	s_delay_alu instid0(SALU_CYCLE_1)
	s_mov_b32 s7, exec_lo
	v_cmpx_lt_u32_e32 0x5f, v1
	s_cbranch_execz .LBB8_23
; %bb.20:
	s_mov_b32 s10, 0
.LBB8_21:                               ; =>This Inner Loop Header: Depth=1
	v_ashrrev_i32_e32 v20, 31, v19
	s_delay_alu instid0(VALU_DEP_1) | instskip(SKIP_1) | instid1(VALU_DEP_2)
	v_lshlrev_b64_e32 v[24:25], 2, v[19:20]
	v_add_nc_u32_e32 v19, 0x80, v19
	v_add_co_u32 v56, vcc_lo, s8, v24
	s_wait_alu 0xfffd
	s_delay_alu instid0(VALU_DEP_3)
	v_add_co_ci_u32_e64 v57, null, s9, v25, vcc_lo
	global_load_b32 v1, v[56:57], off
	s_clause 0x7
	global_load_b128 v[24:27], v[17:18], off offset:48
	global_load_b128 v[28:31], v[17:18], off offset:32
	global_load_b128 v[32:35], v[17:18], off offset:16
	global_load_b128 v[36:39], v[17:18], off
	global_load_b128 v[40:43], v[17:18], off offset:112
	global_load_b128 v[44:47], v[17:18], off offset:96
	;; [unrolled: 1-line block ×4, first 2 shown]
	s_clause 0x2
	global_load_b32 v20, v[56:57], off offset:128
	global_load_b32 v126, v[56:57], off offset:256
	;; [unrolled: 1-line block ×3, first 2 shown]
	s_wait_loadcnt 0xb
	v_subrev_nc_u32_e32 v1, s12, v1
	s_delay_alu instid0(VALU_DEP_1) | instskip(SKIP_2) | instid1(VALU_DEP_2)
	v_lshlrev_b32_e32 v56, 2, v1
	s_wait_loadcnt 0x2
	v_subrev_nc_u32_e32 v1, s12, v20
	v_ashrrev_i32_e32 v57, 31, v56
	s_delay_alu instid0(VALU_DEP_2) | instskip(NEXT) | instid1(VALU_DEP_2)
	v_lshlrev_b32_e32 v116, 2, v1
	v_lshlrev_b64_e32 v[56:57], 3, v[56:57]
	s_wait_loadcnt 0x1
	v_subrev_nc_u32_e32 v1, s12, v126
	s_delay_alu instid0(VALU_DEP_3) | instskip(SKIP_1) | instid1(VALU_DEP_3)
	v_ashrrev_i32_e32 v117, 31, v116
	s_wait_kmcnt 0x0
	v_add_co_u32 v68, vcc_lo, s4, v56
	s_wait_alu 0xfffd
	v_add_co_ci_u32_e64 v69, null, s5, v57, vcc_lo
	v_lshlrev_b64_e32 v[116:117], 3, v[116:117]
	global_load_b128 v[56:59], v[68:69], off
	s_clause 0x1
	global_load_b128 v[60:63], v[17:18], off offset:4144
	global_load_b128 v[64:67], v[17:18], off offset:4128
	;; [unrolled: 1-line block ×3, first 2 shown]
	s_clause 0xa
	global_load_b128 v[72:75], v[17:18], off offset:4112
	global_load_b128 v[76:79], v[17:18], off offset:4096
	;; [unrolled: 1-line block ×11, first 2 shown]
	v_add_co_u32 v120, vcc_lo, s4, v116
	s_wait_alu 0xfffd
	v_add_co_ci_u32_e64 v121, null, s5, v117, vcc_lo
	global_load_b128 v[116:119], v[120:121], off
	s_wait_loadcnt 0xf
	v_fma_f64 v[13:14], v[36:37], v[56:57], v[13:14]
	v_fma_f64 v[11:12], v[52:53], v[56:57], v[11:12]
	;; [unrolled: 1-line block ×3, first 2 shown]
	s_delay_alu instid0(VALU_DEP_3)
	v_fma_f64 v[122:123], v[38:39], v[58:59], v[13:14]
	v_fma_f64 v[13:14], v[28:29], v[56:57], v[15:16]
	v_lshlrev_b32_e32 v28, 2, v1
	global_load_b128 v[36:39], v[17:18], off offset:8288
	v_fma_f64 v[11:12], v[54:55], v[58:59], v[11:12]
	v_fma_f64 v[6:7], v[46:47], v[58:59], v[6:7]
	v_subrev_nc_u32_e32 v1, s12, v128
	v_ashrrev_i32_e32 v29, 31, v28
	global_load_b128 v[52:55], v[17:18], off offset:8256
	v_lshlrev_b64_e32 v[28:29], 3, v[28:29]
	s_delay_alu instid0(VALU_DEP_1) | instskip(SKIP_1) | instid1(VALU_DEP_2)
	v_add_co_u32 v126, vcc_lo, s4, v28
	s_wait_alu 0xfffd
	v_add_co_ci_u32_e64 v127, null, s5, v29, vcc_lo
	s_wait_loadcnt 0xe
	v_fma_f64 v[32:33], v[32:33], v[68:69], v[122:123]
	v_fma_f64 v[124:125], v[30:31], v[58:59], v[13:14]
	global_load_b128 v[28:31], v[120:121], off offset:16
	global_load_b128 v[13:16], v[17:18], off offset:8272
	s_clause 0x1
	global_load_b128 v[44:47], v[126:127], off
	global_load_b128 v[56:59], v[126:127], off offset:16
	v_fma_f64 v[11:12], v[48:49], v[68:69], v[11:12]
	v_fma_f64 v[6:7], v[40:41], v[68:69], v[6:7]
	v_lshlrev_b32_e32 v40, 2, v1
	s_delay_alu instid0(VALU_DEP_1) | instskip(NEXT) | instid1(VALU_DEP_1)
	v_ashrrev_i32_e32 v41, 31, v40
	v_lshlrev_b64_e32 v[40:41], 3, v[40:41]
	v_fma_f64 v[120:121], v[34:35], v[70:71], v[32:33]
	v_fma_f64 v[24:25], v[24:25], v[68:69], v[124:125]
	s_delay_alu instid0(VALU_DEP_3) | instskip(SKIP_1) | instid1(VALU_DEP_4)
	v_add_co_u32 v124, vcc_lo, s4, v40
	s_wait_alu 0xfffd
	v_add_co_ci_u32_e64 v125, null, s5, v41, vcc_lo
	v_fma_f64 v[11:12], v[50:51], v[70:71], v[11:12]
	v_fma_f64 v[6:7], v[42:43], v[70:71], v[6:7]
	s_clause 0x1
	global_load_b128 v[32:35], v[17:18], off offset:12320
	global_load_b128 v[48:51], v[17:18], off offset:12384
	v_cmp_ge_i32_e32 vcc_lo, v19, v22
	s_wait_alu 0xfffe
	s_or_b32 s10, vcc_lo, s10
	s_wait_loadcnt 0x8
	v_fma_f64 v[76:77], v[76:77], v[116:117], v[120:121]
	v_fma_f64 v[122:123], v[26:27], v[70:71], v[24:25]
	s_clause 0x1
	global_load_b128 v[24:27], v[17:18], off offset:12288
	global_load_b128 v[40:43], v[17:18], off offset:12352
	global_load_b128 v[68:71], v[124:125], off
	v_fma_f64 v[11:12], v[92:93], v[116:117], v[11:12]
	v_fma_f64 v[6:7], v[84:85], v[116:117], v[6:7]
	;; [unrolled: 1-line block ×4, first 2 shown]
	s_delay_alu instid0(VALU_DEP_4) | instskip(NEXT) | instid1(VALU_DEP_4)
	v_fma_f64 v[11:12], v[94:95], v[118:119], v[11:12]
	v_fma_f64 v[6:7], v[86:87], v[118:119], v[6:7]
	s_delay_alu instid0(VALU_DEP_3)
	v_fma_f64 v[122:123], v[66:67], v[118:119], v[64:65]
	s_clause 0x3
	global_load_b128 v[64:67], v[17:18], off offset:12336
	global_load_b128 v[76:79], v[17:18], off offset:12304
	;; [unrolled: 1-line block ×5, first 2 shown]
	v_add_co_u32 v17, s3, 0x4000, v17
	s_wait_alu 0xf1ff
	v_add_co_ci_u32_e64 v18, null, 0, v18, s3
	s_wait_loadcnt 0xd
	v_fma_f64 v[72:73], v[72:73], v[28:29], v[120:121]
	v_fma_f64 v[60:61], v[60:61], v[28:29], v[122:123]
	;; [unrolled: 1-line block ×4, first 2 shown]
	s_delay_alu instid0(VALU_DEP_4) | instskip(NEXT) | instid1(VALU_DEP_4)
	v_fma_f64 v[28:29], v[74:75], v[30:31], v[72:73]
	v_fma_f64 v[60:61], v[62:63], v[30:31], v[60:61]
	s_delay_alu instid0(VALU_DEP_4) | instskip(NEXT) | instid1(VALU_DEP_4)
	v_fma_f64 v[11:12], v[90:91], v[30:31], v[11:12]
	v_fma_f64 v[6:7], v[82:83], v[30:31], v[6:7]
	s_wait_loadcnt 0xb
	s_delay_alu instid0(VALU_DEP_4) | instskip(NEXT) | instid1(VALU_DEP_4)
	v_fma_f64 v[28:29], v[108:109], v[44:45], v[28:29]
	v_fma_f64 v[30:31], v[100:101], v[44:45], v[60:61]
	s_delay_alu instid0(VALU_DEP_4) | instskip(NEXT) | instid1(VALU_DEP_4)
	v_fma_f64 v[11:12], v[52:53], v[44:45], v[11:12]
	v_fma_f64 v[6:7], v[36:37], v[44:45], v[6:7]
	s_delay_alu instid0(VALU_DEP_4) | instskip(NEXT) | instid1(VALU_DEP_4)
	v_fma_f64 v[28:29], v[110:111], v[46:47], v[28:29]
	v_fma_f64 v[30:31], v[102:103], v[46:47], v[30:31]
	s_delay_alu instid0(VALU_DEP_4) | instskip(NEXT) | instid1(VALU_DEP_4)
	v_fma_f64 v[11:12], v[54:55], v[46:47], v[11:12]
	v_fma_f64 v[6:7], v[38:39], v[46:47], v[6:7]
	s_wait_loadcnt 0xa
	s_delay_alu instid0(VALU_DEP_4) | instskip(NEXT) | instid1(VALU_DEP_4)
	v_fma_f64 v[28:29], v[104:105], v[56:57], v[28:29]
	v_fma_f64 v[30:31], v[96:97], v[56:57], v[30:31]
	s_delay_alu instid0(VALU_DEP_4) | instskip(NEXT) | instid1(VALU_DEP_4)
	v_fma_f64 v[11:12], v[13:14], v[56:57], v[11:12]
	v_fma_f64 v[6:7], v[112:113], v[56:57], v[6:7]
	;; [unrolled: 13-line block ×4, first 2 shown]
	s_delay_alu instid0(VALU_DEP_4) | instskip(NEXT) | instid1(VALU_DEP_4)
	v_fma_f64 v[13:14], v[78:79], v[118:119], v[13:14]
	v_fma_f64 v[15:16], v[66:67], v[118:119], v[15:16]
	s_delay_alu instid0(VALU_DEP_4) | instskip(NEXT) | instid1(VALU_DEP_4)
	v_fma_f64 v[11:12], v[94:95], v[118:119], v[11:12]
	v_fma_f64 v[6:7], v[86:87], v[118:119], v[6:7]
	s_wait_alu 0xfffe
	s_and_not1_b32 exec_lo, exec_lo, s10
	s_cbranch_execnz .LBB8_21
; %bb.22:
	s_or_b32 exec_lo, exec_lo, s10
.LBB8_23:
	s_wait_alu 0xfffe
	s_or_b32 exec_lo, exec_lo, s7
.LBB8_24:
	s_wait_alu 0xfffe
	s_or_b32 exec_lo, exec_lo, s6
	s_cbranch_execz .LBB8_26
	s_branch .LBB8_37
.LBB8_25:
                                        ; implicit-def: $vgpr6_vgpr7
                                        ; implicit-def: $vgpr11_vgpr12
                                        ; implicit-def: $vgpr15_vgpr16
                                        ; implicit-def: $vgpr13_vgpr14
.LBB8_26:
	v_dual_mov_b32 v15, 0 :: v_dual_mov_b32 v6, 0
	v_dual_mov_b32 v11, 0 :: v_dual_mov_b32 v16, 0
	v_mov_b32_e32 v13, 0
	v_dual_mov_b32 v7, 0 :: v_dual_mov_b32 v12, 0
	v_mov_b32_e32 v14, 0
	s_and_saveexec_b32 s3, s2
	s_cbranch_execz .LBB8_36
; %bb.27:
	v_add_nc_u32_e32 v1, v23, v21
	v_mov_b32_e32 v13, 0
	v_dual_mov_b32 v14, 0 :: v_dual_mov_b32 v15, 0
	v_not_b32_e32 v6, v23
	s_delay_alu instid0(VALU_DEP_4) | instskip(SKIP_3) | instid1(VALU_DEP_3)
	v_subrev_nc_u32_e32 v1, s12, v1
	v_mov_b32_e32 v11, 0
	s_mov_b32 s2, exec_lo
	v_mov_b32_e32 v16, 0
	v_dual_mov_b32 v12, 0 :: v_dual_add_nc_u32 v1, 32, v1
	s_delay_alu instid0(VALU_DEP_1) | instskip(NEXT) | instid1(VALU_DEP_1)
	v_max_i32_e32 v1, v1, v22
	v_add3_u32 v1, s12, v1, v6
	v_mov_b32_e32 v6, 0
	v_mov_b32_e32 v7, 0
	s_delay_alu instid0(VALU_DEP_3) | instskip(NEXT) | instid1(VALU_DEP_1)
	v_sub_nc_u32_e32 v17, v1, v21
	v_and_b32_e32 v1, 0x60, v17
	s_delay_alu instid0(VALU_DEP_1)
	v_cmpx_ne_u32_e32 0x60, v1
	s_cbranch_execz .LBB8_31
; %bb.28:
	v_lshrrev_b32_e32 v1, 5, v17
	v_mov_b32_e32 v11, 0
	v_mov_b32_e32 v15, 0
	;; [unrolled: 1-line block ×3, first 2 shown]
	s_delay_alu instid0(VALU_DEP_4) | instskip(SKIP_3) | instid1(VALU_DEP_3)
	v_dual_mov_b32 v14, 0 :: v_dual_add_nc_u32 v1, 1, v1
	v_mov_b32_e32 v6, 0
	v_dual_mov_b32 v7, 0 :: v_dual_mov_b32 v16, 0
	s_mov_b32 s6, 0
	v_dual_mov_b32 v12, 0 :: v_dual_and_b32 v1, 3, v1
	s_delay_alu instid0(VALU_DEP_1)
	v_sub_nc_u32_e32 v18, 0, v1
.LBB8_29:                               ; =>This Inner Loop Header: Depth=1
	v_ashrrev_i32_e32 v1, 31, v0
	s_delay_alu instid0(VALU_DEP_2) | instskip(SKIP_2) | instid1(VALU_DEP_2)
	v_add_co_u32 v18, s7, v18, 1
	s_wait_alu 0xfffe
	s_or_b32 s6, s7, s6
	v_lshlrev_b64_e32 v[19:20], 2, v[0:1]
	v_add_nc_u32_e32 v0, 32, v0
	s_delay_alu instid0(VALU_DEP_2) | instskip(SKIP_1) | instid1(VALU_DEP_3)
	v_add_co_u32 v19, vcc_lo, s8, v19
	s_wait_alu 0xfffd
	v_add_co_ci_u32_e64 v20, null, s9, v20, vcc_lo
	global_load_b32 v1, v[19:20], off
	global_load_b128 v[23:26], v[4:5], off offset:16
	s_wait_loadcnt 0x1
	v_subrev_nc_u32_e32 v1, s12, v1
	s_delay_alu instid0(VALU_DEP_1) | instskip(NEXT) | instid1(VALU_DEP_1)
	v_lshlrev_b32_e32 v19, 2, v1
	v_ashrrev_i32_e32 v20, 31, v19
	s_delay_alu instid0(VALU_DEP_1) | instskip(SKIP_1) | instid1(VALU_DEP_1)
	v_lshlrev_b64_e32 v[19:20], 3, v[19:20]
	s_wait_kmcnt 0x0
	v_add_co_u32 v19, vcc_lo, s4, v19
	s_wait_alu 0xfffd
	s_delay_alu instid0(VALU_DEP_2)
	v_add_co_ci_u32_e64 v20, null, s5, v20, vcc_lo
	global_load_b128 v[27:30], v[4:5], off
	s_clause 0x1
	global_load_b128 v[31:34], v[19:20], off
	global_load_b128 v[35:38], v[19:20], off offset:16
	s_clause 0x5
	global_load_b128 v[39:42], v[4:5], off offset:32
	global_load_b128 v[43:46], v[4:5], off offset:48
	;; [unrolled: 1-line block ×6, first 2 shown]
	v_add_co_u32 v4, vcc_lo, 0x1000, v4
	s_wait_alu 0xfffd
	v_add_co_ci_u32_e64 v5, null, 0, v5, vcc_lo
	s_wait_loadcnt 0x7
	v_fma_f64 v[13:14], v[27:28], v[31:32], v[13:14]
	v_fma_f64 v[15:16], v[29:30], v[31:32], v[15:16]
	;; [unrolled: 1-line block ×4, first 2 shown]
	s_wait_loadcnt 0x5
	s_delay_alu instid0(VALU_DEP_4) | instskip(NEXT) | instid1(VALU_DEP_4)
	v_fma_f64 v[13:14], v[39:40], v[33:34], v[13:14]
	v_fma_f64 v[15:16], v[41:42], v[33:34], v[15:16]
	s_wait_loadcnt 0x4
	s_delay_alu instid0(VALU_DEP_4) | instskip(NEXT) | instid1(VALU_DEP_4)
	v_fma_f64 v[11:12], v[43:44], v[33:34], v[11:12]
	v_fma_f64 v[6:7], v[45:46], v[33:34], v[6:7]
	;; [unrolled: 4-line block ×6, first 2 shown]
	s_wait_alu 0xfffe
	s_and_not1_b32 exec_lo, exec_lo, s6
	s_cbranch_execnz .LBB8_29
; %bb.30:
	s_or_b32 exec_lo, exec_lo, s6
.LBB8_31:
	s_wait_alu 0xfffe
	s_or_b32 exec_lo, exec_lo, s2
	s_delay_alu instid0(SALU_CYCLE_1)
	s_mov_b32 s6, exec_lo
	v_cmpx_lt_u32_e32 0x5f, v17
	s_cbranch_execz .LBB8_35
; %bb.32:
	s_mov_b32 s7, 0
.LBB8_33:                               ; =>This Inner Loop Header: Depth=1
	v_ashrrev_i32_e32 v1, 31, v0
	s_delay_alu instid0(VALU_DEP_1) | instskip(SKIP_1) | instid1(VALU_DEP_2)
	v_lshlrev_b64_e32 v[17:18], 2, v[0:1]
	v_add_nc_u32_e32 v0, 0x80, v0
	v_add_co_u32 v23, vcc_lo, s8, v17
	s_wait_alu 0xfffd
	s_delay_alu instid0(VALU_DEP_3)
	v_add_co_ci_u32_e64 v24, null, s9, v18, vcc_lo
	s_clause 0x2
	global_load_b32 v1, v[23:24], off
	global_load_b32 v63, v[23:24], off offset:128
	global_load_b32 v103, v[23:24], off offset:256
	global_load_b128 v[17:20], v[4:5], off offset:16
	global_load_b32 v117, v[23:24], off offset:384
	s_wait_loadcnt 0x4
	v_subrev_nc_u32_e32 v1, s12, v1
	s_delay_alu instid0(VALU_DEP_1) | instskip(SKIP_2) | instid1(VALU_DEP_2)
	v_lshlrev_b32_e32 v23, 2, v1
	s_wait_loadcnt 0x3
	v_subrev_nc_u32_e32 v1, s12, v63
	v_ashrrev_i32_e32 v24, 31, v23
	s_delay_alu instid0(VALU_DEP_2) | instskip(SKIP_2) | instid1(VALU_DEP_3)
	v_lshlrev_b32_e32 v63, 2, v1
	s_wait_loadcnt 0x2
	v_subrev_nc_u32_e32 v1, s12, v103
	v_lshlrev_b64_e32 v[23:24], 3, v[23:24]
	s_delay_alu instid0(VALU_DEP_3) | instskip(NEXT) | instid1(VALU_DEP_3)
	v_ashrrev_i32_e32 v64, 31, v63
	v_lshlrev_b32_e32 v103, 2, v1
	s_wait_loadcnt 0x0
	v_subrev_nc_u32_e32 v1, s12, v117
	s_delay_alu instid0(VALU_DEP_3)
	v_lshlrev_b64_e32 v[63:64], 3, v[63:64]
	s_wait_kmcnt 0x0
	v_add_co_u32 v47, vcc_lo, s4, v23
	s_wait_alu 0xfffd
	v_add_co_ci_u32_e64 v48, null, s5, v24, vcc_lo
	v_ashrrev_i32_e32 v104, 31, v103
	global_load_b128 v[23:26], v[4:5], off
	global_load_b128 v[27:30], v[47:48], off
	s_clause 0x3
	global_load_b128 v[31:34], v[4:5], off offset:32
	global_load_b128 v[35:38], v[4:5], off offset:48
	global_load_b128 v[39:42], v[4:5], off offset:64
	global_load_b128 v[43:46], v[4:5], off offset:80
	global_load_b128 v[47:50], v[47:48], off offset:16
	s_clause 0x2
	global_load_b128 v[51:54], v[4:5], off offset:96
	global_load_b128 v[55:58], v[4:5], off offset:112
	;; [unrolled: 1-line block ×3, first 2 shown]
	v_add_co_u32 v87, vcc_lo, s4, v63
	s_wait_alu 0xfffd
	v_add_co_ci_u32_e64 v88, null, s5, v64, vcc_lo
	global_load_b128 v[63:66], v[4:5], off offset:4096
	global_load_b128 v[67:70], v[87:88], off
	s_clause 0x3
	global_load_b128 v[71:74], v[4:5], off offset:4128
	global_load_b128 v[75:78], v[4:5], off offset:4144
	;; [unrolled: 1-line block ×5, first 2 shown]
	s_clause 0x2
	global_load_b128 v[91:94], v[4:5], off offset:4192
	global_load_b128 v[95:98], v[4:5], off offset:4208
	;; [unrolled: 1-line block ×3, first 2 shown]
	v_lshlrev_b64_e32 v[103:104], 3, v[103:104]
	s_delay_alu instid0(VALU_DEP_1) | instskip(SKIP_1) | instid1(VALU_DEP_2)
	v_add_co_u32 v111, vcc_lo, s4, v103
	s_wait_alu 0xfffd
	v_add_co_ci_u32_e64 v112, null, s5, v104, vcc_lo
	global_load_b128 v[103:106], v[4:5], off offset:8192
	global_load_b128 v[107:110], v[111:112], off
	s_wait_loadcnt 0x14
	v_fma_f64 v[23:24], v[23:24], v[27:28], v[13:14]
	v_fma_f64 v[25:26], v[25:26], v[27:28], v[15:16]
	;; [unrolled: 1-line block ×4, first 2 shown]
	s_clause 0x1
	global_load_b128 v[11:14], v[4:5], off offset:8224
	global_load_b128 v[15:18], v[4:5], off offset:8240
	s_wait_loadcnt 0x15
	v_fma_f64 v[19:20], v[31:32], v[29:30], v[23:24]
	v_fma_f64 v[115:116], v[33:34], v[29:30], v[25:26]
	s_wait_loadcnt 0x14
	v_fma_f64 v[35:36], v[35:36], v[29:30], v[113:114]
	v_fma_f64 v[6:7], v[37:38], v[29:30], v[6:7]
	s_clause 0x1
	global_load_b128 v[23:26], v[4:5], off offset:8256
	global_load_b128 v[27:30], v[4:5], off offset:8272
	;; [unrolled: 1-line block ×3, first 2 shown]
	s_wait_loadcnt 0x14
	v_fma_f64 v[19:20], v[39:40], v[47:48], v[19:20]
	v_fma_f64 v[111:112], v[41:42], v[47:48], v[115:116]
	;; [unrolled: 1-line block ×4, first 2 shown]
	s_clause 0x2
	global_load_b128 v[35:38], v[4:5], off offset:8288
	global_load_b128 v[39:42], v[4:5], off offset:8304
	;; [unrolled: 1-line block ×3, first 2 shown]
	v_lshlrev_b32_e32 v47, 2, v1
	s_delay_alu instid0(VALU_DEP_1) | instskip(NEXT) | instid1(VALU_DEP_1)
	v_ashrrev_i32_e32 v48, 31, v47
	v_lshlrev_b64_e32 v[47:48], 3, v[47:48]
	s_wait_loadcnt 0x16
	v_fma_f64 v[19:20], v[51:52], v[49:50], v[19:20]
	v_fma_f64 v[111:112], v[53:54], v[49:50], v[111:112]
	s_wait_loadcnt 0x15
	v_fma_f64 v[55:56], v[55:56], v[49:50], v[113:114]
	v_fma_f64 v[6:7], v[57:58], v[49:50], v[6:7]
	v_add_co_u32 v113, vcc_lo, s4, v47
	s_wait_alu 0xfffd
	v_add_co_ci_u32_e64 v114, null, s5, v48, vcc_lo
	global_load_b128 v[47:50], v[4:5], off offset:12288
	global_load_b128 v[51:54], v[113:114], off
	v_cmp_ge_i32_e32 vcc_lo, v0, v22
	s_wait_alu 0xfffe
	s_or_b32 s7, vcc_lo, s7
	s_wait_loadcnt 0x14
	v_fma_f64 v[19:20], v[63:64], v[67:68], v[19:20]
	v_fma_f64 v[63:64], v[65:66], v[67:68], v[111:112]
	;; [unrolled: 1-line block ×4, first 2 shown]
	s_clause 0x1
	global_load_b128 v[55:58], v[4:5], off offset:12320
	global_load_b128 v[59:62], v[4:5], off offset:12336
	s_wait_loadcnt 0x15
	v_fma_f64 v[19:20], v[71:72], v[69:70], v[19:20]
	v_fma_f64 v[111:112], v[73:74], v[69:70], v[63:64]
	s_wait_loadcnt 0x14
	v_fma_f64 v[75:76], v[75:76], v[69:70], v[65:66]
	v_fma_f64 v[6:7], v[77:78], v[69:70], v[6:7]
	s_clause 0x1
	global_load_b128 v[63:66], v[4:5], off offset:12352
	global_load_b128 v[67:70], v[4:5], off offset:12368
	;; [unrolled: 1-line block ×3, first 2 shown]
	s_wait_loadcnt 0x14
	v_fma_f64 v[19:20], v[79:80], v[87:88], v[19:20]
	v_fma_f64 v[111:112], v[81:82], v[87:88], v[111:112]
	v_fma_f64 v[83:84], v[83:84], v[87:88], v[75:76]
	v_fma_f64 v[6:7], v[85:86], v[87:88], v[6:7]
	s_clause 0x1
	global_load_b128 v[75:78], v[4:5], off offset:12384
	global_load_b128 v[79:82], v[4:5], off offset:12400
	v_add_co_u32 v4, s2, 0x4000, v4
	s_wait_alu 0xf1ff
	v_add_co_ci_u32_e64 v5, null, 0, v5, s2
	s_wait_loadcnt 0x15
	v_fma_f64 v[19:20], v[91:92], v[89:90], v[19:20]
	v_fma_f64 v[85:86], v[93:94], v[89:90], v[111:112]
	s_wait_loadcnt 0x14
	v_fma_f64 v[83:84], v[95:96], v[89:90], v[83:84]
	v_fma_f64 v[6:7], v[97:98], v[89:90], v[6:7]
	s_wait_loadcnt 0x11
	s_delay_alu instid0(VALU_DEP_4) | instskip(NEXT) | instid1(VALU_DEP_4)
	v_fma_f64 v[19:20], v[103:104], v[107:108], v[19:20]
	v_fma_f64 v[85:86], v[105:106], v[107:108], v[85:86]
	s_delay_alu instid0(VALU_DEP_4) | instskip(NEXT) | instid1(VALU_DEP_4)
	v_fma_f64 v[83:84], v[99:100], v[107:108], v[83:84]
	v_fma_f64 v[6:7], v[101:102], v[107:108], v[6:7]
	s_wait_loadcnt 0x10
	s_delay_alu instid0(VALU_DEP_4) | instskip(NEXT) | instid1(VALU_DEP_4)
	v_fma_f64 v[11:12], v[11:12], v[109:110], v[19:20]
	v_fma_f64 v[13:14], v[13:14], v[109:110], v[85:86]
	s_wait_loadcnt 0xf
	s_delay_alu instid0(VALU_DEP_4) | instskip(NEXT) | instid1(VALU_DEP_4)
	v_fma_f64 v[15:16], v[15:16], v[109:110], v[83:84]
	v_fma_f64 v[6:7], v[17:18], v[109:110], v[6:7]
	s_wait_loadcnt 0xc
	s_delay_alu instid0(VALU_DEP_4) | instskip(NEXT) | instid1(VALU_DEP_4)
	v_fma_f64 v[11:12], v[23:24], v[31:32], v[11:12]
	v_fma_f64 v[13:14], v[25:26], v[31:32], v[13:14]
	s_delay_alu instid0(VALU_DEP_4) | instskip(NEXT) | instid1(VALU_DEP_4)
	v_fma_f64 v[15:16], v[27:28], v[31:32], v[15:16]
	v_fma_f64 v[6:7], v[29:30], v[31:32], v[6:7]
	s_wait_loadcnt 0xb
	s_delay_alu instid0(VALU_DEP_4) | instskip(NEXT) | instid1(VALU_DEP_4)
	v_fma_f64 v[11:12], v[35:36], v[33:34], v[11:12]
	v_fma_f64 v[13:14], v[37:38], v[33:34], v[13:14]
	s_wait_loadcnt 0xa
	s_delay_alu instid0(VALU_DEP_4) | instskip(NEXT) | instid1(VALU_DEP_4)
	;; [unrolled: 15-line block ×4, first 2 shown]
	v_fma_f64 v[11:12], v[79:80], v[73:74], v[19:20]
	v_fma_f64 v[6:7], v[81:82], v[73:74], v[6:7]
	s_wait_alu 0xfffe
	s_and_not1_b32 exec_lo, exec_lo, s7
	s_cbranch_execnz .LBB8_33
; %bb.34:
	s_or_b32 exec_lo, exec_lo, s7
.LBB8_35:
	s_wait_alu 0xfffe
	s_or_b32 exec_lo, exec_lo, s6
.LBB8_36:
	s_wait_alu 0xfffe
	s_or_b32 exec_lo, exec_lo, s3
.LBB8_37:
	v_mbcnt_lo_u32_b32 v24, -1, 0
	s_delay_alu instid0(VALU_DEP_1) | instskip(NEXT) | instid1(VALU_DEP_1)
	v_xor_b32_e32 v0, 16, v24
	v_cmp_gt_i32_e32 vcc_lo, 32, v0
	s_wait_alu 0xfffd
	v_cndmask_b32_e32 v0, v24, v0, vcc_lo
	s_delay_alu instid0(VALU_DEP_1)
	v_lshlrev_b32_e32 v20, 2, v0
	ds_bpermute_b32 v0, v20, v13
	ds_bpermute_b32 v1, v20, v14
	s_wait_dscnt 0x0
	v_add_f64_e32 v[0:1], v[13:14], v[0:1]
	v_xor_b32_e32 v13, 8, v24
	s_delay_alu instid0(VALU_DEP_1)
	v_cmp_gt_i32_e32 vcc_lo, 32, v13
	s_wait_alu 0xfffd
	v_cndmask_b32_e32 v13, v24, v13, vcc_lo
	ds_bpermute_b32 v4, v20, v15
	ds_bpermute_b32 v5, v20, v16
	;; [unrolled: 1-line block ×6, first 2 shown]
	s_wait_dscnt 0x4
	v_add_f64_e32 v[4:5], v[15:16], v[4:5]
	s_wait_dscnt 0x2
	v_add_f64_e32 v[11:12], v[11:12], v[17:18]
	;; [unrolled: 2-line block ×3, first 2 shown]
	v_lshlrev_b32_e32 v20, 2, v13
	ds_bpermute_b32 v13, v20, v0
	ds_bpermute_b32 v14, v20, v1
	s_wait_dscnt 0x0
	v_add_f64_e32 v[0:1], v[0:1], v[13:14]
	v_xor_b32_e32 v13, 4, v24
	s_delay_alu instid0(VALU_DEP_1)
	v_cmp_gt_i32_e32 vcc_lo, 32, v13
	ds_bpermute_b32 v15, v20, v4
	ds_bpermute_b32 v16, v20, v5
	;; [unrolled: 1-line block ×6, first 2 shown]
	s_wait_alu 0xfffd
	v_cndmask_b32_e32 v13, v24, v13, vcc_lo
	s_wait_dscnt 0x4
	v_add_f64_e32 v[4:5], v[4:5], v[15:16]
	s_wait_dscnt 0x2
	v_add_f64_e32 v[11:12], v[11:12], v[17:18]
	;; [unrolled: 2-line block ×3, first 2 shown]
	v_lshlrev_b32_e32 v20, 2, v13
	ds_bpermute_b32 v13, v20, v0
	ds_bpermute_b32 v14, v20, v1
	s_wait_dscnt 0x0
	v_add_f64_e32 v[0:1], v[0:1], v[13:14]
	ds_bpermute_b32 v15, v20, v4
	ds_bpermute_b32 v16, v20, v5
	;; [unrolled: 1-line block ×6, first 2 shown]
	s_wait_dscnt 0x4
	v_add_f64_e32 v[4:5], v[4:5], v[15:16]
	s_wait_dscnt 0x2
	v_add_f64_e32 v[13:14], v[11:12], v[17:18]
	;; [unrolled: 2-line block ×3, first 2 shown]
	v_xor_b32_e32 v6, 2, v24
	s_delay_alu instid0(VALU_DEP_1) | instskip(SKIP_2) | instid1(VALU_DEP_1)
	v_cmp_gt_i32_e32 vcc_lo, 32, v6
	s_wait_alu 0xfffd
	v_cndmask_b32_e32 v6, v24, v6, vcc_lo
	v_lshlrev_b32_e32 v11, 2, v6
	ds_bpermute_b32 v6, v11, v0
	ds_bpermute_b32 v7, v11, v1
	;; [unrolled: 1-line block ×8, first 2 shown]
	s_wait_dscnt 0x6
	v_add_f64_e32 v[11:12], v[0:1], v[6:7]
	s_wait_dscnt 0x4
	v_add_f64_e32 v[6:7], v[4:5], v[17:18]
	;; [unrolled: 2-line block ×3, first 2 shown]
	v_xor_b32_e32 v13, 1, v24
	s_wait_dscnt 0x0
	v_add_f64_e32 v[4:5], v[15:16], v[22:23]
	s_delay_alu instid0(VALU_DEP_2) | instskip(SKIP_3) | instid1(VALU_DEP_2)
	v_cmp_gt_i32_e32 vcc_lo, 32, v13
	s_wait_alu 0xfffd
	v_cndmask_b32_e32 v13, v24, v13, vcc_lo
	v_cmp_eq_u32_e32 vcc_lo, 31, v21
	v_lshlrev_b32_e32 v14, 2, v13
	ds_bpermute_b32 v19, v14, v11
	ds_bpermute_b32 v20, v14, v12
	ds_bpermute_b32 v17, v14, v6
	ds_bpermute_b32 v18, v14, v7
	ds_bpermute_b32 v15, v14, v0
	ds_bpermute_b32 v16, v14, v1
	ds_bpermute_b32 v13, v14, v4
	ds_bpermute_b32 v14, v14, v5
	s_and_b32 exec_lo, exec_lo, vcc_lo
	s_cbranch_execz .LBB8_10
; %bb.38:
	s_wait_dscnt 0x6
	v_add_f64_e32 v[11:12], v[11:12], v[19:20]
	s_wait_dscnt 0x4
	v_add_f64_e32 v[6:7], v[6:7], v[17:18]
	;; [unrolled: 2-line block ×4, first 2 shown]
	s_load_b64 s[0:1], s[0:1], 0x50
	v_lshlrev_b32_e32 v10, 2, v10
	s_mov_b32 s2, exec_lo
	v_mul_f64_e32 v[4:5], v[2:3], v[11:12]
	v_mul_f64_e32 v[6:7], v[2:3], v[6:7]
	;; [unrolled: 1-line block ×4, first 2 shown]
	v_cmpx_eq_f64_e32 0, v[8:9]
	s_wait_alu 0xfffe
	s_xor_b32 s2, exec_lo, s2
	s_cbranch_execz .LBB8_40
; %bb.39:
	v_ashrrev_i32_e32 v11, 31, v10
	s_delay_alu instid0(VALU_DEP_1) | instskip(SKIP_1) | instid1(VALU_DEP_1)
	v_lshlrev_b64_e32 v[8:9], 3, v[10:11]
                                        ; implicit-def: $vgpr10
	s_wait_kmcnt 0x0
	v_add_co_u32 v8, vcc_lo, s0, v8
	s_wait_alu 0xfffd
	s_delay_alu instid0(VALU_DEP_2)
	v_add_co_ci_u32_e64 v9, null, s1, v9, vcc_lo
	s_clause 0x1
	global_store_b128 v[8:9], v[4:7], off
	global_store_b128 v[8:9], v[0:3], off offset:16
                                        ; implicit-def: $vgpr8_vgpr9
                                        ; implicit-def: $vgpr4_vgpr5
                                        ; implicit-def: $vgpr0_vgpr1
.LBB8_40:
	s_wait_alu 0xfffe
	s_and_not1_saveexec_b32 s2, s2
	s_cbranch_execz .LBB8_10
; %bb.41:
	v_ashrrev_i32_e32 v11, 31, v10
	s_delay_alu instid0(VALU_DEP_1) | instskip(SKIP_1) | instid1(VALU_DEP_1)
	v_lshlrev_b64_e32 v[10:11], 3, v[10:11]
	s_wait_kmcnt 0x0
	v_add_co_u32 v18, vcc_lo, s0, v10
	s_wait_alu 0xfffd
	s_delay_alu instid0(VALU_DEP_2)
	v_add_co_ci_u32_e64 v19, null, s1, v11, vcc_lo
	s_clause 0x1
	global_load_b128 v[10:13], v[18:19], off
	global_load_b128 v[14:17], v[18:19], off offset:16
	s_wait_loadcnt 0x1
	v_fma_f64 v[4:5], v[8:9], v[10:11], v[4:5]
	v_fma_f64 v[6:7], v[8:9], v[12:13], v[6:7]
	s_wait_loadcnt 0x0
	v_fma_f64 v[0:1], v[8:9], v[14:15], v[0:1]
	v_fma_f64 v[2:3], v[8:9], v[16:17], v[2:3]
	s_clause 0x1
	global_store_b128 v[18:19], v[4:7], off
	global_store_b128 v[18:19], v[0:3], off offset:16
	s_nop 0
	s_sendmsg sendmsg(MSG_DEALLOC_VGPRS)
	s_endpgm
	.section	.rodata,"a",@progbits
	.p2align	6, 0x0
	.amdhsa_kernel _ZN9rocsparseL18bsrxmvn_4x4_kernelILj128ELj32EdiidddEEvT3_20rocsparse_direction_NS_24const_host_device_scalarIT1_EES1_PKS1_PKT2_SA_S7_PKT4_PKT5_S5_PT6_21rocsparse_index_base_b
		.amdhsa_group_segment_fixed_size 0
		.amdhsa_private_segment_fixed_size 0
		.amdhsa_kernarg_size 96
		.amdhsa_user_sgpr_count 2
		.amdhsa_user_sgpr_dispatch_ptr 0
		.amdhsa_user_sgpr_queue_ptr 0
		.amdhsa_user_sgpr_kernarg_segment_ptr 1
		.amdhsa_user_sgpr_dispatch_id 0
		.amdhsa_user_sgpr_private_segment_size 0
		.amdhsa_wavefront_size32 1
		.amdhsa_uses_dynamic_stack 0
		.amdhsa_enable_private_segment 0
		.amdhsa_system_sgpr_workgroup_id_x 1
		.amdhsa_system_sgpr_workgroup_id_y 0
		.amdhsa_system_sgpr_workgroup_id_z 0
		.amdhsa_system_sgpr_workgroup_info 0
		.amdhsa_system_vgpr_workitem_id 0
		.amdhsa_next_free_vgpr 129
		.amdhsa_next_free_sgpr 14
		.amdhsa_reserve_vcc 1
		.amdhsa_float_round_mode_32 0
		.amdhsa_float_round_mode_16_64 0
		.amdhsa_float_denorm_mode_32 3
		.amdhsa_float_denorm_mode_16_64 3
		.amdhsa_fp16_overflow 0
		.amdhsa_workgroup_processor_mode 1
		.amdhsa_memory_ordered 1
		.amdhsa_forward_progress 1
		.amdhsa_inst_pref_size 47
		.amdhsa_round_robin_scheduling 0
		.amdhsa_exception_fp_ieee_invalid_op 0
		.amdhsa_exception_fp_denorm_src 0
		.amdhsa_exception_fp_ieee_div_zero 0
		.amdhsa_exception_fp_ieee_overflow 0
		.amdhsa_exception_fp_ieee_underflow 0
		.amdhsa_exception_fp_ieee_inexact 0
		.amdhsa_exception_int_div_zero 0
	.end_amdhsa_kernel
	.section	.text._ZN9rocsparseL18bsrxmvn_4x4_kernelILj128ELj32EdiidddEEvT3_20rocsparse_direction_NS_24const_host_device_scalarIT1_EES1_PKS1_PKT2_SA_S7_PKT4_PKT5_S5_PT6_21rocsparse_index_base_b,"axG",@progbits,_ZN9rocsparseL18bsrxmvn_4x4_kernelILj128ELj32EdiidddEEvT3_20rocsparse_direction_NS_24const_host_device_scalarIT1_EES1_PKS1_PKT2_SA_S7_PKT4_PKT5_S5_PT6_21rocsparse_index_base_b,comdat
.Lfunc_end8:
	.size	_ZN9rocsparseL18bsrxmvn_4x4_kernelILj128ELj32EdiidddEEvT3_20rocsparse_direction_NS_24const_host_device_scalarIT1_EES1_PKS1_PKT2_SA_S7_PKT4_PKT5_S5_PT6_21rocsparse_index_base_b, .Lfunc_end8-_ZN9rocsparseL18bsrxmvn_4x4_kernelILj128ELj32EdiidddEEvT3_20rocsparse_direction_NS_24const_host_device_scalarIT1_EES1_PKS1_PKT2_SA_S7_PKT4_PKT5_S5_PT6_21rocsparse_index_base_b
                                        ; -- End function
	.set _ZN9rocsparseL18bsrxmvn_4x4_kernelILj128ELj32EdiidddEEvT3_20rocsparse_direction_NS_24const_host_device_scalarIT1_EES1_PKS1_PKT2_SA_S7_PKT4_PKT5_S5_PT6_21rocsparse_index_base_b.num_vgpr, 129
	.set _ZN9rocsparseL18bsrxmvn_4x4_kernelILj128ELj32EdiidddEEvT3_20rocsparse_direction_NS_24const_host_device_scalarIT1_EES1_PKS1_PKT2_SA_S7_PKT4_PKT5_S5_PT6_21rocsparse_index_base_b.num_agpr, 0
	.set _ZN9rocsparseL18bsrxmvn_4x4_kernelILj128ELj32EdiidddEEvT3_20rocsparse_direction_NS_24const_host_device_scalarIT1_EES1_PKS1_PKT2_SA_S7_PKT4_PKT5_S5_PT6_21rocsparse_index_base_b.numbered_sgpr, 14
	.set _ZN9rocsparseL18bsrxmvn_4x4_kernelILj128ELj32EdiidddEEvT3_20rocsparse_direction_NS_24const_host_device_scalarIT1_EES1_PKS1_PKT2_SA_S7_PKT4_PKT5_S5_PT6_21rocsparse_index_base_b.num_named_barrier, 0
	.set _ZN9rocsparseL18bsrxmvn_4x4_kernelILj128ELj32EdiidddEEvT3_20rocsparse_direction_NS_24const_host_device_scalarIT1_EES1_PKS1_PKT2_SA_S7_PKT4_PKT5_S5_PT6_21rocsparse_index_base_b.private_seg_size, 0
	.set _ZN9rocsparseL18bsrxmvn_4x4_kernelILj128ELj32EdiidddEEvT3_20rocsparse_direction_NS_24const_host_device_scalarIT1_EES1_PKS1_PKT2_SA_S7_PKT4_PKT5_S5_PT6_21rocsparse_index_base_b.uses_vcc, 1
	.set _ZN9rocsparseL18bsrxmvn_4x4_kernelILj128ELj32EdiidddEEvT3_20rocsparse_direction_NS_24const_host_device_scalarIT1_EES1_PKS1_PKT2_SA_S7_PKT4_PKT5_S5_PT6_21rocsparse_index_base_b.uses_flat_scratch, 0
	.set _ZN9rocsparseL18bsrxmvn_4x4_kernelILj128ELj32EdiidddEEvT3_20rocsparse_direction_NS_24const_host_device_scalarIT1_EES1_PKS1_PKT2_SA_S7_PKT4_PKT5_S5_PT6_21rocsparse_index_base_b.has_dyn_sized_stack, 0
	.set _ZN9rocsparseL18bsrxmvn_4x4_kernelILj128ELj32EdiidddEEvT3_20rocsparse_direction_NS_24const_host_device_scalarIT1_EES1_PKS1_PKT2_SA_S7_PKT4_PKT5_S5_PT6_21rocsparse_index_base_b.has_recursion, 0
	.set _ZN9rocsparseL18bsrxmvn_4x4_kernelILj128ELj32EdiidddEEvT3_20rocsparse_direction_NS_24const_host_device_scalarIT1_EES1_PKS1_PKT2_SA_S7_PKT4_PKT5_S5_PT6_21rocsparse_index_base_b.has_indirect_call, 0
	.section	.AMDGPU.csdata,"",@progbits
; Kernel info:
; codeLenInByte = 5960
; TotalNumSgprs: 16
; NumVgprs: 129
; ScratchSize: 0
; MemoryBound: 1
; FloatMode: 240
; IeeeMode: 1
; LDSByteSize: 0 bytes/workgroup (compile time only)
; SGPRBlocks: 0
; VGPRBlocks: 16
; NumSGPRsForWavesPerEU: 16
; NumVGPRsForWavesPerEU: 129
; Occupancy: 10
; WaveLimiterHint : 1
; COMPUTE_PGM_RSRC2:SCRATCH_EN: 0
; COMPUTE_PGM_RSRC2:USER_SGPR: 2
; COMPUTE_PGM_RSRC2:TRAP_HANDLER: 0
; COMPUTE_PGM_RSRC2:TGID_X_EN: 1
; COMPUTE_PGM_RSRC2:TGID_Y_EN: 0
; COMPUTE_PGM_RSRC2:TGID_Z_EN: 0
; COMPUTE_PGM_RSRC2:TIDIG_COMP_CNT: 0
	.section	.text._ZN9rocsparseL18bsrxmvn_4x4_kernelILj128ELj64EdiidddEEvT3_20rocsparse_direction_NS_24const_host_device_scalarIT1_EES1_PKS1_PKT2_SA_S7_PKT4_PKT5_S5_PT6_21rocsparse_index_base_b,"axG",@progbits,_ZN9rocsparseL18bsrxmvn_4x4_kernelILj128ELj64EdiidddEEvT3_20rocsparse_direction_NS_24const_host_device_scalarIT1_EES1_PKS1_PKT2_SA_S7_PKT4_PKT5_S5_PT6_21rocsparse_index_base_b,comdat
	.globl	_ZN9rocsparseL18bsrxmvn_4x4_kernelILj128ELj64EdiidddEEvT3_20rocsparse_direction_NS_24const_host_device_scalarIT1_EES1_PKS1_PKT2_SA_S7_PKT4_PKT5_S5_PT6_21rocsparse_index_base_b ; -- Begin function _ZN9rocsparseL18bsrxmvn_4x4_kernelILj128ELj64EdiidddEEvT3_20rocsparse_direction_NS_24const_host_device_scalarIT1_EES1_PKS1_PKT2_SA_S7_PKT4_PKT5_S5_PT6_21rocsparse_index_base_b
	.p2align	8
	.type	_ZN9rocsparseL18bsrxmvn_4x4_kernelILj128ELj64EdiidddEEvT3_20rocsparse_direction_NS_24const_host_device_scalarIT1_EES1_PKS1_PKT2_SA_S7_PKT4_PKT5_S5_PT6_21rocsparse_index_base_b,@function
_ZN9rocsparseL18bsrxmvn_4x4_kernelILj128ELj64EdiidddEEvT3_20rocsparse_direction_NS_24const_host_device_scalarIT1_EES1_PKS1_PKT2_SA_S7_PKT4_PKT5_S5_PT6_21rocsparse_index_base_b: ; @_ZN9rocsparseL18bsrxmvn_4x4_kernelILj128ELj64EdiidddEEvT3_20rocsparse_direction_NS_24const_host_device_scalarIT1_EES1_PKS1_PKT2_SA_S7_PKT4_PKT5_S5_PT6_21rocsparse_index_base_b
; %bb.0:
	s_clause 0x2
	s_load_b64 s[12:13], s[0:1], 0x58
	s_load_b64 s[4:5], s[0:1], 0x8
	;; [unrolled: 1-line block ×3, first 2 shown]
	s_wait_kmcnt 0x0
	s_bitcmp1_b32 s13, 0
	v_dual_mov_b32 v2, s4 :: v_dual_mov_b32 v3, s5
	s_cselect_b32 s6, -1, 0
	s_delay_alu instid0(SALU_CYCLE_1)
	s_and_b32 vcc_lo, exec_lo, s6
	s_xor_b32 s6, s6, -1
	s_cbranch_vccnz .LBB9_2
; %bb.1:
	v_dual_mov_b32 v1, s4 :: v_dual_mov_b32 v2, s5
	flat_load_b64 v[2:3], v[1:2]
.LBB9_2:
	v_dual_mov_b32 v9, s3 :: v_dual_mov_b32 v8, s2
	s_and_not1_b32 vcc_lo, exec_lo, s6
	s_cbranch_vccnz .LBB9_4
; %bb.3:
	v_dual_mov_b32 v5, s3 :: v_dual_mov_b32 v4, s2
	flat_load_b64 v[8:9], v[4:5]
.LBB9_4:
	s_wait_loadcnt_dscnt 0x0
	v_cmp_neq_f64_e32 vcc_lo, 0, v[2:3]
	v_cmp_neq_f64_e64 s2, 1.0, v[8:9]
	s_or_b32 s2, vcc_lo, s2
	s_wait_alu 0xfffe
	s_and_saveexec_b32 s3, s2
	s_cbranch_execz .LBB9_10
; %bb.5:
	s_clause 0x1
	s_load_b64 s[4:5], s[0:1], 0x18
	s_load_b64 s[2:3], s[0:1], 0x0
	v_lshrrev_b32_e32 v1, 6, v0
	s_delay_alu instid0(VALU_DEP_1)
	v_lshl_or_b32 v10, ttmp9, 1, v1
	s_wait_kmcnt 0x0
	s_cmp_lg_u64 s[4:5], 0
	s_cbranch_scc0 .LBB9_11
; %bb.6:
	s_load_b32 s6, s[0:1], 0x10
	s_mov_b32 s7, 0
                                        ; implicit-def: $vgpr1
	s_wait_kmcnt 0x0
	v_cmp_gt_i32_e32 vcc_lo, s6, v10
	s_mov_b32 s6, 0
	s_and_saveexec_b32 s8, vcc_lo
	s_delay_alu instid0(SALU_CYCLE_1)
	s_xor_b32 s8, exec_lo, s8
	s_cbranch_execz .LBB9_8
; %bb.7:
	v_ashrrev_i32_e32 v11, 31, v10
	s_mov_b32 s6, exec_lo
	s_delay_alu instid0(VALU_DEP_1) | instskip(NEXT) | instid1(VALU_DEP_1)
	v_lshlrev_b64_e32 v[4:5], 2, v[10:11]
	v_add_co_u32 v4, vcc_lo, s4, v4
	s_delay_alu instid0(VALU_DEP_1)
	v_add_co_ci_u32_e64 v5, null, s5, v5, vcc_lo
	global_load_b32 v1, v[4:5], off
	s_wait_loadcnt 0x0
	v_subrev_nc_u32_e32 v1, s12, v1
.LBB9_8:
	s_or_b32 exec_lo, exec_lo, s8
	s_delay_alu instid0(SALU_CYCLE_1)
	s_and_b32 vcc_lo, exec_lo, s7
	s_wait_alu 0xfffe
	s_cbranch_vccz .LBB9_12
.LBB9_9:
	v_cmp_gt_i32_e32 vcc_lo, s2, v10
	s_and_not1_b32 s2, s6, exec_lo
	s_and_b32 s4, vcc_lo, exec_lo
	s_wait_alu 0xfffe
	s_or_b32 s6, s2, s4
	s_wait_alu 0xfffe
	s_and_b32 exec_lo, exec_lo, s6
	s_cbranch_execnz .LBB9_13
.LBB9_10:
	s_nop 0
	s_sendmsg sendmsg(MSG_DEALLOC_VGPRS)
	s_endpgm
.LBB9_11:
	s_mov_b32 s6, 0
                                        ; implicit-def: $vgpr1
	s_cbranch_execnz .LBB9_9
.LBB9_12:
	v_mov_b32_e32 v10, v1
	s_and_b32 exec_lo, exec_lo, s6
	s_cbranch_execz .LBB9_10
.LBB9_13:
	s_load_b256 s[4:11], s[0:1], 0x20
	s_delay_alu instid0(VALU_DEP_1) | instskip(SKIP_1) | instid1(VALU_DEP_2)
	v_ashrrev_i32_e32 v11, 31, v10
	v_and_b32_e32 v21, 63, v0
	v_lshlrev_b64_e32 v[4:5], 2, v[10:11]
	s_wait_kmcnt 0x0
	s_delay_alu instid0(VALU_DEP_1) | instskip(SKIP_1) | instid1(VALU_DEP_2)
	v_add_co_u32 v6, vcc_lo, s4, v4
	s_wait_alu 0xfffd
	v_add_co_ci_u32_e64 v7, null, s5, v5, vcc_lo
	v_add_co_u32 v1, vcc_lo, s6, v4
	s_wait_alu 0xfffd
	v_add_co_ci_u32_e64 v4, null, s7, v5, vcc_lo
	global_load_b32 v23, v[6:7], off
	v_add_co_u32 v6, vcc_lo, v6, 4
	s_wait_alu 0xfffd
	v_add_co_ci_u32_e64 v5, null, 0, v7, vcc_lo
	s_cmp_eq_u64 s[6:7], 0
	s_load_b64 s[4:5], s[0:1], 0x40
	s_cselect_b32 vcc_lo, -1, 0
	s_cmp_eq_u32 s3, 1
	s_wait_alu 0xfffe
	v_dual_cndmask_b32 v5, v4, v5 :: v_dual_cndmask_b32 v4, v1, v6
	global_load_b32 v6, v[4:5], off
	s_wait_loadcnt 0x1
	v_subrev_nc_u32_e32 v0, s12, v23
	s_delay_alu instid0(VALU_DEP_1) | instskip(NEXT) | instid1(VALU_DEP_1)
	v_add_nc_u32_e32 v0, v0, v21
	v_ashrrev_i32_e32 v1, 31, v0
	s_wait_loadcnt 0x0
	v_subrev_nc_u32_e32 v22, s12, v6
	s_delay_alu instid0(VALU_DEP_2) | instskip(NEXT) | instid1(VALU_DEP_2)
	v_lshlrev_b64_e32 v[4:5], 7, v[0:1]
	v_cmp_lt_i32_e64 s2, v0, v22
	s_delay_alu instid0(VALU_DEP_2) | instskip(SKIP_1) | instid1(VALU_DEP_3)
	v_add_co_u32 v4, vcc_lo, s10, v4
	s_wait_alu 0xfffd
	v_add_co_ci_u32_e64 v5, null, s11, v5, vcc_lo
	s_cbranch_scc1 .LBB9_25
; %bb.14:
	v_dual_mov_b32 v15, 0 :: v_dual_mov_b32 v6, 0
	v_dual_mov_b32 v11, 0 :: v_dual_mov_b32 v16, 0
	v_mov_b32_e32 v13, 0
	v_dual_mov_b32 v7, 0 :: v_dual_mov_b32 v12, 0
	v_mov_b32_e32 v14, 0
	s_and_saveexec_b32 s6, s2
	s_cbranch_execz .LBB9_24
; %bb.15:
	v_add_nc_u32_e32 v1, v23, v21
	v_mov_b32_e32 v13, 0
	v_dual_mov_b32 v14, 0 :: v_dual_mov_b32 v15, 0
	v_not_b32_e32 v6, v23
	s_delay_alu instid0(VALU_DEP_4) | instskip(SKIP_2) | instid1(VALU_DEP_3)
	v_subrev_nc_u32_e32 v1, s12, v1
	v_mov_b32_e32 v11, 0
	v_dual_mov_b32 v12, 0 :: v_dual_mov_b32 v19, v0
	v_dual_mov_b32 v16, 0 :: v_dual_add_nc_u32 v1, 64, v1
	s_delay_alu instid0(VALU_DEP_1) | instskip(NEXT) | instid1(VALU_DEP_1)
	v_max_i32_e32 v1, v1, v22
	v_add3_u32 v1, s12, v1, v6
	v_mov_b32_e32 v6, 0
	v_mov_b32_e32 v7, 0
	s_delay_alu instid0(VALU_DEP_3) | instskip(NEXT) | instid1(VALU_DEP_1)
	v_sub_nc_u32_e32 v1, v1, v21
	v_and_b32_e32 v17, 0xc0, v1
	s_delay_alu instid0(VALU_DEP_1)
	v_cmp_ne_u32_e32 vcc_lo, 0xc0, v17
	v_dual_mov_b32 v18, v5 :: v_dual_mov_b32 v17, v4
	s_and_saveexec_b32 s3, vcc_lo
	s_cbranch_execz .LBB9_19
; %bb.16:
	v_lshrrev_b32_e32 v6, 6, v1
	v_mov_b32_e32 v15, 0
	v_mov_b32_e32 v13, 0
	s_mov_b32 s7, 0
	s_delay_alu instid0(VALU_DEP_3) | instskip(SKIP_3) | instid1(VALU_DEP_4)
	v_dual_mov_b32 v18, v5 :: v_dual_add_nc_u32 v11, 1, v6
	v_mov_b32_e32 v6, 0
	v_mov_b32_e32 v7, 0
	v_dual_mov_b32 v17, v4 :: v_dual_mov_b32 v16, 0
	v_and_b32_e32 v19, 3, v11
	v_dual_mov_b32 v11, 0 :: v_dual_mov_b32 v14, 0
	v_mov_b32_e32 v12, 0
	s_delay_alu instid0(VALU_DEP_3)
	v_sub_nc_u32_e32 v24, 0, v19
	v_mov_b32_e32 v19, v0
.LBB9_17:                               ; =>This Inner Loop Header: Depth=1
	s_delay_alu instid0(VALU_DEP_1) | instskip(NEXT) | instid1(VALU_DEP_3)
	v_ashrrev_i32_e32 v20, 31, v19
	v_add_co_u32 v24, s10, v24, 1
	s_wait_alu 0xfffe
	s_or_b32 s7, s10, s7
	s_delay_alu instid0(VALU_DEP_2) | instskip(SKIP_1) | instid1(VALU_DEP_2)
	v_lshlrev_b64_e32 v[25:26], 2, v[19:20]
	v_add_nc_u32_e32 v19, 64, v19
	v_add_co_u32 v25, vcc_lo, s8, v25
	s_wait_alu 0xfffd
	s_delay_alu instid0(VALU_DEP_3)
	v_add_co_ci_u32_e64 v26, null, s9, v26, vcc_lo
	global_load_b32 v20, v[25:26], off
	s_clause 0x6
	global_load_b128 v[25:28], v[17:18], off offset:48
	global_load_b128 v[29:32], v[17:18], off offset:32
	;; [unrolled: 1-line block ×3, first 2 shown]
	global_load_b128 v[37:40], v[17:18], off
	global_load_b128 v[41:44], v[17:18], off offset:112
	global_load_b128 v[45:48], v[17:18], off offset:96
	;; [unrolled: 1-line block ×3, first 2 shown]
	s_wait_loadcnt 0x7
	v_subrev_nc_u32_e32 v20, s12, v20
	s_delay_alu instid0(VALU_DEP_1) | instskip(NEXT) | instid1(VALU_DEP_1)
	v_lshlrev_b32_e32 v53, 2, v20
	v_ashrrev_i32_e32 v54, 31, v53
	s_delay_alu instid0(VALU_DEP_1) | instskip(SKIP_1) | instid1(VALU_DEP_1)
	v_lshlrev_b64_e32 v[53:54], 3, v[53:54]
	s_wait_kmcnt 0x0
	v_add_co_u32 v61, vcc_lo, s4, v53
	s_wait_alu 0xfffd
	s_delay_alu instid0(VALU_DEP_2)
	v_add_co_ci_u32_e64 v62, null, s5, v54, vcc_lo
	global_load_b128 v[53:56], v[17:18], off offset:64
	s_clause 0x1
	global_load_b128 v[57:60], v[61:62], off
	global_load_b128 v[61:64], v[61:62], off offset:16
	v_add_co_u32 v17, vcc_lo, 0x2000, v17
	s_wait_alu 0xfffd
	v_add_co_ci_u32_e64 v18, null, 0, v18, vcc_lo
	s_wait_loadcnt 0x1
	v_fma_f64 v[13:14], v[37:38], v[57:58], v[13:14]
	v_fma_f64 v[15:16], v[29:30], v[57:58], v[15:16]
	;; [unrolled: 1-line block ×4, first 2 shown]
	s_delay_alu instid0(VALU_DEP_4) | instskip(NEXT) | instid1(VALU_DEP_4)
	v_fma_f64 v[13:14], v[39:40], v[59:60], v[13:14]
	v_fma_f64 v[15:16], v[31:32], v[59:60], v[15:16]
	s_delay_alu instid0(VALU_DEP_4) | instskip(NEXT) | instid1(VALU_DEP_4)
	v_fma_f64 v[11:12], v[55:56], v[59:60], v[11:12]
	v_fma_f64 v[6:7], v[47:48], v[59:60], v[6:7]
	s_wait_loadcnt 0x0
	s_delay_alu instid0(VALU_DEP_4) | instskip(NEXT) | instid1(VALU_DEP_4)
	v_fma_f64 v[13:14], v[33:34], v[61:62], v[13:14]
	v_fma_f64 v[15:16], v[25:26], v[61:62], v[15:16]
	s_delay_alu instid0(VALU_DEP_4) | instskip(NEXT) | instid1(VALU_DEP_4)
	v_fma_f64 v[11:12], v[49:50], v[61:62], v[11:12]
	v_fma_f64 v[6:7], v[41:42], v[61:62], v[6:7]
	;; [unrolled: 3-line block ×4, first 2 shown]
	s_wait_alu 0xfffe
	s_and_not1_b32 exec_lo, exec_lo, s7
	s_cbranch_execnz .LBB9_17
; %bb.18:
	s_or_b32 exec_lo, exec_lo, s7
.LBB9_19:
	s_wait_alu 0xfffe
	s_or_b32 exec_lo, exec_lo, s3
	s_delay_alu instid0(SALU_CYCLE_1)
	s_mov_b32 s7, exec_lo
	v_cmpx_lt_u32_e32 0xbf, v1
	s_cbranch_execz .LBB9_23
; %bb.20:
	s_mov_b32 s10, 0
.LBB9_21:                               ; =>This Inner Loop Header: Depth=1
	v_ashrrev_i32_e32 v20, 31, v19
	s_delay_alu instid0(VALU_DEP_1) | instskip(SKIP_1) | instid1(VALU_DEP_2)
	v_lshlrev_b64_e32 v[24:25], 2, v[19:20]
	v_add_nc_u32_e32 v19, 0x100, v19
	v_add_co_u32 v56, vcc_lo, s8, v24
	s_wait_alu 0xfffd
	s_delay_alu instid0(VALU_DEP_3)
	v_add_co_ci_u32_e64 v57, null, s9, v25, vcc_lo
	global_load_b32 v1, v[56:57], off
	s_clause 0x7
	global_load_b128 v[24:27], v[17:18], off offset:48
	global_load_b128 v[28:31], v[17:18], off offset:32
	;; [unrolled: 1-line block ×3, first 2 shown]
	global_load_b128 v[36:39], v[17:18], off
	global_load_b128 v[40:43], v[17:18], off offset:112
	global_load_b128 v[44:47], v[17:18], off offset:96
	;; [unrolled: 1-line block ×4, first 2 shown]
	s_clause 0x2
	global_load_b32 v20, v[56:57], off offset:256
	global_load_b32 v126, v[56:57], off offset:512
	;; [unrolled: 1-line block ×3, first 2 shown]
	s_wait_loadcnt 0xb
	v_subrev_nc_u32_e32 v1, s12, v1
	s_delay_alu instid0(VALU_DEP_1) | instskip(SKIP_2) | instid1(VALU_DEP_2)
	v_lshlrev_b32_e32 v56, 2, v1
	s_wait_loadcnt 0x2
	v_subrev_nc_u32_e32 v1, s12, v20
	v_ashrrev_i32_e32 v57, 31, v56
	s_delay_alu instid0(VALU_DEP_2) | instskip(NEXT) | instid1(VALU_DEP_2)
	v_lshlrev_b32_e32 v116, 2, v1
	v_lshlrev_b64_e32 v[56:57], 3, v[56:57]
	s_wait_loadcnt 0x1
	v_subrev_nc_u32_e32 v1, s12, v126
	s_delay_alu instid0(VALU_DEP_3) | instskip(SKIP_1) | instid1(VALU_DEP_3)
	v_ashrrev_i32_e32 v117, 31, v116
	s_wait_kmcnt 0x0
	v_add_co_u32 v68, vcc_lo, s4, v56
	s_wait_alu 0xfffd
	v_add_co_ci_u32_e64 v69, null, s5, v57, vcc_lo
	v_lshlrev_b64_e32 v[116:117], 3, v[116:117]
	global_load_b128 v[56:59], v[68:69], off
	s_clause 0x1
	global_load_b128 v[60:63], v[17:18], off offset:8240
	global_load_b128 v[64:67], v[17:18], off offset:8224
	;; [unrolled: 1-line block ×3, first 2 shown]
	s_clause 0xa
	global_load_b128 v[72:75], v[17:18], off offset:8208
	global_load_b128 v[76:79], v[17:18], off offset:8192
	;; [unrolled: 1-line block ×11, first 2 shown]
	v_add_co_u32 v120, vcc_lo, s4, v116
	s_wait_alu 0xfffd
	v_add_co_ci_u32_e64 v121, null, s5, v117, vcc_lo
	global_load_b128 v[116:119], v[120:121], off
	s_wait_loadcnt 0xf
	v_fma_f64 v[13:14], v[36:37], v[56:57], v[13:14]
	v_fma_f64 v[11:12], v[52:53], v[56:57], v[11:12]
	;; [unrolled: 1-line block ×3, first 2 shown]
	s_delay_alu instid0(VALU_DEP_3)
	v_fma_f64 v[122:123], v[38:39], v[58:59], v[13:14]
	v_fma_f64 v[13:14], v[28:29], v[56:57], v[15:16]
	v_lshlrev_b32_e32 v28, 2, v1
	global_load_b128 v[36:39], v[17:18], off offset:16480
	v_fma_f64 v[11:12], v[54:55], v[58:59], v[11:12]
	v_fma_f64 v[6:7], v[46:47], v[58:59], v[6:7]
	v_subrev_nc_u32_e32 v1, s12, v128
	v_ashrrev_i32_e32 v29, 31, v28
	global_load_b128 v[52:55], v[17:18], off offset:16448
	v_lshlrev_b64_e32 v[28:29], 3, v[28:29]
	s_delay_alu instid0(VALU_DEP_1) | instskip(SKIP_1) | instid1(VALU_DEP_2)
	v_add_co_u32 v126, vcc_lo, s4, v28
	s_wait_alu 0xfffd
	v_add_co_ci_u32_e64 v127, null, s5, v29, vcc_lo
	s_wait_loadcnt 0xe
	v_fma_f64 v[32:33], v[32:33], v[68:69], v[122:123]
	v_fma_f64 v[124:125], v[30:31], v[58:59], v[13:14]
	global_load_b128 v[28:31], v[120:121], off offset:16
	global_load_b128 v[13:16], v[17:18], off offset:16464
	s_clause 0x1
	global_load_b128 v[44:47], v[126:127], off
	global_load_b128 v[56:59], v[126:127], off offset:16
	v_fma_f64 v[11:12], v[48:49], v[68:69], v[11:12]
	v_fma_f64 v[6:7], v[40:41], v[68:69], v[6:7]
	v_lshlrev_b32_e32 v40, 2, v1
	s_delay_alu instid0(VALU_DEP_1) | instskip(NEXT) | instid1(VALU_DEP_1)
	v_ashrrev_i32_e32 v41, 31, v40
	v_lshlrev_b64_e32 v[40:41], 3, v[40:41]
	v_fma_f64 v[120:121], v[34:35], v[70:71], v[32:33]
	v_fma_f64 v[24:25], v[24:25], v[68:69], v[124:125]
	s_delay_alu instid0(VALU_DEP_3) | instskip(SKIP_1) | instid1(VALU_DEP_4)
	v_add_co_u32 v124, vcc_lo, s4, v40
	s_wait_alu 0xfffd
	v_add_co_ci_u32_e64 v125, null, s5, v41, vcc_lo
	v_fma_f64 v[11:12], v[50:51], v[70:71], v[11:12]
	v_fma_f64 v[6:7], v[42:43], v[70:71], v[6:7]
	s_clause 0x1
	global_load_b128 v[32:35], v[17:18], off offset:24608
	global_load_b128 v[48:51], v[17:18], off offset:24672
	v_cmp_ge_i32_e32 vcc_lo, v19, v22
	s_wait_alu 0xfffe
	s_or_b32 s10, vcc_lo, s10
	s_wait_loadcnt 0x8
	v_fma_f64 v[76:77], v[76:77], v[116:117], v[120:121]
	v_fma_f64 v[122:123], v[26:27], v[70:71], v[24:25]
	s_clause 0x1
	global_load_b128 v[24:27], v[17:18], off offset:24576
	global_load_b128 v[40:43], v[17:18], off offset:24640
	global_load_b128 v[68:71], v[124:125], off
	v_fma_f64 v[11:12], v[92:93], v[116:117], v[11:12]
	v_fma_f64 v[6:7], v[84:85], v[116:117], v[6:7]
	;; [unrolled: 1-line block ×4, first 2 shown]
	s_delay_alu instid0(VALU_DEP_4) | instskip(NEXT) | instid1(VALU_DEP_4)
	v_fma_f64 v[11:12], v[94:95], v[118:119], v[11:12]
	v_fma_f64 v[6:7], v[86:87], v[118:119], v[6:7]
	s_delay_alu instid0(VALU_DEP_3)
	v_fma_f64 v[122:123], v[66:67], v[118:119], v[64:65]
	s_clause 0x3
	global_load_b128 v[64:67], v[17:18], off offset:24624
	global_load_b128 v[76:79], v[17:18], off offset:24592
	;; [unrolled: 1-line block ×5, first 2 shown]
	v_add_co_u32 v17, s3, 0x8000, v17
	s_wait_alu 0xf1ff
	v_add_co_ci_u32_e64 v18, null, 0, v18, s3
	s_wait_loadcnt 0xd
	v_fma_f64 v[72:73], v[72:73], v[28:29], v[120:121]
	v_fma_f64 v[60:61], v[60:61], v[28:29], v[122:123]
	;; [unrolled: 1-line block ×4, first 2 shown]
	s_delay_alu instid0(VALU_DEP_4) | instskip(NEXT) | instid1(VALU_DEP_4)
	v_fma_f64 v[28:29], v[74:75], v[30:31], v[72:73]
	v_fma_f64 v[60:61], v[62:63], v[30:31], v[60:61]
	s_delay_alu instid0(VALU_DEP_4) | instskip(NEXT) | instid1(VALU_DEP_4)
	v_fma_f64 v[11:12], v[90:91], v[30:31], v[11:12]
	v_fma_f64 v[6:7], v[82:83], v[30:31], v[6:7]
	s_wait_loadcnt 0xb
	s_delay_alu instid0(VALU_DEP_4) | instskip(NEXT) | instid1(VALU_DEP_4)
	v_fma_f64 v[28:29], v[108:109], v[44:45], v[28:29]
	v_fma_f64 v[30:31], v[100:101], v[44:45], v[60:61]
	s_delay_alu instid0(VALU_DEP_4) | instskip(NEXT) | instid1(VALU_DEP_4)
	v_fma_f64 v[11:12], v[52:53], v[44:45], v[11:12]
	v_fma_f64 v[6:7], v[36:37], v[44:45], v[6:7]
	s_delay_alu instid0(VALU_DEP_4) | instskip(NEXT) | instid1(VALU_DEP_4)
	v_fma_f64 v[28:29], v[110:111], v[46:47], v[28:29]
	v_fma_f64 v[30:31], v[102:103], v[46:47], v[30:31]
	s_delay_alu instid0(VALU_DEP_4) | instskip(NEXT) | instid1(VALU_DEP_4)
	v_fma_f64 v[11:12], v[54:55], v[46:47], v[11:12]
	v_fma_f64 v[6:7], v[38:39], v[46:47], v[6:7]
	s_wait_loadcnt 0xa
	s_delay_alu instid0(VALU_DEP_4) | instskip(NEXT) | instid1(VALU_DEP_4)
	v_fma_f64 v[28:29], v[104:105], v[56:57], v[28:29]
	v_fma_f64 v[30:31], v[96:97], v[56:57], v[30:31]
	s_delay_alu instid0(VALU_DEP_4) | instskip(NEXT) | instid1(VALU_DEP_4)
	v_fma_f64 v[11:12], v[13:14], v[56:57], v[11:12]
	v_fma_f64 v[6:7], v[112:113], v[56:57], v[6:7]
	s_delay_alu instid0(VALU_DEP_4) | instskip(NEXT) | instid1(VALU_DEP_4)
	v_fma_f64 v[13:14], v[106:107], v[58:59], v[28:29]
	v_fma_f64 v[28:29], v[98:99], v[58:59], v[30:31]
	s_delay_alu instid0(VALU_DEP_4) | instskip(NEXT) | instid1(VALU_DEP_4)
	v_fma_f64 v[11:12], v[15:16], v[58:59], v[11:12]
	v_fma_f64 v[6:7], v[114:115], v[58:59], v[6:7]
	s_wait_loadcnt 0x5
	s_delay_alu instid0(VALU_DEP_4) | instskip(NEXT) | instid1(VALU_DEP_4)
	v_fma_f64 v[13:14], v[24:25], v[68:69], v[13:14]
	v_fma_f64 v[15:16], v[32:33], v[68:69], v[28:29]
	s_delay_alu instid0(VALU_DEP_4) | instskip(NEXT) | instid1(VALU_DEP_4)
	v_fma_f64 v[11:12], v[40:41], v[68:69], v[11:12]
	v_fma_f64 v[6:7], v[48:49], v[68:69], v[6:7]
	s_delay_alu instid0(VALU_DEP_4) | instskip(NEXT) | instid1(VALU_DEP_4)
	v_fma_f64 v[13:14], v[26:27], v[70:71], v[13:14]
	v_fma_f64 v[15:16], v[34:35], v[70:71], v[15:16]
	s_delay_alu instid0(VALU_DEP_4) | instskip(NEXT) | instid1(VALU_DEP_4)
	v_fma_f64 v[11:12], v[42:43], v[70:71], v[11:12]
	v_fma_f64 v[6:7], v[50:51], v[70:71], v[6:7]
	s_wait_loadcnt 0x0
	s_delay_alu instid0(VALU_DEP_4) | instskip(NEXT) | instid1(VALU_DEP_4)
	v_fma_f64 v[13:14], v[76:77], v[116:117], v[13:14]
	v_fma_f64 v[15:16], v[64:65], v[116:117], v[15:16]
	s_delay_alu instid0(VALU_DEP_4) | instskip(NEXT) | instid1(VALU_DEP_4)
	v_fma_f64 v[11:12], v[92:93], v[116:117], v[11:12]
	v_fma_f64 v[6:7], v[84:85], v[116:117], v[6:7]
	s_delay_alu instid0(VALU_DEP_4) | instskip(NEXT) | instid1(VALU_DEP_4)
	v_fma_f64 v[13:14], v[78:79], v[118:119], v[13:14]
	v_fma_f64 v[15:16], v[66:67], v[118:119], v[15:16]
	s_delay_alu instid0(VALU_DEP_4) | instskip(NEXT) | instid1(VALU_DEP_4)
	v_fma_f64 v[11:12], v[94:95], v[118:119], v[11:12]
	v_fma_f64 v[6:7], v[86:87], v[118:119], v[6:7]
	s_wait_alu 0xfffe
	s_and_not1_b32 exec_lo, exec_lo, s10
	s_cbranch_execnz .LBB9_21
; %bb.22:
	s_or_b32 exec_lo, exec_lo, s10
.LBB9_23:
	s_wait_alu 0xfffe
	s_or_b32 exec_lo, exec_lo, s7
.LBB9_24:
	s_wait_alu 0xfffe
	s_or_b32 exec_lo, exec_lo, s6
	s_cbranch_execz .LBB9_26
	s_branch .LBB9_37
.LBB9_25:
                                        ; implicit-def: $vgpr6_vgpr7
                                        ; implicit-def: $vgpr11_vgpr12
                                        ; implicit-def: $vgpr15_vgpr16
                                        ; implicit-def: $vgpr13_vgpr14
.LBB9_26:
	v_dual_mov_b32 v15, 0 :: v_dual_mov_b32 v6, 0
	v_dual_mov_b32 v11, 0 :: v_dual_mov_b32 v16, 0
	v_mov_b32_e32 v13, 0
	v_dual_mov_b32 v7, 0 :: v_dual_mov_b32 v12, 0
	v_mov_b32_e32 v14, 0
	s_and_saveexec_b32 s3, s2
	s_cbranch_execz .LBB9_36
; %bb.27:
	v_add_nc_u32_e32 v1, v23, v21
	v_mov_b32_e32 v13, 0
	v_dual_mov_b32 v14, 0 :: v_dual_mov_b32 v15, 0
	v_not_b32_e32 v6, v23
	s_delay_alu instid0(VALU_DEP_4) | instskip(SKIP_3) | instid1(VALU_DEP_3)
	v_subrev_nc_u32_e32 v1, s12, v1
	v_mov_b32_e32 v11, 0
	s_mov_b32 s2, exec_lo
	v_mov_b32_e32 v16, 0
	v_dual_mov_b32 v12, 0 :: v_dual_add_nc_u32 v1, 64, v1
	s_delay_alu instid0(VALU_DEP_1) | instskip(NEXT) | instid1(VALU_DEP_1)
	v_max_i32_e32 v1, v1, v22
	v_add3_u32 v1, s12, v1, v6
	v_mov_b32_e32 v6, 0
	v_mov_b32_e32 v7, 0
	s_delay_alu instid0(VALU_DEP_3) | instskip(NEXT) | instid1(VALU_DEP_1)
	v_sub_nc_u32_e32 v17, v1, v21
	v_and_b32_e32 v1, 0xc0, v17
	s_delay_alu instid0(VALU_DEP_1)
	v_cmpx_ne_u32_e32 0xc0, v1
	s_cbranch_execz .LBB9_31
; %bb.28:
	v_lshrrev_b32_e32 v1, 6, v17
	v_mov_b32_e32 v11, 0
	v_mov_b32_e32 v15, 0
	;; [unrolled: 1-line block ×3, first 2 shown]
	s_delay_alu instid0(VALU_DEP_4) | instskip(SKIP_3) | instid1(VALU_DEP_3)
	v_dual_mov_b32 v14, 0 :: v_dual_add_nc_u32 v1, 1, v1
	v_mov_b32_e32 v6, 0
	v_dual_mov_b32 v7, 0 :: v_dual_mov_b32 v16, 0
	s_mov_b32 s6, 0
	v_dual_mov_b32 v12, 0 :: v_dual_and_b32 v1, 3, v1
	s_delay_alu instid0(VALU_DEP_1)
	v_sub_nc_u32_e32 v18, 0, v1
.LBB9_29:                               ; =>This Inner Loop Header: Depth=1
	v_ashrrev_i32_e32 v1, 31, v0
	s_delay_alu instid0(VALU_DEP_2) | instskip(SKIP_2) | instid1(VALU_DEP_2)
	v_add_co_u32 v18, s7, v18, 1
	s_wait_alu 0xfffe
	s_or_b32 s6, s7, s6
	v_lshlrev_b64_e32 v[19:20], 2, v[0:1]
	v_add_nc_u32_e32 v0, 64, v0
	s_delay_alu instid0(VALU_DEP_2) | instskip(SKIP_1) | instid1(VALU_DEP_3)
	v_add_co_u32 v19, vcc_lo, s8, v19
	s_wait_alu 0xfffd
	v_add_co_ci_u32_e64 v20, null, s9, v20, vcc_lo
	global_load_b32 v1, v[19:20], off
	global_load_b128 v[23:26], v[4:5], off offset:16
	s_wait_loadcnt 0x1
	v_subrev_nc_u32_e32 v1, s12, v1
	s_delay_alu instid0(VALU_DEP_1) | instskip(NEXT) | instid1(VALU_DEP_1)
	v_lshlrev_b32_e32 v19, 2, v1
	v_ashrrev_i32_e32 v20, 31, v19
	s_delay_alu instid0(VALU_DEP_1) | instskip(SKIP_1) | instid1(VALU_DEP_1)
	v_lshlrev_b64_e32 v[19:20], 3, v[19:20]
	s_wait_kmcnt 0x0
	v_add_co_u32 v19, vcc_lo, s4, v19
	s_wait_alu 0xfffd
	s_delay_alu instid0(VALU_DEP_2)
	v_add_co_ci_u32_e64 v20, null, s5, v20, vcc_lo
	global_load_b128 v[27:30], v[4:5], off
	s_clause 0x1
	global_load_b128 v[31:34], v[19:20], off
	global_load_b128 v[35:38], v[19:20], off offset:16
	s_clause 0x5
	global_load_b128 v[39:42], v[4:5], off offset:32
	global_load_b128 v[43:46], v[4:5], off offset:48
	;; [unrolled: 1-line block ×6, first 2 shown]
	v_add_co_u32 v4, vcc_lo, 0x2000, v4
	s_wait_alu 0xfffd
	v_add_co_ci_u32_e64 v5, null, 0, v5, vcc_lo
	s_wait_loadcnt 0x7
	v_fma_f64 v[13:14], v[27:28], v[31:32], v[13:14]
	v_fma_f64 v[15:16], v[29:30], v[31:32], v[15:16]
	;; [unrolled: 1-line block ×4, first 2 shown]
	s_wait_loadcnt 0x5
	s_delay_alu instid0(VALU_DEP_4) | instskip(NEXT) | instid1(VALU_DEP_4)
	v_fma_f64 v[13:14], v[39:40], v[33:34], v[13:14]
	v_fma_f64 v[15:16], v[41:42], v[33:34], v[15:16]
	s_wait_loadcnt 0x4
	s_delay_alu instid0(VALU_DEP_4) | instskip(NEXT) | instid1(VALU_DEP_4)
	v_fma_f64 v[11:12], v[43:44], v[33:34], v[11:12]
	v_fma_f64 v[6:7], v[45:46], v[33:34], v[6:7]
	;; [unrolled: 4-line block ×6, first 2 shown]
	s_wait_alu 0xfffe
	s_and_not1_b32 exec_lo, exec_lo, s6
	s_cbranch_execnz .LBB9_29
; %bb.30:
	s_or_b32 exec_lo, exec_lo, s6
.LBB9_31:
	s_wait_alu 0xfffe
	s_or_b32 exec_lo, exec_lo, s2
	s_delay_alu instid0(SALU_CYCLE_1)
	s_mov_b32 s6, exec_lo
	v_cmpx_lt_u32_e32 0xbf, v17
	s_cbranch_execz .LBB9_35
; %bb.32:
	s_mov_b32 s7, 0
.LBB9_33:                               ; =>This Inner Loop Header: Depth=1
	v_ashrrev_i32_e32 v1, 31, v0
	s_delay_alu instid0(VALU_DEP_1) | instskip(SKIP_1) | instid1(VALU_DEP_2)
	v_lshlrev_b64_e32 v[17:18], 2, v[0:1]
	v_add_nc_u32_e32 v0, 0x100, v0
	v_add_co_u32 v23, vcc_lo, s8, v17
	s_wait_alu 0xfffd
	s_delay_alu instid0(VALU_DEP_3)
	v_add_co_ci_u32_e64 v24, null, s9, v18, vcc_lo
	s_clause 0x2
	global_load_b32 v1, v[23:24], off
	global_load_b32 v63, v[23:24], off offset:256
	global_load_b32 v103, v[23:24], off offset:512
	global_load_b128 v[17:20], v[4:5], off offset:16
	global_load_b32 v117, v[23:24], off offset:768
	s_wait_loadcnt 0x4
	v_subrev_nc_u32_e32 v1, s12, v1
	s_delay_alu instid0(VALU_DEP_1) | instskip(SKIP_2) | instid1(VALU_DEP_2)
	v_lshlrev_b32_e32 v23, 2, v1
	s_wait_loadcnt 0x3
	v_subrev_nc_u32_e32 v1, s12, v63
	v_ashrrev_i32_e32 v24, 31, v23
	s_delay_alu instid0(VALU_DEP_2) | instskip(SKIP_2) | instid1(VALU_DEP_3)
	v_lshlrev_b32_e32 v63, 2, v1
	s_wait_loadcnt 0x2
	v_subrev_nc_u32_e32 v1, s12, v103
	v_lshlrev_b64_e32 v[23:24], 3, v[23:24]
	s_delay_alu instid0(VALU_DEP_3) | instskip(NEXT) | instid1(VALU_DEP_3)
	v_ashrrev_i32_e32 v64, 31, v63
	v_lshlrev_b32_e32 v103, 2, v1
	s_wait_loadcnt 0x0
	v_subrev_nc_u32_e32 v1, s12, v117
	s_delay_alu instid0(VALU_DEP_3)
	v_lshlrev_b64_e32 v[63:64], 3, v[63:64]
	s_wait_kmcnt 0x0
	v_add_co_u32 v47, vcc_lo, s4, v23
	s_wait_alu 0xfffd
	v_add_co_ci_u32_e64 v48, null, s5, v24, vcc_lo
	v_ashrrev_i32_e32 v104, 31, v103
	global_load_b128 v[23:26], v[4:5], off
	global_load_b128 v[27:30], v[47:48], off
	s_clause 0x3
	global_load_b128 v[31:34], v[4:5], off offset:32
	global_load_b128 v[35:38], v[4:5], off offset:48
	;; [unrolled: 1-line block ×5, first 2 shown]
	s_clause 0x2
	global_load_b128 v[51:54], v[4:5], off offset:96
	global_load_b128 v[55:58], v[4:5], off offset:112
	;; [unrolled: 1-line block ×3, first 2 shown]
	v_add_co_u32 v87, vcc_lo, s4, v63
	s_wait_alu 0xfffd
	v_add_co_ci_u32_e64 v88, null, s5, v64, vcc_lo
	global_load_b128 v[63:66], v[4:5], off offset:8192
	global_load_b128 v[67:70], v[87:88], off
	s_clause 0x3
	global_load_b128 v[71:74], v[4:5], off offset:8224
	global_load_b128 v[75:78], v[4:5], off offset:8240
	;; [unrolled: 1-line block ×5, first 2 shown]
	s_clause 0x2
	global_load_b128 v[91:94], v[4:5], off offset:8288
	global_load_b128 v[95:98], v[4:5], off offset:8304
	;; [unrolled: 1-line block ×3, first 2 shown]
	v_lshlrev_b64_e32 v[103:104], 3, v[103:104]
	s_delay_alu instid0(VALU_DEP_1) | instskip(SKIP_1) | instid1(VALU_DEP_2)
	v_add_co_u32 v111, vcc_lo, s4, v103
	s_wait_alu 0xfffd
	v_add_co_ci_u32_e64 v112, null, s5, v104, vcc_lo
	global_load_b128 v[103:106], v[4:5], off offset:16384
	global_load_b128 v[107:110], v[111:112], off
	s_wait_loadcnt 0x14
	v_fma_f64 v[23:24], v[23:24], v[27:28], v[13:14]
	v_fma_f64 v[25:26], v[25:26], v[27:28], v[15:16]
	;; [unrolled: 1-line block ×4, first 2 shown]
	s_clause 0x1
	global_load_b128 v[11:14], v[4:5], off offset:16416
	global_load_b128 v[15:18], v[4:5], off offset:16432
	s_wait_loadcnt 0x15
	v_fma_f64 v[19:20], v[31:32], v[29:30], v[23:24]
	v_fma_f64 v[115:116], v[33:34], v[29:30], v[25:26]
	s_wait_loadcnt 0x14
	v_fma_f64 v[35:36], v[35:36], v[29:30], v[113:114]
	v_fma_f64 v[6:7], v[37:38], v[29:30], v[6:7]
	s_clause 0x1
	global_load_b128 v[23:26], v[4:5], off offset:16448
	global_load_b128 v[27:30], v[4:5], off offset:16464
	;; [unrolled: 1-line block ×3, first 2 shown]
	s_wait_loadcnt 0x14
	v_fma_f64 v[19:20], v[39:40], v[47:48], v[19:20]
	v_fma_f64 v[111:112], v[41:42], v[47:48], v[115:116]
	;; [unrolled: 1-line block ×4, first 2 shown]
	s_clause 0x2
	global_load_b128 v[35:38], v[4:5], off offset:16480
	global_load_b128 v[39:42], v[4:5], off offset:16496
	global_load_b128 v[43:46], v[4:5], off offset:24592
	v_lshlrev_b32_e32 v47, 2, v1
	s_delay_alu instid0(VALU_DEP_1) | instskip(NEXT) | instid1(VALU_DEP_1)
	v_ashrrev_i32_e32 v48, 31, v47
	v_lshlrev_b64_e32 v[47:48], 3, v[47:48]
	s_wait_loadcnt 0x16
	v_fma_f64 v[19:20], v[51:52], v[49:50], v[19:20]
	v_fma_f64 v[111:112], v[53:54], v[49:50], v[111:112]
	s_wait_loadcnt 0x15
	v_fma_f64 v[55:56], v[55:56], v[49:50], v[113:114]
	v_fma_f64 v[6:7], v[57:58], v[49:50], v[6:7]
	v_add_co_u32 v113, vcc_lo, s4, v47
	s_wait_alu 0xfffd
	v_add_co_ci_u32_e64 v114, null, s5, v48, vcc_lo
	global_load_b128 v[47:50], v[4:5], off offset:24576
	global_load_b128 v[51:54], v[113:114], off
	v_cmp_ge_i32_e32 vcc_lo, v0, v22
	s_wait_alu 0xfffe
	s_or_b32 s7, vcc_lo, s7
	s_wait_loadcnt 0x14
	v_fma_f64 v[19:20], v[63:64], v[67:68], v[19:20]
	v_fma_f64 v[63:64], v[65:66], v[67:68], v[111:112]
	;; [unrolled: 1-line block ×4, first 2 shown]
	s_clause 0x1
	global_load_b128 v[55:58], v[4:5], off offset:24608
	global_load_b128 v[59:62], v[4:5], off offset:24624
	s_wait_loadcnt 0x15
	v_fma_f64 v[19:20], v[71:72], v[69:70], v[19:20]
	v_fma_f64 v[111:112], v[73:74], v[69:70], v[63:64]
	s_wait_loadcnt 0x14
	v_fma_f64 v[75:76], v[75:76], v[69:70], v[65:66]
	v_fma_f64 v[6:7], v[77:78], v[69:70], v[6:7]
	s_clause 0x1
	global_load_b128 v[63:66], v[4:5], off offset:24640
	global_load_b128 v[67:70], v[4:5], off offset:24656
	;; [unrolled: 1-line block ×3, first 2 shown]
	s_wait_loadcnt 0x14
	v_fma_f64 v[19:20], v[79:80], v[87:88], v[19:20]
	v_fma_f64 v[111:112], v[81:82], v[87:88], v[111:112]
	;; [unrolled: 1-line block ×4, first 2 shown]
	s_clause 0x1
	global_load_b128 v[75:78], v[4:5], off offset:24672
	global_load_b128 v[79:82], v[4:5], off offset:24688
	v_add_co_u32 v4, s2, 0x8000, v4
	s_wait_alu 0xf1ff
	v_add_co_ci_u32_e64 v5, null, 0, v5, s2
	s_wait_loadcnt 0x15
	v_fma_f64 v[19:20], v[91:92], v[89:90], v[19:20]
	v_fma_f64 v[85:86], v[93:94], v[89:90], v[111:112]
	s_wait_loadcnt 0x14
	v_fma_f64 v[83:84], v[95:96], v[89:90], v[83:84]
	v_fma_f64 v[6:7], v[97:98], v[89:90], v[6:7]
	s_wait_loadcnt 0x11
	s_delay_alu instid0(VALU_DEP_4) | instskip(NEXT) | instid1(VALU_DEP_4)
	v_fma_f64 v[19:20], v[103:104], v[107:108], v[19:20]
	v_fma_f64 v[85:86], v[105:106], v[107:108], v[85:86]
	s_delay_alu instid0(VALU_DEP_4) | instskip(NEXT) | instid1(VALU_DEP_4)
	v_fma_f64 v[83:84], v[99:100], v[107:108], v[83:84]
	v_fma_f64 v[6:7], v[101:102], v[107:108], v[6:7]
	s_wait_loadcnt 0x10
	s_delay_alu instid0(VALU_DEP_4) | instskip(NEXT) | instid1(VALU_DEP_4)
	v_fma_f64 v[11:12], v[11:12], v[109:110], v[19:20]
	v_fma_f64 v[13:14], v[13:14], v[109:110], v[85:86]
	s_wait_loadcnt 0xf
	s_delay_alu instid0(VALU_DEP_4) | instskip(NEXT) | instid1(VALU_DEP_4)
	v_fma_f64 v[15:16], v[15:16], v[109:110], v[83:84]
	v_fma_f64 v[6:7], v[17:18], v[109:110], v[6:7]
	s_wait_loadcnt 0xc
	s_delay_alu instid0(VALU_DEP_4) | instskip(NEXT) | instid1(VALU_DEP_4)
	v_fma_f64 v[11:12], v[23:24], v[31:32], v[11:12]
	v_fma_f64 v[13:14], v[25:26], v[31:32], v[13:14]
	s_delay_alu instid0(VALU_DEP_4) | instskip(NEXT) | instid1(VALU_DEP_4)
	v_fma_f64 v[15:16], v[27:28], v[31:32], v[15:16]
	v_fma_f64 v[6:7], v[29:30], v[31:32], v[6:7]
	s_wait_loadcnt 0xb
	s_delay_alu instid0(VALU_DEP_4) | instskip(NEXT) | instid1(VALU_DEP_4)
	v_fma_f64 v[11:12], v[35:36], v[33:34], v[11:12]
	v_fma_f64 v[13:14], v[37:38], v[33:34], v[13:14]
	s_wait_loadcnt 0xa
	s_delay_alu instid0(VALU_DEP_4) | instskip(NEXT) | instid1(VALU_DEP_4)
	;; [unrolled: 15-line block ×4, first 2 shown]
	v_fma_f64 v[11:12], v[79:80], v[73:74], v[19:20]
	v_fma_f64 v[6:7], v[81:82], v[73:74], v[6:7]
	s_wait_alu 0xfffe
	s_and_not1_b32 exec_lo, exec_lo, s7
	s_cbranch_execnz .LBB9_33
; %bb.34:
	s_or_b32 exec_lo, exec_lo, s7
.LBB9_35:
	s_wait_alu 0xfffe
	s_or_b32 exec_lo, exec_lo, s6
.LBB9_36:
	s_wait_alu 0xfffe
	s_or_b32 exec_lo, exec_lo, s3
.LBB9_37:
	v_mbcnt_lo_u32_b32 v24, -1, 0
	s_delay_alu instid0(VALU_DEP_1) | instskip(NEXT) | instid1(VALU_DEP_1)
	v_or_b32_e32 v0, 32, v24
	v_cmp_gt_i32_e32 vcc_lo, 32, v0
	s_wait_alu 0xfffd
	v_cndmask_b32_e32 v0, v24, v0, vcc_lo
	s_delay_alu instid0(VALU_DEP_1)
	v_lshlrev_b32_e32 v20, 2, v0
	ds_bpermute_b32 v0, v20, v13
	ds_bpermute_b32 v1, v20, v14
	s_wait_dscnt 0x0
	v_add_f64_e32 v[0:1], v[13:14], v[0:1]
	v_xor_b32_e32 v13, 16, v24
	s_delay_alu instid0(VALU_DEP_1)
	v_cmp_gt_i32_e32 vcc_lo, 32, v13
	s_wait_alu 0xfffd
	v_cndmask_b32_e32 v13, v24, v13, vcc_lo
	ds_bpermute_b32 v4, v20, v15
	ds_bpermute_b32 v5, v20, v16
	;; [unrolled: 1-line block ×6, first 2 shown]
	s_wait_dscnt 0x4
	v_add_f64_e32 v[4:5], v[15:16], v[4:5]
	s_wait_dscnt 0x2
	v_add_f64_e32 v[11:12], v[11:12], v[17:18]
	;; [unrolled: 2-line block ×3, first 2 shown]
	v_lshlrev_b32_e32 v20, 2, v13
	ds_bpermute_b32 v13, v20, v0
	ds_bpermute_b32 v14, v20, v1
	s_wait_dscnt 0x0
	v_add_f64_e32 v[0:1], v[0:1], v[13:14]
	v_xor_b32_e32 v13, 8, v24
	s_delay_alu instid0(VALU_DEP_1)
	v_cmp_gt_i32_e32 vcc_lo, 32, v13
	ds_bpermute_b32 v15, v20, v4
	ds_bpermute_b32 v16, v20, v5
	;; [unrolled: 1-line block ×6, first 2 shown]
	s_wait_alu 0xfffd
	v_cndmask_b32_e32 v13, v24, v13, vcc_lo
	s_wait_dscnt 0x4
	v_add_f64_e32 v[4:5], v[4:5], v[15:16]
	s_wait_dscnt 0x2
	v_add_f64_e32 v[11:12], v[11:12], v[17:18]
	;; [unrolled: 2-line block ×3, first 2 shown]
	v_lshlrev_b32_e32 v20, 2, v13
	ds_bpermute_b32 v13, v20, v0
	ds_bpermute_b32 v14, v20, v1
	s_wait_dscnt 0x0
	v_add_f64_e32 v[0:1], v[0:1], v[13:14]
	v_xor_b32_e32 v13, 4, v24
	s_delay_alu instid0(VALU_DEP_1)
	v_cmp_gt_i32_e32 vcc_lo, 32, v13
	ds_bpermute_b32 v15, v20, v4
	ds_bpermute_b32 v16, v20, v5
	;; [unrolled: 1-line block ×6, first 2 shown]
	s_wait_alu 0xfffd
	v_cndmask_b32_e32 v13, v24, v13, vcc_lo
	s_wait_dscnt 0x4
	v_add_f64_e32 v[4:5], v[4:5], v[15:16]
	s_wait_dscnt 0x2
	v_add_f64_e32 v[11:12], v[11:12], v[17:18]
	;; [unrolled: 2-line block ×3, first 2 shown]
	v_lshlrev_b32_e32 v20, 2, v13
	ds_bpermute_b32 v13, v20, v0
	ds_bpermute_b32 v14, v20, v1
	s_wait_dscnt 0x0
	v_add_f64_e32 v[0:1], v[0:1], v[13:14]
	ds_bpermute_b32 v15, v20, v4
	ds_bpermute_b32 v16, v20, v5
	;; [unrolled: 1-line block ×6, first 2 shown]
	s_wait_dscnt 0x4
	v_add_f64_e32 v[4:5], v[4:5], v[15:16]
	s_wait_dscnt 0x2
	v_add_f64_e32 v[13:14], v[11:12], v[17:18]
	;; [unrolled: 2-line block ×3, first 2 shown]
	v_xor_b32_e32 v6, 2, v24
	s_delay_alu instid0(VALU_DEP_1) | instskip(SKIP_2) | instid1(VALU_DEP_1)
	v_cmp_gt_i32_e32 vcc_lo, 32, v6
	s_wait_alu 0xfffd
	v_cndmask_b32_e32 v6, v24, v6, vcc_lo
	v_lshlrev_b32_e32 v11, 2, v6
	ds_bpermute_b32 v6, v11, v0
	ds_bpermute_b32 v7, v11, v1
	;; [unrolled: 1-line block ×8, first 2 shown]
	s_wait_dscnt 0x6
	v_add_f64_e32 v[11:12], v[0:1], v[6:7]
	s_wait_dscnt 0x4
	v_add_f64_e32 v[6:7], v[4:5], v[17:18]
	;; [unrolled: 2-line block ×3, first 2 shown]
	v_xor_b32_e32 v13, 1, v24
	s_wait_dscnt 0x0
	v_add_f64_e32 v[4:5], v[15:16], v[22:23]
	s_delay_alu instid0(VALU_DEP_2) | instskip(SKIP_3) | instid1(VALU_DEP_2)
	v_cmp_gt_i32_e32 vcc_lo, 32, v13
	s_wait_alu 0xfffd
	v_cndmask_b32_e32 v13, v24, v13, vcc_lo
	v_cmp_eq_u32_e32 vcc_lo, 63, v21
	v_lshlrev_b32_e32 v14, 2, v13
	ds_bpermute_b32 v19, v14, v11
	ds_bpermute_b32 v20, v14, v12
	;; [unrolled: 1-line block ×8, first 2 shown]
	s_and_b32 exec_lo, exec_lo, vcc_lo
	s_cbranch_execz .LBB9_10
; %bb.38:
	s_wait_dscnt 0x6
	v_add_f64_e32 v[11:12], v[11:12], v[19:20]
	s_wait_dscnt 0x4
	v_add_f64_e32 v[6:7], v[6:7], v[17:18]
	s_wait_dscnt 0x2
	v_add_f64_e32 v[0:1], v[0:1], v[15:16]
	s_wait_dscnt 0x0
	v_add_f64_e32 v[13:14], v[4:5], v[13:14]
	s_load_b64 s[0:1], s[0:1], 0x50
	v_lshlrev_b32_e32 v10, 2, v10
	s_mov_b32 s2, exec_lo
	v_mul_f64_e32 v[4:5], v[2:3], v[11:12]
	v_mul_f64_e32 v[6:7], v[2:3], v[6:7]
	;; [unrolled: 1-line block ×4, first 2 shown]
	v_cmpx_eq_f64_e32 0, v[8:9]
	s_wait_alu 0xfffe
	s_xor_b32 s2, exec_lo, s2
	s_cbranch_execz .LBB9_40
; %bb.39:
	v_ashrrev_i32_e32 v11, 31, v10
	s_delay_alu instid0(VALU_DEP_1) | instskip(SKIP_1) | instid1(VALU_DEP_1)
	v_lshlrev_b64_e32 v[8:9], 3, v[10:11]
                                        ; implicit-def: $vgpr10
	s_wait_kmcnt 0x0
	v_add_co_u32 v8, vcc_lo, s0, v8
	s_wait_alu 0xfffd
	s_delay_alu instid0(VALU_DEP_2)
	v_add_co_ci_u32_e64 v9, null, s1, v9, vcc_lo
	s_clause 0x1
	global_store_b128 v[8:9], v[4:7], off
	global_store_b128 v[8:9], v[0:3], off offset:16
                                        ; implicit-def: $vgpr8_vgpr9
                                        ; implicit-def: $vgpr4_vgpr5
                                        ; implicit-def: $vgpr0_vgpr1
.LBB9_40:
	s_wait_alu 0xfffe
	s_and_not1_saveexec_b32 s2, s2
	s_cbranch_execz .LBB9_10
; %bb.41:
	v_ashrrev_i32_e32 v11, 31, v10
	s_delay_alu instid0(VALU_DEP_1) | instskip(SKIP_1) | instid1(VALU_DEP_1)
	v_lshlrev_b64_e32 v[10:11], 3, v[10:11]
	s_wait_kmcnt 0x0
	v_add_co_u32 v18, vcc_lo, s0, v10
	s_wait_alu 0xfffd
	s_delay_alu instid0(VALU_DEP_2)
	v_add_co_ci_u32_e64 v19, null, s1, v11, vcc_lo
	s_clause 0x1
	global_load_b128 v[10:13], v[18:19], off
	global_load_b128 v[14:17], v[18:19], off offset:16
	s_wait_loadcnt 0x1
	v_fma_f64 v[4:5], v[8:9], v[10:11], v[4:5]
	v_fma_f64 v[6:7], v[8:9], v[12:13], v[6:7]
	s_wait_loadcnt 0x0
	v_fma_f64 v[0:1], v[8:9], v[14:15], v[0:1]
	v_fma_f64 v[2:3], v[8:9], v[16:17], v[2:3]
	s_clause 0x1
	global_store_b128 v[18:19], v[4:7], off
	global_store_b128 v[18:19], v[0:3], off offset:16
	s_nop 0
	s_sendmsg sendmsg(MSG_DEALLOC_VGPRS)
	s_endpgm
	.section	.rodata,"a",@progbits
	.p2align	6, 0x0
	.amdhsa_kernel _ZN9rocsparseL18bsrxmvn_4x4_kernelILj128ELj64EdiidddEEvT3_20rocsparse_direction_NS_24const_host_device_scalarIT1_EES1_PKS1_PKT2_SA_S7_PKT4_PKT5_S5_PT6_21rocsparse_index_base_b
		.amdhsa_group_segment_fixed_size 0
		.amdhsa_private_segment_fixed_size 0
		.amdhsa_kernarg_size 96
		.amdhsa_user_sgpr_count 2
		.amdhsa_user_sgpr_dispatch_ptr 0
		.amdhsa_user_sgpr_queue_ptr 0
		.amdhsa_user_sgpr_kernarg_segment_ptr 1
		.amdhsa_user_sgpr_dispatch_id 0
		.amdhsa_user_sgpr_private_segment_size 0
		.amdhsa_wavefront_size32 1
		.amdhsa_uses_dynamic_stack 0
		.amdhsa_enable_private_segment 0
		.amdhsa_system_sgpr_workgroup_id_x 1
		.amdhsa_system_sgpr_workgroup_id_y 0
		.amdhsa_system_sgpr_workgroup_id_z 0
		.amdhsa_system_sgpr_workgroup_info 0
		.amdhsa_system_vgpr_workitem_id 0
		.amdhsa_next_free_vgpr 129
		.amdhsa_next_free_sgpr 14
		.amdhsa_reserve_vcc 1
		.amdhsa_float_round_mode_32 0
		.amdhsa_float_round_mode_16_64 0
		.amdhsa_float_denorm_mode_32 3
		.amdhsa_float_denorm_mode_16_64 3
		.amdhsa_fp16_overflow 0
		.amdhsa_workgroup_processor_mode 1
		.amdhsa_memory_ordered 1
		.amdhsa_forward_progress 1
		.amdhsa_inst_pref_size 48
		.amdhsa_round_robin_scheduling 0
		.amdhsa_exception_fp_ieee_invalid_op 0
		.amdhsa_exception_fp_denorm_src 0
		.amdhsa_exception_fp_ieee_div_zero 0
		.amdhsa_exception_fp_ieee_overflow 0
		.amdhsa_exception_fp_ieee_underflow 0
		.amdhsa_exception_fp_ieee_inexact 0
		.amdhsa_exception_int_div_zero 0
	.end_amdhsa_kernel
	.section	.text._ZN9rocsparseL18bsrxmvn_4x4_kernelILj128ELj64EdiidddEEvT3_20rocsparse_direction_NS_24const_host_device_scalarIT1_EES1_PKS1_PKT2_SA_S7_PKT4_PKT5_S5_PT6_21rocsparse_index_base_b,"axG",@progbits,_ZN9rocsparseL18bsrxmvn_4x4_kernelILj128ELj64EdiidddEEvT3_20rocsparse_direction_NS_24const_host_device_scalarIT1_EES1_PKS1_PKT2_SA_S7_PKT4_PKT5_S5_PT6_21rocsparse_index_base_b,comdat
.Lfunc_end9:
	.size	_ZN9rocsparseL18bsrxmvn_4x4_kernelILj128ELj64EdiidddEEvT3_20rocsparse_direction_NS_24const_host_device_scalarIT1_EES1_PKS1_PKT2_SA_S7_PKT4_PKT5_S5_PT6_21rocsparse_index_base_b, .Lfunc_end9-_ZN9rocsparseL18bsrxmvn_4x4_kernelILj128ELj64EdiidddEEvT3_20rocsparse_direction_NS_24const_host_device_scalarIT1_EES1_PKS1_PKT2_SA_S7_PKT4_PKT5_S5_PT6_21rocsparse_index_base_b
                                        ; -- End function
	.set _ZN9rocsparseL18bsrxmvn_4x4_kernelILj128ELj64EdiidddEEvT3_20rocsparse_direction_NS_24const_host_device_scalarIT1_EES1_PKS1_PKT2_SA_S7_PKT4_PKT5_S5_PT6_21rocsparse_index_base_b.num_vgpr, 129
	.set _ZN9rocsparseL18bsrxmvn_4x4_kernelILj128ELj64EdiidddEEvT3_20rocsparse_direction_NS_24const_host_device_scalarIT1_EES1_PKS1_PKT2_SA_S7_PKT4_PKT5_S5_PT6_21rocsparse_index_base_b.num_agpr, 0
	.set _ZN9rocsparseL18bsrxmvn_4x4_kernelILj128ELj64EdiidddEEvT3_20rocsparse_direction_NS_24const_host_device_scalarIT1_EES1_PKS1_PKT2_SA_S7_PKT4_PKT5_S5_PT6_21rocsparse_index_base_b.numbered_sgpr, 14
	.set _ZN9rocsparseL18bsrxmvn_4x4_kernelILj128ELj64EdiidddEEvT3_20rocsparse_direction_NS_24const_host_device_scalarIT1_EES1_PKS1_PKT2_SA_S7_PKT4_PKT5_S5_PT6_21rocsparse_index_base_b.num_named_barrier, 0
	.set _ZN9rocsparseL18bsrxmvn_4x4_kernelILj128ELj64EdiidddEEvT3_20rocsparse_direction_NS_24const_host_device_scalarIT1_EES1_PKS1_PKT2_SA_S7_PKT4_PKT5_S5_PT6_21rocsparse_index_base_b.private_seg_size, 0
	.set _ZN9rocsparseL18bsrxmvn_4x4_kernelILj128ELj64EdiidddEEvT3_20rocsparse_direction_NS_24const_host_device_scalarIT1_EES1_PKS1_PKT2_SA_S7_PKT4_PKT5_S5_PT6_21rocsparse_index_base_b.uses_vcc, 1
	.set _ZN9rocsparseL18bsrxmvn_4x4_kernelILj128ELj64EdiidddEEvT3_20rocsparse_direction_NS_24const_host_device_scalarIT1_EES1_PKS1_PKT2_SA_S7_PKT4_PKT5_S5_PT6_21rocsparse_index_base_b.uses_flat_scratch, 0
	.set _ZN9rocsparseL18bsrxmvn_4x4_kernelILj128ELj64EdiidddEEvT3_20rocsparse_direction_NS_24const_host_device_scalarIT1_EES1_PKS1_PKT2_SA_S7_PKT4_PKT5_S5_PT6_21rocsparse_index_base_b.has_dyn_sized_stack, 0
	.set _ZN9rocsparseL18bsrxmvn_4x4_kernelILj128ELj64EdiidddEEvT3_20rocsparse_direction_NS_24const_host_device_scalarIT1_EES1_PKS1_PKT2_SA_S7_PKT4_PKT5_S5_PT6_21rocsparse_index_base_b.has_recursion, 0
	.set _ZN9rocsparseL18bsrxmvn_4x4_kernelILj128ELj64EdiidddEEvT3_20rocsparse_direction_NS_24const_host_device_scalarIT1_EES1_PKS1_PKT2_SA_S7_PKT4_PKT5_S5_PT6_21rocsparse_index_base_b.has_indirect_call, 0
	.section	.AMDGPU.csdata,"",@progbits
; Kernel info:
; codeLenInByte = 6080
; TotalNumSgprs: 16
; NumVgprs: 129
; ScratchSize: 0
; MemoryBound: 1
; FloatMode: 240
; IeeeMode: 1
; LDSByteSize: 0 bytes/workgroup (compile time only)
; SGPRBlocks: 0
; VGPRBlocks: 16
; NumSGPRsForWavesPerEU: 16
; NumVGPRsForWavesPerEU: 129
; Occupancy: 10
; WaveLimiterHint : 1
; COMPUTE_PGM_RSRC2:SCRATCH_EN: 0
; COMPUTE_PGM_RSRC2:USER_SGPR: 2
; COMPUTE_PGM_RSRC2:TRAP_HANDLER: 0
; COMPUTE_PGM_RSRC2:TGID_X_EN: 1
; COMPUTE_PGM_RSRC2:TGID_Y_EN: 0
; COMPUTE_PGM_RSRC2:TGID_Z_EN: 0
; COMPUTE_PGM_RSRC2:TIDIG_COMP_CNT: 0
	.section	.text._ZN9rocsparseL18bsrxmvn_4x4_kernelILj128ELj4E21rocsparse_complex_numIfEiiS2_S2_S2_EEvT3_20rocsparse_direction_NS_24const_host_device_scalarIT1_EES3_PKS3_PKT2_SC_S9_PKT4_PKT5_S7_PT6_21rocsparse_index_base_b,"axG",@progbits,_ZN9rocsparseL18bsrxmvn_4x4_kernelILj128ELj4E21rocsparse_complex_numIfEiiS2_S2_S2_EEvT3_20rocsparse_direction_NS_24const_host_device_scalarIT1_EES3_PKS3_PKT2_SC_S9_PKT4_PKT5_S7_PT6_21rocsparse_index_base_b,comdat
	.globl	_ZN9rocsparseL18bsrxmvn_4x4_kernelILj128ELj4E21rocsparse_complex_numIfEiiS2_S2_S2_EEvT3_20rocsparse_direction_NS_24const_host_device_scalarIT1_EES3_PKS3_PKT2_SC_S9_PKT4_PKT5_S7_PT6_21rocsparse_index_base_b ; -- Begin function _ZN9rocsparseL18bsrxmvn_4x4_kernelILj128ELj4E21rocsparse_complex_numIfEiiS2_S2_S2_EEvT3_20rocsparse_direction_NS_24const_host_device_scalarIT1_EES3_PKS3_PKT2_SC_S9_PKT4_PKT5_S7_PT6_21rocsparse_index_base_b
	.p2align	8
	.type	_ZN9rocsparseL18bsrxmvn_4x4_kernelILj128ELj4E21rocsparse_complex_numIfEiiS2_S2_S2_EEvT3_20rocsparse_direction_NS_24const_host_device_scalarIT1_EES3_PKS3_PKT2_SC_S9_PKT4_PKT5_S7_PT6_21rocsparse_index_base_b,@function
_ZN9rocsparseL18bsrxmvn_4x4_kernelILj128ELj4E21rocsparse_complex_numIfEiiS2_S2_S2_EEvT3_20rocsparse_direction_NS_24const_host_device_scalarIT1_EES3_PKS3_PKT2_SC_S9_PKT4_PKT5_S7_PT6_21rocsparse_index_base_b: ; @_ZN9rocsparseL18bsrxmvn_4x4_kernelILj128ELj4E21rocsparse_complex_numIfEiiS2_S2_S2_EEvT3_20rocsparse_direction_NS_24const_host_device_scalarIT1_EES3_PKS3_PKT2_SC_S9_PKT4_PKT5_S7_PT6_21rocsparse_index_base_b
; %bb.0:
	s_clause 0x2
	s_load_b64 s[12:13], s[0:1], 0x58
	s_load_b64 s[2:3], s[0:1], 0x8
	s_load_b64 s[4:5], s[0:1], 0x48
	s_add_nc_u64 s[6:7], s[0:1], 8
	s_wait_kmcnt 0x0
	s_bitcmp1_b32 s13, 0
	s_cselect_b32 s2, s6, s2
	s_cselect_b32 s3, s7, s3
	s_delay_alu instid0(SALU_CYCLE_1)
	v_dual_mov_b32 v1, s2 :: v_dual_mov_b32 v2, s3
	s_add_nc_u64 s[2:3], s[0:1], 0x48
	s_wait_alu 0xfffe
	s_cselect_b32 s2, s2, s4
	s_cselect_b32 s3, s3, s5
	flat_load_b64 v[106:107], v[1:2]
	s_wait_alu 0xfffe
	v_dual_mov_b32 v1, s2 :: v_dual_mov_b32 v2, s3
	flat_load_b64 v[104:105], v[1:2]
	s_wait_loadcnt_dscnt 0x101
	v_cmp_eq_f32_e32 vcc_lo, 0, v106
	v_cmp_eq_f32_e64 s2, 0, v107
	s_and_b32 s4, vcc_lo, s2
	s_mov_b32 s2, -1
	s_and_saveexec_b32 s3, s4
	s_cbranch_execz .LBB10_2
; %bb.1:
	s_wait_loadcnt_dscnt 0x0
	v_cmp_neq_f32_e32 vcc_lo, 1.0, v104
	v_cmp_neq_f32_e64 s2, 0, v105
	s_wait_alu 0xfffe
	s_or_b32 s2, vcc_lo, s2
	s_wait_alu 0xfffe
	s_or_not1_b32 s2, s2, exec_lo
.LBB10_2:
	s_wait_alu 0xfffe
	s_or_b32 exec_lo, exec_lo, s3
	s_and_saveexec_b32 s3, s2
	s_cbranch_execz .LBB10_8
; %bb.3:
	s_clause 0x1
	s_load_b64 s[4:5], s[0:1], 0x18
	s_load_b64 s[2:3], s[0:1], 0x0
	v_lshrrev_b32_e32 v1, 2, v0
	s_delay_alu instid0(VALU_DEP_1)
	v_lshl_or_b32 v108, ttmp9, 5, v1
	s_wait_kmcnt 0x0
	s_cmp_lg_u64 s[4:5], 0
	s_cbranch_scc0 .LBB10_9
; %bb.4:
	s_load_b32 s6, s[0:1], 0x10
	s_mov_b32 s7, 0
                                        ; implicit-def: $vgpr1
	s_wait_kmcnt 0x0
	v_cmp_gt_i32_e32 vcc_lo, s6, v108
	s_mov_b32 s6, 0
	s_and_saveexec_b32 s8, vcc_lo
	s_delay_alu instid0(SALU_CYCLE_1)
	s_xor_b32 s8, exec_lo, s8
	s_cbranch_execz .LBB10_6
; %bb.5:
	v_ashrrev_i32_e32 v109, 31, v108
	s_mov_b32 s6, exec_lo
	s_delay_alu instid0(VALU_DEP_1) | instskip(NEXT) | instid1(VALU_DEP_1)
	v_lshlrev_b64_e32 v[1:2], 2, v[108:109]
	v_add_co_u32 v1, vcc_lo, s4, v1
	s_delay_alu instid0(VALU_DEP_1)
	v_add_co_ci_u32_e64 v2, null, s5, v2, vcc_lo
	global_load_b32 v1, v[1:2], off
	s_wait_loadcnt 0x0
	v_subrev_nc_u32_e32 v1, s12, v1
.LBB10_6:
	s_or_b32 exec_lo, exec_lo, s8
	s_delay_alu instid0(SALU_CYCLE_1)
	s_and_b32 vcc_lo, exec_lo, s7
	s_wait_alu 0xfffe
	s_cbranch_vccz .LBB10_10
.LBB10_7:
	v_cmp_gt_i32_e32 vcc_lo, s2, v108
	s_and_not1_b32 s2, s6, exec_lo
	s_and_b32 s4, vcc_lo, exec_lo
	s_wait_alu 0xfffe
	s_or_b32 s6, s2, s4
	s_wait_alu 0xfffe
	s_and_b32 exec_lo, exec_lo, s6
	s_cbranch_execnz .LBB10_11
.LBB10_8:
	s_nop 0
	s_sendmsg sendmsg(MSG_DEALLOC_VGPRS)
	s_endpgm
.LBB10_9:
	s_mov_b32 s6, 0
                                        ; implicit-def: $vgpr1
	s_cbranch_execnz .LBB10_7
.LBB10_10:
	v_mov_b32_e32 v108, v1
	s_and_b32 exec_lo, exec_lo, s6
	s_cbranch_execz .LBB10_8
.LBB10_11:
	s_load_b256 s[4:11], s[0:1], 0x20
	s_delay_alu instid0(VALU_DEP_1) | instskip(SKIP_1) | instid1(VALU_DEP_2)
	v_ashrrev_i32_e32 v109, 31, v108
	v_and_b32_e32 v117, 3, v0
	v_lshlrev_b64_e32 v[1:2], 2, v[108:109]
	s_wait_kmcnt 0x0
	s_delay_alu instid0(VALU_DEP_1) | instskip(SKIP_1) | instid1(VALU_DEP_2)
	v_add_co_u32 v3, vcc_lo, s4, v1
	s_wait_alu 0xfffd
	v_add_co_ci_u32_e64 v4, null, s5, v2, vcc_lo
	v_add_co_u32 v1, vcc_lo, s6, v1
	s_wait_alu 0xfffd
	v_add_co_ci_u32_e64 v2, null, s7, v2, vcc_lo
	global_load_b32 v127, v[3:4], off
	v_add_co_u32 v3, vcc_lo, v3, 4
	s_wait_alu 0xfffd
	v_add_co_ci_u32_e64 v4, null, 0, v4, vcc_lo
	s_cmp_eq_u64 s[6:7], 0
	s_load_b64 s[4:5], s[0:1], 0x40
	s_cselect_b32 vcc_lo, -1, 0
	s_cmp_eq_u32 s3, 1
	s_wait_alu 0xfffe
	v_dual_cndmask_b32 v2, v2, v4 :: v_dual_cndmask_b32 v1, v1, v3
	global_load_b32 v2, v[1:2], off
	s_wait_loadcnt 0x1
	v_subrev_nc_u32_e32 v0, s12, v127
	s_delay_alu instid0(VALU_DEP_1) | instskip(NEXT) | instid1(VALU_DEP_1)
	v_add_nc_u32_e32 v109, v0, v117
	v_ashrrev_i32_e32 v110, 31, v109
	s_wait_loadcnt 0x0
	v_subrev_nc_u32_e32 v119, s12, v2
	s_delay_alu instid0(VALU_DEP_2) | instskip(NEXT) | instid1(VALU_DEP_2)
	v_lshlrev_b64_e32 v[0:1], 7, v[109:110]
	v_cmp_lt_i32_e64 s2, v109, v119
	s_delay_alu instid0(VALU_DEP_2) | instskip(SKIP_1) | instid1(VALU_DEP_3)
	v_add_co_u32 v111, vcc_lo, s10, v0
	s_wait_alu 0xfffd
	v_add_co_ci_u32_e64 v112, null, s11, v1, vcc_lo
	s_cbranch_scc1 .LBB10_23
; %bb.12:
	v_dual_mov_b32 v118, 0 :: v_dual_mov_b32 v125, 0
	v_dual_mov_b32 v123, 0 :: v_dual_mov_b32 v124, 0
	;; [unrolled: 1-line block ×3, first 2 shown]
	v_mov_b32_e32 v126, 0
	v_mov_b32_e32 v120, 0
	s_and_saveexec_b32 s3, s2
	s_cbranch_execz .LBB10_22
; %bb.13:
	v_dual_mov_b32 v121, 0 :: v_dual_add_nc_u32 v0, v127, v117
	v_not_b32_e32 v1, v127
	v_mov_b32_e32 v114, v112
	v_dual_mov_b32 v126, 0 :: v_dual_mov_b32 v125, 0
	s_delay_alu instid0(VALU_DEP_4) | instskip(SKIP_2) | instid1(VALU_DEP_3)
	v_subrev_nc_u32_e32 v0, s12, v0
	v_dual_mov_b32 v122, 0 :: v_dual_mov_b32 v113, v111
	v_dual_mov_b32 v124, 0 :: v_dual_mov_b32 v115, v109
	v_dual_mov_b32 v123, 0 :: v_dual_add_nc_u32 v0, 4, v0
	v_mov_b32_e32 v118, 0
	s_mov_b32 s6, exec_lo
	s_delay_alu instid0(VALU_DEP_2) | instskip(NEXT) | instid1(VALU_DEP_1)
	v_max_i32_e32 v0, v0, v119
	v_add3_u32 v0, s12, v0, v1
	s_delay_alu instid0(VALU_DEP_1) | instskip(NEXT) | instid1(VALU_DEP_1)
	v_sub_nc_u32_e32 v0, v0, v117
	v_dual_mov_b32 v120, 0 :: v_dual_and_b32 v1, 12, v0
	s_delay_alu instid0(VALU_DEP_1)
	v_cmpx_ne_u32_e32 12, v1
	s_cbranch_execz .LBB10_17
; %bb.14:
	v_lshrrev_b32_e32 v1, 2, v0
	v_dual_mov_b32 v118, 0 :: v_dual_mov_b32 v115, v109
	v_dual_mov_b32 v114, v112 :: v_dual_mov_b32 v113, v111
	s_delay_alu instid0(VALU_DEP_3) | instskip(SKIP_2) | instid1(VALU_DEP_3)
	v_dual_mov_b32 v124, 0 :: v_dual_add_nc_u32 v1, 1, v1
	v_dual_mov_b32 v125, 0 :: v_dual_mov_b32 v122, 0
	v_dual_mov_b32 v123, 0 :: v_dual_mov_b32 v126, 0
	v_dual_mov_b32 v120, 0 :: v_dual_and_b32 v1, 3, v1
	v_mov_b32_e32 v121, 0
	s_mov_b32 s7, 0
	s_delay_alu instid0(VALU_DEP_2)
	v_sub_nc_u32_e32 v1, 0, v1
.LBB10_15:                              ; =>This Inner Loop Header: Depth=1
	v_ashrrev_i32_e32 v116, 31, v115
	s_delay_alu instid0(VALU_DEP_2) | instskip(SKIP_2) | instid1(VALU_DEP_2)
	v_add_co_u32 v1, s10, v1, 1
	s_wait_alu 0xfffe
	s_or_b32 s7, s10, s7
	v_lshlrev_b64_e32 v[2:3], 2, v[115:116]
	s_delay_alu instid0(VALU_DEP_1) | instskip(SKIP_1) | instid1(VALU_DEP_2)
	v_add_co_u32 v2, vcc_lo, s8, v2
	s_wait_alu 0xfffd
	v_add_co_ci_u32_e64 v3, null, s9, v3, vcc_lo
	global_load_b32 v34, v[2:3], off
	s_clause 0x7
	global_load_b128 v[2:5], v[113:114], off offset:48
	global_load_b128 v[6:9], v[113:114], off offset:32
	;; [unrolled: 1-line block ×3, first 2 shown]
	global_load_b128 v[14:17], v[113:114], off
	global_load_b128 v[18:21], v[113:114], off offset:112
	global_load_b128 v[22:25], v[113:114], off offset:96
	;; [unrolled: 1-line block ×4, first 2 shown]
	s_wait_loadcnt 0x8
	v_subrev_nc_u32_e32 v34, s12, v34
	s_delay_alu instid0(VALU_DEP_1) | instskip(NEXT) | instid1(VALU_DEP_1)
	v_lshlrev_b32_e32 v34, 2, v34
	v_ashrrev_i32_e32 v35, 31, v34
	s_delay_alu instid0(VALU_DEP_1) | instskip(SKIP_1) | instid1(VALU_DEP_1)
	v_lshlrev_b64_e32 v[34:35], 3, v[34:35]
	s_wait_kmcnt 0x0
	v_add_co_u32 v38, vcc_lo, s4, v34
	s_wait_alu 0xfffd
	s_delay_alu instid0(VALU_DEP_2)
	v_add_co_ci_u32_e64 v39, null, s5, v35, vcc_lo
	v_add_co_u32 v113, vcc_lo, 0x200, v113
	s_wait_alu 0xfffd
	v_add_co_ci_u32_e64 v114, null, 0, v114, vcc_lo
	s_clause 0x1
	global_load_b128 v[34:37], v[38:39], off
	global_load_b128 v[38:41], v[38:39], off offset:16
	s_wait_loadcnt 0x1
	v_dual_fmac_f32 v118, v15, v34 :: v_dual_add_nc_u32 v115, 4, v115
	v_fmac_f32_e32 v121, v23, v34
	v_fmac_f32_e32 v120, v7, v34
	s_delay_alu instid0(VALU_DEP_3) | instskip(SKIP_1) | instid1(VALU_DEP_4)
	v_fmac_f32_e32 v118, v14, v35
	v_fmac_f32_e32 v125, v14, v34
	;; [unrolled: 1-line block ×4, first 2 shown]
	s_delay_alu instid0(VALU_DEP_4) | instskip(NEXT) | instid1(VALU_DEP_4)
	v_fmac_f32_e32 v118, v17, v36
	v_fma_f32 v15, -v15, v35, v125
	s_delay_alu instid0(VALU_DEP_4) | instskip(NEXT) | instid1(VALU_DEP_2)
	v_dual_fmac_f32 v126, v6, v34 :: v_dual_fmac_f32 v121, v25, v36
	v_dual_fmac_f32 v122, v31, v34 :: v_dual_fmac_f32 v15, v16, v36
	s_delay_alu instid0(VALU_DEP_2) | instskip(NEXT) | instid1(VALU_DEP_3)
	v_fma_f32 v7, -v7, v35, v126
	v_fmac_f32_e32 v121, v24, v37
	s_delay_alu instid0(VALU_DEP_3) | instskip(NEXT) | instid1(VALU_DEP_3)
	v_fma_f32 v15, -v17, v37, v15
	v_dual_fmac_f32 v7, v8, v36 :: v_dual_fmac_f32 v120, v6, v35
	s_wait_loadcnt 0x0
	s_delay_alu instid0(VALU_DEP_3) | instskip(SKIP_4) | instid1(VALU_DEP_4)
	v_fmac_f32_e32 v121, v19, v38
	v_fma_f32 v6, -v31, v35, v124
	v_fmac_f32_e32 v123, v22, v34
	v_dual_fmac_f32 v15, v10, v38 :: v_dual_fmac_f32 v120, v9, v36
	v_fma_f32 v7, -v9, v37, v7
	v_fmac_f32_e32 v6, v32, v36
	s_delay_alu instid0(VALU_DEP_4) | instskip(NEXT) | instid1(VALU_DEP_4)
	v_fma_f32 v14, -v23, v35, v123
	v_fma_f32 v9, -v11, v39, v15
	v_fmac_f32_e32 v122, v30, v35
	v_fmac_f32_e32 v120, v8, v37
	v_fma_f32 v6, -v33, v37, v6
	v_dual_fmac_f32 v14, v24, v36 :: v_dual_fmac_f32 v121, v18, v39
	v_fmac_f32_e32 v9, v12, v40
	v_dual_fmac_f32 v122, v33, v36 :: v_dual_fmac_f32 v7, v2, v38
	s_delay_alu instid0(VALU_DEP_3) | instskip(NEXT) | instid1(VALU_DEP_4)
	v_dual_fmac_f32 v118, v16, v37 :: v_dual_fmac_f32 v121, v21, v40
	v_fma_f32 v8, -v25, v37, v14
	s_delay_alu instid0(VALU_DEP_3)
	v_fmac_f32_e32 v122, v32, v37
	v_fmac_f32_e32 v120, v3, v38
	v_fmac_f32_e32 v6, v26, v38
	v_fma_f32 v3, -v3, v39, v7
	v_fmac_f32_e32 v118, v11, v38
	v_fmac_f32_e32 v122, v27, v38
	v_dual_fmac_f32 v8, v18, v38 :: v_dual_fmac_f32 v121, v20, v41
	v_fmac_f32_e32 v120, v2, v39
	v_fma_f32 v2, -v27, v39, v6
	s_delay_alu instid0(VALU_DEP_4) | instskip(NEXT) | instid1(VALU_DEP_4)
	v_fmac_f32_e32 v122, v26, v39
	v_fma_f32 v6, -v19, v39, v8
	v_dual_fmac_f32 v3, v4, v40 :: v_dual_fmac_f32 v118, v10, v39
	v_fmac_f32_e32 v120, v5, v40
	v_fmac_f32_e32 v2, v28, v40
	;; [unrolled: 1-line block ×5, first 2 shown]
	v_fma_f32 v125, -v13, v41, v9
	v_fma_f32 v126, -v5, v41, v3
	v_fmac_f32_e32 v120, v4, v41
	v_fma_f32 v124, -v29, v41, v2
	v_fmac_f32_e32 v118, v12, v41
	v_fmac_f32_e32 v122, v28, v41
	v_fma_f32 v123, -v21, v41, v6
	s_wait_alu 0xfffe
	s_and_not1_b32 exec_lo, exec_lo, s7
	s_cbranch_execnz .LBB10_15
; %bb.16:
	s_or_b32 exec_lo, exec_lo, s7
.LBB10_17:
	s_wait_alu 0xfffe
	s_or_b32 exec_lo, exec_lo, s6
	s_delay_alu instid0(SALU_CYCLE_1)
	s_mov_b32 s6, exec_lo
	v_cmpx_lt_u32_e32 11, v0
	s_cbranch_execz .LBB10_21
; %bb.18:
	s_mov_b32 s7, 0
.LBB10_19:                              ; =>This Inner Loop Header: Depth=1
	v_ashrrev_i32_e32 v116, 31, v115
	s_clause 0x1c
	global_load_b128 v[0:3], v[113:114], off offset:48
	global_load_b128 v[72:75], v[113:114], off offset:32
	;; [unrolled: 1-line block ×3, first 2 shown]
	global_load_b128 v[80:83], v[113:114], off
	global_load_b128 v[12:15], v[113:114], off offset:112
	global_load_b128 v[32:35], v[113:114], off offset:96
	;; [unrolled: 1-line block ×25, first 2 shown]
	v_lshlrev_b64_e32 v[140:141], 2, v[115:116]
	v_add_nc_u32_e32 v115, 16, v115
	s_delay_alu instid0(VALU_DEP_2) | instskip(SKIP_1) | instid1(VALU_DEP_3)
	v_add_co_u32 v140, vcc_lo, s8, v140
	s_wait_alu 0xfffd
	v_add_co_ci_u32_e64 v141, null, s9, v141, vcc_lo
	s_clause 0x3
	global_load_b32 v110, v[140:141], off
	global_load_b32 v116, v[140:141], off offset:16
	global_load_b32 v148, v[140:141], off offset:32
	;; [unrolled: 1-line block ×3, first 2 shown]
	s_wait_loadcnt 0x3
	v_subrev_nc_u32_e32 v110, s12, v110
	s_wait_loadcnt 0x2
	v_subrev_nc_u32_e32 v116, s12, v116
	s_delay_alu instid0(VALU_DEP_2) | instskip(NEXT) | instid1(VALU_DEP_1)
	v_lshlrev_b32_e32 v140, 2, v110
	v_ashrrev_i32_e32 v141, 31, v140
	s_delay_alu instid0(VALU_DEP_1) | instskip(SKIP_1) | instid1(VALU_DEP_1)
	v_lshlrev_b64_e32 v[140:141], 3, v[140:141]
	s_wait_kmcnt 0x0
	v_add_co_u32 v144, vcc_lo, s4, v140
	s_wait_alu 0xfffd
	s_delay_alu instid0(VALU_DEP_2)
	v_add_co_ci_u32_e64 v145, null, s5, v141, vcc_lo
	s_clause 0x1
	global_load_b128 v[140:143], v[144:145], off
	global_load_b128 v[144:147], v[144:145], off offset:16
	s_wait_loadcnt 0x1
	v_fmac_f32_e32 v124, v88, v140
	v_fmac_f32_e32 v118, v81, v140
	v_fmac_f32_e32 v122, v89, v140
	v_fmac_f32_e32 v120, v73, v140
	v_fmac_f32_e32 v123, v32, v140
	v_fma_f32 v89, -v89, v141, v124
	v_fmac_f32_e32 v126, v72, v140
	v_subrev_nc_u32_e32 v124, s12, v148
	s_delay_alu instid0(VALU_DEP_3) | instskip(NEXT) | instid1(VALU_DEP_3)
	v_fmac_f32_e32 v89, v90, v142
	v_fma_f32 v73, -v73, v141, v126
	v_fmac_f32_e32 v118, v80, v141
	s_delay_alu instid0(VALU_DEP_3) | instskip(NEXT) | instid1(VALU_DEP_3)
	v_fma_f32 v151, -v91, v143, v89
	v_fmac_f32_e32 v73, v74, v142
	s_delay_alu instid0(VALU_DEP_3) | instskip(SKIP_1) | instid1(VALU_DEP_3)
	v_dual_fmac_f32 v125, v80, v140 :: v_dual_fmac_f32 v118, v83, v142
	s_wait_loadcnt 0x0
	v_fmac_f32_e32 v151, v20, v144
	s_delay_alu instid0(VALU_DEP_3) | instskip(NEXT) | instid1(VALU_DEP_3)
	v_fma_f32 v150, -v75, v143, v73
	v_fma_f32 v81, -v81, v141, v125
	v_fmac_f32_e32 v118, v82, v143
	v_subrev_nc_u32_e32 v125, s12, v149
	s_delay_alu instid0(VALU_DEP_3) | instskip(NEXT) | instid1(VALU_DEP_3)
	v_dual_fmac_f32 v150, v0, v144 :: v_dual_fmac_f32 v81, v82, v142
	v_fmac_f32_e32 v118, v5, v144
	v_fmac_f32_e32 v121, v33, v140
	v_fma_f32 v33, -v33, v141, v123
	v_lshlrev_b32_e32 v123, 2, v125
	v_fma_f32 v110, -v83, v143, v81
	v_fmac_f32_e32 v118, v4, v145
	v_fmac_f32_e32 v121, v32, v141
	v_dual_fmac_f32 v33, v34, v142 :: v_dual_fmac_f32 v120, v72, v141
	global_load_b128 v[80:83], v[113:114], off offset:1632
	v_fmac_f32_e32 v118, v7, v146
	v_fmac_f32_e32 v121, v35, v142
	v_fma_f32 v148, -v35, v143, v33
	s_delay_alu instid0(VALU_DEP_2) | instskip(NEXT) | instid1(VALU_DEP_2)
	v_dual_fmac_f32 v120, v75, v142 :: v_dual_fmac_f32 v121, v34, v143
	v_fmac_f32_e32 v148, v12, v144
	s_delay_alu instid0(VALU_DEP_2)
	v_fmac_f32_e32 v120, v74, v143
	global_load_b128 v[72:75], v[113:114], off offset:1600
	v_fmac_f32_e32 v121, v13, v144
	v_lshlrev_b32_e32 v32, 2, v116
	v_fmac_f32_e32 v120, v1, v144
	v_fma_f32 v1, -v1, v145, v150
	v_fma_f32 v13, -v13, v145, v148
	v_lshlrev_b32_e32 v34, 2, v124
	v_ashrrev_i32_e32 v124, 31, v123
	v_fmac_f32_e32 v121, v12, v145
	v_dual_fmac_f32 v1, v2, v146 :: v_dual_fmac_f32 v122, v88, v141
	v_ashrrev_i32_e32 v33, 31, v32
	v_fmac_f32_e32 v13, v14, v146
	v_ashrrev_i32_e32 v35, 31, v34
	v_dual_fmac_f32 v110, v4, v144 :: v_dual_fmac_f32 v121, v15, v146
	v_fmac_f32_e32 v122, v91, v142
	v_lshlrev_b64_e32 v[32:33], 3, v[32:33]
	s_delay_alu instid0(VALU_DEP_4) | instskip(NEXT) | instid1(VALU_DEP_4)
	v_lshlrev_b64_e32 v[34:35], 3, v[34:35]
	v_fma_f32 v5, -v5, v145, v110
	v_lshlrev_b64_e32 v[123:124], 3, v[123:124]
	v_fmac_f32_e32 v122, v90, v143
	global_load_b128 v[88:91], v[113:114], off offset:1616
	v_fma_f32 v116, -v3, v147, v1
	v_fmac_f32_e32 v5, v6, v146
	v_fmac_f32_e32 v121, v14, v147
	v_add_co_u32 v125, vcc_lo, s4, v32
	s_wait_alu 0xfffd
	v_add_co_ci_u32_e64 v126, null, s5, v33, vcc_lo
	v_add_co_u32 v140, vcc_lo, s4, v34
	s_wait_alu 0xfffd
	v_add_co_ci_u32_e64 v141, null, s5, v35, vcc_lo
	v_fma_f32 v110, -v7, v147, v5
	global_load_b128 v[32:35], v[125:126], off
	v_fmac_f32_e32 v118, v6, v147
	global_load_b128 v[4:7], v[125:126], off offset:16
	v_add_co_u32 v142, vcc_lo, s4, v123
	s_wait_alu 0xfffd
	v_add_co_ci_u32_e64 v143, null, s5, v124, vcc_lo
	v_add_co_u32 v113, vcc_lo, 0x800, v113
	s_wait_alu 0xfffd
	v_add_co_ci_u32_e64 v114, null, 0, v114, vcc_lo
	v_cmp_ge_i32_e32 vcc_lo, v115, v119
	s_wait_alu 0xfffe
	s_or_b32 s7, vcc_lo, s7
	s_wait_loadcnt 0x1
	v_fmac_f32_e32 v121, v53, v32
	v_fmac_f32_e32 v110, v28, v32
	s_delay_alu instid0(VALU_DEP_2) | instskip(SKIP_3) | instid1(VALU_DEP_4)
	v_fmac_f32_e32 v121, v52, v33
	v_fmac_f32_e32 v120, v0, v145
	;; [unrolled: 1-line block ×3, first 2 shown]
	v_fma_f32 v21, -v21, v145, v151
	v_fmac_f32_e32 v121, v55, v34
	s_delay_alu instid0(VALU_DEP_4) | instskip(NEXT) | instid1(VALU_DEP_3)
	v_fmac_f32_e32 v120, v3, v146
	v_fmac_f32_e32 v21, v22, v146
	s_delay_alu instid0(VALU_DEP_3) | instskip(NEXT) | instid1(VALU_DEP_3)
	v_fmac_f32_e32 v121, v54, v35
	v_fmac_f32_e32 v120, v2, v147
	s_clause 0x1
	global_load_b128 v[0:3], v[140:141], off
	global_load_b128 v[123:126], v[140:141], off offset:16
	v_fma_f32 v141, -v15, v147, v13
	v_fmac_f32_e32 v116, v24, v32
	s_wait_loadcnt 0x2
	v_dual_fmac_f32 v122, v20, v145 :: v_dual_fmac_f32 v121, v37, v4
	v_fma_f32 v140, -v23, v147, v21
	v_fmac_f32_e32 v141, v52, v32
	v_fmac_f32_e32 v118, v29, v32
	v_fma_f32 v29, -v29, v33, v110
	global_load_b128 v[12:15], v[142:143], off offset:16
	v_fmac_f32_e32 v121, v36, v5
	v_fmac_f32_e32 v29, v30, v34
	s_delay_alu instid0(VALU_DEP_2) | instskip(NEXT) | instid1(VALU_DEP_2)
	v_fmac_f32_e32 v121, v39, v6
	v_fma_f32 v29, -v31, v35, v29
	s_delay_alu instid0(VALU_DEP_2) | instskip(SKIP_1) | instid1(VALU_DEP_3)
	v_dual_fmac_f32 v121, v38, v7 :: v_dual_fmac_f32 v118, v28, v33
	v_fma_f32 v28, -v53, v33, v141
	v_fmac_f32_e32 v29, v16, v4
	v_fmac_f32_e32 v120, v25, v32
	v_fma_f32 v25, -v25, v33, v116
	v_fmac_f32_e32 v118, v31, v34
	v_fmac_f32_e32 v28, v54, v34
	s_delay_alu instid0(VALU_DEP_3) | instskip(NEXT) | instid1(VALU_DEP_1)
	v_fmac_f32_e32 v25, v26, v34
	v_fma_f32 v25, -v27, v35, v25
	s_delay_alu instid0(VALU_DEP_1) | instskip(NEXT) | instid1(VALU_DEP_1)
	v_dual_fmac_f32 v122, v23, v146 :: v_dual_fmac_f32 v25, v8, v4
	v_fmac_f32_e32 v122, v22, v147
	global_load_b128 v[20:23], v[142:143], off
	s_wait_loadcnt 0x3
	v_fmac_f32_e32 v121, v77, v0
	s_delay_alu instid0(VALU_DEP_1) | instskip(NEXT) | instid1(VALU_DEP_1)
	v_fmac_f32_e32 v121, v76, v1
	v_dual_fmac_f32 v140, v60, v32 :: v_dual_fmac_f32 v121, v79, v2
	s_delay_alu instid0(VALU_DEP_1) | instskip(SKIP_1) | instid1(VALU_DEP_3)
	v_dual_fmac_f32 v122, v61, v32 :: v_dual_fmac_f32 v121, v78, v3
	v_fmac_f32_e32 v120, v24, v33
	v_fma_f32 v24, -v61, v33, v140
	s_wait_loadcnt 0x2
	s_delay_alu instid0(VALU_DEP_2) | instskip(NEXT) | instid1(VALU_DEP_1)
	v_dual_fmac_f32 v121, v69, v123 :: v_dual_fmac_f32 v120, v27, v34
	v_dual_fmac_f32 v24, v62, v34 :: v_dual_fmac_f32 v121, v68, v124
	v_fmac_f32_e32 v118, v30, v35
	s_delay_alu instid0(VALU_DEP_3) | instskip(SKIP_1) | instid1(VALU_DEP_4)
	v_fmac_f32_e32 v120, v26, v35
	v_fma_f32 v26, -v55, v35, v28
	v_fma_f32 v24, -v63, v35, v24
	v_fmac_f32_e32 v121, v71, v125
	v_fmac_f32_e32 v122, v60, v33
	;; [unrolled: 1-line block ×3, first 2 shown]
	s_delay_alu instid0(VALU_DEP_3) | instskip(NEXT) | instid1(VALU_DEP_3)
	v_dual_fmac_f32 v24, v44, v4 :: v_dual_fmac_f32 v121, v70, v126
	v_fmac_f32_e32 v122, v63, v34
	s_delay_alu instid0(VALU_DEP_3) | instskip(SKIP_1) | instid1(VALU_DEP_2)
	v_fmac_f32_e32 v118, v16, v5
	s_wait_loadcnt 0x0
	v_dual_fmac_f32 v122, v62, v35 :: v_dual_fmac_f32 v121, v81, v20
	v_fmac_f32_e32 v120, v9, v4
	v_fma_f32 v9, -v9, v5, v25
	s_delay_alu instid0(VALU_DEP_3) | instskip(NEXT) | instid1(VALU_DEP_4)
	v_fmac_f32_e32 v122, v45, v4
	v_dual_fmac_f32 v118, v19, v6 :: v_dual_fmac_f32 v121, v80, v21
	v_fmac_f32_e32 v26, v36, v4
	v_fma_f32 v4, -v17, v5, v29
	v_fmac_f32_e32 v9, v10, v6
	s_delay_alu instid0(VALU_DEP_4) | instskip(SKIP_3) | instid1(VALU_DEP_4)
	v_dual_fmac_f32 v121, v83, v22 :: v_dual_fmac_f32 v120, v8, v5
	v_fma_f32 v8, -v45, v5, v24
	v_fma_f32 v16, -v37, v5, v26
	v_fmac_f32_e32 v4, v18, v6
	v_dual_fmac_f32 v121, v82, v23 :: v_dual_fmac_f32 v122, v44, v5
	s_delay_alu instid0(VALU_DEP_4) | instskip(NEXT) | instid1(VALU_DEP_4)
	v_fmac_f32_e32 v8, v46, v6
	v_fmac_f32_e32 v16, v38, v6
	s_delay_alu instid0(VALU_DEP_4) | instskip(NEXT) | instid1(VALU_DEP_4)
	v_fma_f32 v4, -v19, v7, v4
	v_dual_fmac_f32 v121, v137, v12 :: v_dual_fmac_f32 v120, v11, v6
	v_fma_f32 v5, -v11, v7, v9
	s_delay_alu instid0(VALU_DEP_3) | instskip(NEXT) | instid1(VALU_DEP_3)
	v_fmac_f32_e32 v4, v64, v0
	v_dual_fmac_f32 v121, v136, v13 :: v_dual_fmac_f32 v118, v18, v7
	s_delay_alu instid0(VALU_DEP_3) | instskip(NEXT) | instid1(VALU_DEP_2)
	v_dual_fmac_f32 v120, v10, v7 :: v_dual_fmac_f32 v5, v56, v0
	v_fmac_f32_e32 v121, v139, v14
	v_fmac_f32_e32 v122, v47, v6
	v_fma_f32 v6, -v47, v7, v8
	v_fma_f32 v8, -v39, v7, v16
	s_delay_alu instid0(VALU_DEP_4) | instskip(NEXT) | instid1(VALU_DEP_4)
	v_dual_fmac_f32 v118, v65, v0 :: v_dual_fmac_f32 v121, v138, v15
	v_fmac_f32_e32 v122, v46, v7
	v_fmac_f32_e32 v120, v57, v0
	;; [unrolled: 1-line block ×6, first 2 shown]
	v_fma_f32 v0, -v65, v1, v4
	v_fma_f32 v4, -v57, v1, v5
	v_fmac_f32_e32 v120, v56, v1
	v_fma_f32 v5, -v129, v1, v6
	v_fmac_f32_e32 v122, v128, v1
	v_fma_f32 v6, -v77, v1, v8
	v_fmac_f32_e32 v0, v66, v2
	v_fmac_f32_e32 v118, v67, v2
	v_fmac_f32_e32 v4, v58, v2
	v_fmac_f32_e32 v120, v59, v2
	v_fmac_f32_e32 v5, v130, v2
	v_fmac_f32_e32 v122, v131, v2
	v_fmac_f32_e32 v6, v78, v2
	v_fma_f32 v0, -v67, v3, v0
	v_fmac_f32_e32 v118, v66, v3
	v_fma_f32 v1, -v59, v3, v4
	v_fmac_f32_e32 v120, v58, v3
	v_fma_f32 v2, -v131, v3, v5
	v_fmac_f32_e32 v122, v130, v3
	v_fma_f32 v4, -v79, v3, v6
	v_fmac_f32_e32 v0, v48, v123
	v_fmac_f32_e32 v118, v49, v123
	v_fmac_f32_e32 v1, v40, v123
	v_fmac_f32_e32 v120, v41, v123
	v_fmac_f32_e32 v2, v96, v123
	v_fmac_f32_e32 v122, v97, v123
	v_fmac_f32_e32 v4, v68, v123
	v_fma_f32 v0, -v49, v124, v0
	v_fmac_f32_e32 v118, v48, v124
	;; [unrolled: 14-line block ×7, first 2 shown]
	v_fma_f32 v126, -v87, v15, v1
	v_fmac_f32_e32 v120, v86, v15
	v_fma_f32 v124, -v91, v15, v2
	v_fmac_f32_e32 v122, v90, v15
	v_fma_f32 v123, -v139, v15, v3
	s_wait_alu 0xfffe
	s_and_not1_b32 exec_lo, exec_lo, s7
	s_cbranch_execnz .LBB10_19
; %bb.20:
	s_or_b32 exec_lo, exec_lo, s7
.LBB10_21:
	s_wait_alu 0xfffe
	s_or_b32 exec_lo, exec_lo, s6
.LBB10_22:
	s_wait_alu 0xfffe
	s_or_b32 exec_lo, exec_lo, s3
	s_cbranch_execz .LBB10_24
	s_branch .LBB10_35
.LBB10_23:
                                        ; implicit-def: $vgpr118
                                        ; implicit-def: $vgpr125
                                        ; implicit-def: $vgpr123
                                        ; implicit-def: $vgpr121
                                        ; implicit-def: $vgpr124
                                        ; implicit-def: $vgpr122
                                        ; implicit-def: $vgpr126
                                        ; implicit-def: $vgpr120
.LBB10_24:
	v_dual_mov_b32 v118, 0 :: v_dual_mov_b32 v125, 0
	v_dual_mov_b32 v123, 0 :: v_dual_mov_b32 v124, 0
	;; [unrolled: 1-line block ×3, first 2 shown]
	v_mov_b32_e32 v126, 0
	v_mov_b32_e32 v120, 0
	s_and_saveexec_b32 s3, s2
	s_cbranch_execz .LBB10_34
; %bb.25:
	v_dual_mov_b32 v121, 0 :: v_dual_add_nc_u32 v0, v127, v117
	v_not_b32_e32 v1, v127
	v_dual_mov_b32 v126, 0 :: v_dual_mov_b32 v125, 0
	s_delay_alu instid0(VALU_DEP_3)
	v_subrev_nc_u32_e32 v0, s12, v0
	v_mov_b32_e32 v122, 0
	v_mov_b32_e32 v124, 0
	;; [unrolled: 1-line block ×3, first 2 shown]
	s_mov_b32 s2, exec_lo
	v_dual_mov_b32 v123, 0 :: v_dual_add_nc_u32 v0, 4, v0
	s_delay_alu instid0(VALU_DEP_1) | instskip(NEXT) | instid1(VALU_DEP_1)
	v_max_i32_e32 v0, v0, v119
	v_add3_u32 v0, s12, v0, v1
	s_delay_alu instid0(VALU_DEP_1) | instskip(NEXT) | instid1(VALU_DEP_1)
	v_sub_nc_u32_e32 v0, v0, v117
	v_dual_mov_b32 v120, 0 :: v_dual_and_b32 v1, 12, v0
	s_delay_alu instid0(VALU_DEP_1)
	v_cmpx_ne_u32_e32 12, v1
	s_cbranch_execz .LBB10_29
; %bb.26:
	v_lshrrev_b32_e32 v1, 2, v0
	v_dual_mov_b32 v125, 0 :: v_dual_mov_b32 v124, 0
	v_dual_mov_b32 v123, 0 :: v_dual_mov_b32 v122, 0
	s_delay_alu instid0(VALU_DEP_3) | instskip(SKIP_2) | instid1(VALU_DEP_2)
	v_dual_mov_b32 v118, 0 :: v_dual_add_nc_u32 v1, 1, v1
	v_dual_mov_b32 v121, 0 :: v_dual_mov_b32 v120, 0
	s_mov_b32 s6, 0
	v_dual_mov_b32 v126, 0 :: v_dual_and_b32 v1, 3, v1
	s_delay_alu instid0(VALU_DEP_1)
	v_sub_nc_u32_e32 v1, 0, v1
.LBB10_27:                              ; =>This Inner Loop Header: Depth=1
	v_ashrrev_i32_e32 v110, 31, v109
	s_delay_alu instid0(VALU_DEP_2) | instskip(SKIP_2) | instid1(VALU_DEP_2)
	v_add_co_u32 v1, s7, v1, 1
	s_wait_alu 0xfffe
	s_or_b32 s6, s7, s6
	v_lshlrev_b64_e32 v[2:3], 2, v[109:110]
	s_delay_alu instid0(VALU_DEP_1) | instskip(SKIP_1) | instid1(VALU_DEP_2)
	v_add_co_u32 v2, vcc_lo, s8, v2
	s_wait_alu 0xfffd
	v_add_co_ci_u32_e64 v3, null, s9, v3, vcc_lo
	global_load_b32 v14, v[2:3], off
	s_clause 0x2
	global_load_b128 v[2:5], v[111:112], off offset:32
	global_load_b128 v[6:9], v[111:112], off offset:16
	global_load_b128 v[10:13], v[111:112], off
	s_wait_loadcnt 0x3
	v_subrev_nc_u32_e32 v14, s12, v14
	s_delay_alu instid0(VALU_DEP_1) | instskip(NEXT) | instid1(VALU_DEP_1)
	v_lshlrev_b32_e32 v14, 2, v14
	v_ashrrev_i32_e32 v15, 31, v14
	s_delay_alu instid0(VALU_DEP_1) | instskip(SKIP_1) | instid1(VALU_DEP_1)
	v_lshlrev_b64_e32 v[14:15], 3, v[14:15]
	s_wait_kmcnt 0x0
	v_add_co_u32 v18, vcc_lo, s4, v14
	s_wait_alu 0xfffd
	s_delay_alu instid0(VALU_DEP_2)
	v_add_co_ci_u32_e64 v19, null, s5, v15, vcc_lo
	s_clause 0x1
	global_load_b128 v[14:17], v[18:19], off
	global_load_b128 v[18:21], v[18:19], off offset:16
	s_clause 0x4
	global_load_b128 v[22:25], v[111:112], off offset:48
	global_load_b128 v[26:29], v[111:112], off offset:64
	global_load_b128 v[30:33], v[111:112], off offset:80
	global_load_b128 v[34:37], v[111:112], off offset:96
	global_load_b128 v[38:41], v[111:112], off offset:112
	v_add_nc_u32_e32 v109, 4, v109
	v_add_co_u32 v111, vcc_lo, 0x200, v111
	s_wait_alu 0xfffd
	v_add_co_ci_u32_e64 v112, null, 0, v112, vcc_lo
	s_wait_loadcnt 0x6
	v_fmac_f32_e32 v121, v9, v14
	v_fmac_f32_e32 v118, v11, v14
	;; [unrolled: 1-line block ×3, first 2 shown]
	s_delay_alu instid0(VALU_DEP_3) | instskip(SKIP_1) | instid1(VALU_DEP_1)
	v_dual_fmac_f32 v121, v8, v15 :: v_dual_fmac_f32 v124, v6, v14
	s_wait_loadcnt 0x4
	v_dual_fmac_f32 v118, v10, v15 :: v_dual_fmac_f32 v121, v25, v16
	v_fmac_f32_e32 v122, v7, v14
	s_delay_alu instid0(VALU_DEP_3) | instskip(SKIP_1) | instid1(VALU_DEP_4)
	v_fma_f32 v7, -v7, v15, v124
	v_fmac_f32_e32 v120, v13, v14
	v_dual_fmac_f32 v118, v3, v16 :: v_dual_fmac_f32 v121, v24, v17
	s_delay_alu instid0(VALU_DEP_4) | instskip(NEXT) | instid1(VALU_DEP_4)
	v_fmac_f32_e32 v122, v6, v15
	v_fmac_f32_e32 v7, v22, v16
	s_delay_alu instid0(VALU_DEP_4) | instskip(SKIP_3) | instid1(VALU_DEP_3)
	v_dual_fmac_f32 v125, v10, v14 :: v_dual_fmac_f32 v120, v12, v15
	v_fma_f32 v6, -v9, v15, v123
	s_wait_loadcnt 0x2
	v_dual_fmac_f32 v121, v33, v18 :: v_dual_fmac_f32 v122, v23, v16
	v_fma_f32 v11, -v11, v15, v125
	v_fmac_f32_e32 v126, v12, v14
	v_fmac_f32_e32 v6, v24, v16
	s_delay_alu instid0(VALU_DEP_4) | instskip(NEXT) | instid1(VALU_DEP_4)
	v_dual_fmac_f32 v120, v5, v16 :: v_dual_fmac_f32 v121, v32, v19
	v_fmac_f32_e32 v11, v2, v16
	s_delay_alu instid0(VALU_DEP_4) | instskip(SKIP_1) | instid1(VALU_DEP_3)
	v_fma_f32 v10, -v13, v15, v126
	s_wait_loadcnt 0x0
	v_dual_fmac_f32 v122, v22, v17 :: v_dual_fmac_f32 v121, v41, v20
	s_delay_alu instid0(VALU_DEP_3) | instskip(NEXT) | instid1(VALU_DEP_3)
	v_fma_f32 v3, -v3, v17, v11
	v_fmac_f32_e32 v10, v4, v16
	s_delay_alu instid0(VALU_DEP_3) | instskip(NEXT) | instid1(VALU_DEP_3)
	v_dual_fmac_f32 v122, v31, v18 :: v_dual_fmac_f32 v121, v40, v21
	v_fmac_f32_e32 v3, v26, v18
	v_fmac_f32_e32 v118, v2, v17
	s_delay_alu instid0(VALU_DEP_4) | instskip(SKIP_3) | instid1(VALU_DEP_4)
	v_fma_f32 v2, -v5, v17, v10
	v_fma_f32 v5, -v25, v17, v6
	v_fmac_f32_e32 v122, v30, v19
	v_fma_f32 v3, -v27, v19, v3
	v_fmac_f32_e32 v2, v28, v18
	s_delay_alu instid0(VALU_DEP_4) | instskip(NEXT) | instid1(VALU_DEP_3)
	v_fmac_f32_e32 v5, v32, v18
	v_dual_fmac_f32 v120, v4, v17 :: v_dual_fmac_f32 v3, v34, v20
	v_fma_f32 v4, -v23, v17, v7
	s_delay_alu instid0(VALU_DEP_4) | instskip(NEXT) | instid1(VALU_DEP_4)
	v_fma_f32 v2, -v29, v19, v2
	v_fma_f32 v5, -v33, v19, v5
	s_delay_alu instid0(VALU_DEP_4)
	v_fmac_f32_e32 v120, v29, v18
	v_fmac_f32_e32 v122, v39, v20
	;; [unrolled: 1-line block ×4, first 2 shown]
	v_dual_fmac_f32 v5, v40, v20 :: v_dual_fmac_f32 v118, v27, v18
	v_fmac_f32_e32 v120, v28, v19
	s_delay_alu instid0(VALU_DEP_4)
	v_fma_f32 v4, -v31, v19, v4
	v_fma_f32 v125, -v35, v21, v3
	;; [unrolled: 1-line block ×3, first 2 shown]
	v_fmac_f32_e32 v118, v26, v19
	v_fmac_f32_e32 v120, v37, v20
	;; [unrolled: 1-line block ×4, first 2 shown]
	v_fma_f32 v123, -v41, v21, v5
	v_fmac_f32_e32 v118, v35, v20
	v_fmac_f32_e32 v120, v36, v21
	v_fma_f32 v124, -v39, v21, v4
	s_delay_alu instid0(VALU_DEP_3)
	v_fmac_f32_e32 v118, v34, v21
	s_wait_alu 0xfffe
	s_and_not1_b32 exec_lo, exec_lo, s6
	s_cbranch_execnz .LBB10_27
; %bb.28:
	s_or_b32 exec_lo, exec_lo, s6
.LBB10_29:
	s_wait_alu 0xfffe
	s_or_b32 exec_lo, exec_lo, s2
	s_delay_alu instid0(SALU_CYCLE_1)
	s_mov_b32 s2, exec_lo
	v_cmpx_lt_u32_e32 11, v0
	s_cbranch_execz .LBB10_33
; %bb.30:
	s_mov_b32 s6, 0
.LBB10_31:                              ; =>This Inner Loop Header: Depth=1
	v_ashrrev_i32_e32 v110, 31, v109
	s_clause 0x16
	global_load_b128 v[44:47], v[111:112], off offset:48
	global_load_b128 v[56:59], v[111:112], off offset:32
	;; [unrolled: 1-line block ×3, first 2 shown]
	global_load_b128 v[64:67], v[111:112], off
	global_load_b128 v[8:11], v[111:112], off offset:112
	global_load_b128 v[32:35], v[111:112], off offset:96
	global_load_b128 v[48:51], v[111:112], off offset:80
	global_load_b128 v[52:55], v[111:112], off offset:64
	global_load_b128 v[24:27], v[111:112], off offset:560
	global_load_b128 v[28:31], v[111:112], off offset:544
	global_load_b128 v[36:39], v[111:112], off offset:528
	global_load_b128 v[40:43], v[111:112], off offset:512
	global_load_b128 v[0:3], v[111:112], off offset:624
	global_load_b128 v[4:7], v[111:112], off offset:608
	global_load_b128 v[12:15], v[111:112], off offset:592
	global_load_b128 v[16:19], v[111:112], off offset:576
	global_load_b128 v[20:23], v[111:112], off offset:1072
	global_load_b128 v[68:71], v[111:112], off offset:1056
	global_load_b128 v[72:75], v[111:112], off offset:1040
	global_load_b128 v[76:79], v[111:112], off offset:1024
	global_load_b128 v[80:83], v[111:112], off offset:1136
	global_load_b128 v[84:87], v[111:112], off offset:1120
	global_load_b128 v[88:91], v[111:112], off offset:1104
	v_lshlrev_b64_e32 v[92:93], 2, v[109:110]
	v_add_nc_u32_e32 v109, 16, v109
	s_delay_alu instid0(VALU_DEP_2) | instskip(SKIP_1) | instid1(VALU_DEP_3)
	v_add_co_u32 v92, vcc_lo, s8, v92
	s_wait_alu 0xfffd
	v_add_co_ci_u32_e64 v93, null, s9, v93, vcc_lo
	s_clause 0x3
	global_load_b32 v94, v[92:93], off
	global_load_b32 v100, v[92:93], off offset:16
	global_load_b32 v101, v[92:93], off offset:32
	;; [unrolled: 1-line block ×3, first 2 shown]
	s_wait_loadcnt 0x3
	v_subrev_nc_u32_e32 v92, s12, v94
	s_delay_alu instid0(VALU_DEP_1) | instskip(NEXT) | instid1(VALU_DEP_1)
	v_lshlrev_b32_e32 v92, 2, v92
	v_ashrrev_i32_e32 v93, 31, v92
	s_delay_alu instid0(VALU_DEP_1) | instskip(SKIP_1) | instid1(VALU_DEP_1)
	v_lshlrev_b64_e32 v[92:93], 3, v[92:93]
	s_wait_kmcnt 0x0
	v_add_co_u32 v96, vcc_lo, s4, v92
	s_wait_alu 0xfffd
	s_delay_alu instid0(VALU_DEP_2)
	v_add_co_ci_u32_e64 v97, null, s5, v93, vcc_lo
	s_clause 0x1
	global_load_b128 v[92:95], v[96:97], off
	global_load_b128 v[96:99], v[96:97], off offset:16
	s_wait_loadcnt 0x1
	v_fmac_f32_e32 v123, v62, v92
	v_fmac_f32_e32 v121, v63, v92
	s_delay_alu instid0(VALU_DEP_2) | instskip(NEXT) | instid1(VALU_DEP_2)
	v_fma_f32 v113, -v63, v93, v123
	v_dual_fmac_f32 v120, v67, v92 :: v_dual_fmac_f32 v121, v62, v93
	v_fmac_f32_e32 v126, v66, v92
	s_delay_alu instid0(VALU_DEP_3) | instskip(NEXT) | instid1(VALU_DEP_3)
	v_fmac_f32_e32 v113, v46, v94
	v_dual_fmac_f32 v125, v64, v92 :: v_dual_fmac_f32 v120, v66, v93
	s_delay_alu instid0(VALU_DEP_4) | instskip(NEXT) | instid1(VALU_DEP_4)
	v_fmac_f32_e32 v121, v47, v94
	v_fma_f32 v110, -v67, v93, v126
	v_fmac_f32_e32 v124, v60, v92
	s_delay_alu instid0(VALU_DEP_4) | instskip(NEXT) | instid1(VALU_DEP_4)
	v_fma_f32 v103, -v65, v93, v125
	v_dual_fmac_f32 v118, v65, v92 :: v_dual_fmac_f32 v121, v46, v95
	s_delay_alu instid0(VALU_DEP_4) | instskip(SKIP_1) | instid1(VALU_DEP_4)
	v_fmac_f32_e32 v110, v58, v94
	v_fma_f32 v113, -v47, v95, v113
	v_fmac_f32_e32 v103, v56, v94
	s_wait_loadcnt 0x0
	v_dual_fmac_f32 v118, v64, v93 :: v_dual_fmac_f32 v121, v51, v96
	v_fmac_f32_e32 v122, v61, v92
	v_dual_fmac_f32 v120, v59, v94 :: v_dual_fmac_f32 v113, v50, v96
	v_fma_f32 v92, -v61, v93, v124
	s_delay_alu instid0(VALU_DEP_4) | instskip(NEXT) | instid1(VALU_DEP_4)
	v_fmac_f32_e32 v121, v50, v97
	v_fmac_f32_e32 v122, v60, v93
	s_delay_alu instid0(VALU_DEP_4)
	v_fmac_f32_e32 v120, v58, v95
	v_subrev_nc_u32_e32 v93, s12, v100
	v_subrev_nc_u32_e32 v100, s12, v101
	;; [unrolled: 1-line block ×3, first 2 shown]
	v_fma_f32 v110, -v59, v95, v110
	v_fma_f32 v114, -v57, v95, v103
	s_clause 0x1
	global_load_b128 v[64:67], v[111:112], off offset:1088
	global_load_b128 v[60:63], v[111:112], off offset:1584
	v_fmac_f32_e32 v122, v45, v94
	v_fmac_f32_e32 v121, v11, v98
	;; [unrolled: 1-line block ×3, first 2 shown]
	v_lshlrev_b32_e32 v46, 2, v100
	v_fmac_f32_e32 v110, v54, v96
	v_fmac_f32_e32 v114, v52, v96
	;; [unrolled: 1-line block ×4, first 2 shown]
	v_dual_fmac_f32 v121, v10, v99 :: v_dual_lshlrev_b32 v44, 2, v93
	v_fma_f32 v115, -v45, v95, v92
	v_lshlrev_b32_e32 v92, 2, v101
	v_ashrrev_i32_e32 v47, 31, v46
	v_fmac_f32_e32 v118, v57, v94
	v_fmac_f32_e32 v120, v54, v97
	v_ashrrev_i32_e32 v45, 31, v44
	v_ashrrev_i32_e32 v93, 31, v92
	v_lshlrev_b64_e32 v[46:47], 3, v[46:47]
	v_fmac_f32_e32 v115, v48, v96
	v_fmac_f32_e32 v118, v56, v95
	;; [unrolled: 1-line block ×4, first 2 shown]
	global_load_b128 v[56:59], v[111:112], off offset:1568
	v_lshlrev_b64_e32 v[44:45], 3, v[44:45]
	v_lshlrev_b64_e32 v[92:93], 3, v[92:93]
	v_fmac_f32_e32 v122, v48, v97
	v_fmac_f32_e32 v120, v34, v99
	s_delay_alu instid0(VALU_DEP_4) | instskip(NEXT) | instid1(VALU_DEP_3)
	v_add_co_u32 v94, vcc_lo, s4, v44
	v_fmac_f32_e32 v122, v9, v98
	s_wait_alu 0xfffd
	v_add_co_ci_u32_e64 v95, null, s5, v45, vcc_lo
	v_add_co_u32 v100, vcc_lo, s4, v46
	s_wait_alu 0xfffd
	v_add_co_ci_u32_e64 v101, null, s5, v47, vcc_lo
	v_add_co_u32 v102, vcc_lo, s4, v92
	s_wait_alu 0xfffd
	v_add_co_ci_u32_e64 v103, null, s5, v93, vcc_lo
	v_fma_f32 v93, -v55, v97, v110
	v_fma_f32 v92, -v53, v97, v114
	;; [unrolled: 1-line block ×3, first 2 shown]
	global_load_b128 v[44:47], v[111:112], off offset:1552
	v_dual_fmac_f32 v122, v8, v99 :: v_dual_fmac_f32 v93, v34, v98
	v_fmac_f32_e32 v118, v53, v96
	v_fma_f32 v96, -v49, v97, v115
	v_fmac_f32_e32 v92, v32, v98
	v_fmac_f32_e32 v110, v10, v98
	global_load_b128 v[48:51], v[111:112], off offset:1600
	v_fmac_f32_e32 v118, v52, v97
	v_fmac_f32_e32 v96, v8, v98
	global_load_b128 v[52:55], v[111:112], off offset:1536
	v_fma_f32 v97, -v33, v99, v92
	v_fma_f32 v113, -v35, v99, v93
	v_fmac_f32_e32 v118, v33, v98
	v_fma_f32 v114, -v9, v99, v96
	v_fma_f32 v110, -v11, v99, v110
	s_delay_alu instid0(VALU_DEP_3)
	v_fmac_f32_e32 v118, v32, v99
	global_load_b128 v[32:35], v[111:112], off offset:1616
	s_clause 0x1
	global_load_b128 v[8:11], v[94:95], off
	global_load_b128 v[92:95], v[94:95], off offset:16
	s_wait_loadcnt 0x1
	v_fmac_f32_e32 v97, v40, v8
	v_fmac_f32_e32 v118, v41, v8
	;; [unrolled: 1-line block ×5, first 2 shown]
	v_fma_f32 v115, -v41, v9, v97
	v_fmac_f32_e32 v118, v40, v9
	v_fma_f32 v113, -v43, v9, v113
	v_fmac_f32_e32 v120, v42, v9
	s_clause 0x1
	global_load_b128 v[40:43], v[100:101], off
	global_load_b128 v[96:99], v[100:101], off offset:16
	v_dual_fmac_f32 v121, v38, v9 :: v_dual_fmac_f32 v122, v37, v8
	v_dual_fmac_f32 v110, v38, v8 :: v_dual_fmac_f32 v115, v28, v10
	v_fmac_f32_e32 v113, v30, v10
	s_delay_alu instid0(VALU_DEP_3) | instskip(NEXT) | instid1(VALU_DEP_3)
	v_dual_fmac_f32 v121, v27, v10 :: v_dual_fmac_f32 v122, v36, v9
	v_fma_f32 v100, -v39, v9, v110
	s_delay_alu instid0(VALU_DEP_4) | instskip(NEXT) | instid1(VALU_DEP_4)
	v_fma_f32 v101, -v29, v11, v115
	v_fma_f32 v110, -v31, v11, v113
	s_delay_alu instid0(VALU_DEP_4) | instskip(SKIP_1) | instid1(VALU_DEP_3)
	v_fmac_f32_e32 v121, v26, v11
	s_wait_loadcnt 0x2
	v_fmac_f32_e32 v101, v16, v92
	s_delay_alu instid0(VALU_DEP_2) | instskip(NEXT) | instid1(VALU_DEP_1)
	v_fmac_f32_e32 v121, v15, v92
	v_fmac_f32_e32 v121, v14, v93
	s_delay_alu instid0(VALU_DEP_1) | instskip(NEXT) | instid1(VALU_DEP_1)
	v_fmac_f32_e32 v121, v3, v94
	v_fmac_f32_e32 v121, v2, v95
	s_wait_loadcnt 0x1
	s_delay_alu instid0(VALU_DEP_1) | instskip(NEXT) | instid1(VALU_DEP_1)
	v_fmac_f32_e32 v121, v75, v40
	v_fmac_f32_e32 v121, v74, v41
	s_delay_alu instid0(VALU_DEP_1) | instskip(NEXT) | instid1(VALU_DEP_1)
	v_fmac_f32_e32 v121, v23, v42
	v_fmac_f32_e32 v121, v22, v43
	s_wait_loadcnt 0x0
	s_delay_alu instid0(VALU_DEP_1) | instskip(NEXT) | instid1(VALU_DEP_1)
	v_fmac_f32_e32 v121, v91, v96
	v_dual_fmac_f32 v114, v36, v8 :: v_dual_fmac_f32 v121, v90, v97
	s_delay_alu instid0(VALU_DEP_1) | instskip(SKIP_4) | instid1(VALU_DEP_3)
	v_fma_f32 v8, -v37, v9, v114
	global_load_b128 v[36:39], v[102:103], off
	v_fmac_f32_e32 v120, v31, v10
	v_fmac_f32_e32 v121, v83, v98
	;; [unrolled: 1-line block ×4, first 2 shown]
	s_delay_alu instid0(VALU_DEP_3) | instskip(NEXT) | instid1(VALU_DEP_3)
	v_fmac_f32_e32 v121, v82, v99
	v_fmac_f32_e32 v118, v28, v11
	global_load_b128 v[28:31], v[102:103], off offset:16
	v_fmac_f32_e32 v122, v25, v10
	s_delay_alu instid0(VALU_DEP_1) | instskip(NEXT) | instid1(VALU_DEP_1)
	v_fmac_f32_e32 v122, v24, v11
	v_fmac_f32_e32 v122, v13, v92
	s_wait_loadcnt 0x1
	v_dual_fmac_f32 v121, v47, v36 :: v_dual_fmac_f32 v8, v24, v10
	s_delay_alu instid0(VALU_DEP_1) | instskip(SKIP_1) | instid1(VALU_DEP_3)
	v_fmac_f32_e32 v121, v46, v37
	v_fmac_f32_e32 v110, v18, v92
	v_fma_f32 v102, -v25, v11, v8
	s_delay_alu instid0(VALU_DEP_3) | instskip(NEXT) | instid1(VALU_DEP_1)
	v_fmac_f32_e32 v121, v63, v38
	v_dual_fmac_f32 v120, v19, v92 :: v_dual_fmac_f32 v121, v62, v39
	s_wait_loadcnt 0x0
	s_delay_alu instid0(VALU_DEP_1) | instskip(SKIP_1) | instid1(VALU_DEP_2)
	v_dual_fmac_f32 v120, v18, v93 :: v_dual_fmac_f32 v121, v35, v28
	v_fmac_f32_e32 v102, v12, v92
	v_dual_fmac_f32 v120, v7, v94 :: v_dual_fmac_f32 v121, v34, v29
	s_delay_alu instid0(VALU_DEP_2) | instskip(SKIP_1) | instid1(VALU_DEP_2)
	v_fma_f32 v13, -v13, v93, v102
	v_fmac_f32_e32 v122, v12, v93
	v_dual_fmac_f32 v120, v6, v95 :: v_dual_fmac_f32 v13, v0, v94
	s_delay_alu instid0(VALU_DEP_2) | instskip(NEXT) | instid1(VALU_DEP_2)
	v_fmac_f32_e32 v122, v1, v94
	v_fmac_f32_e32 v120, v79, v40
	s_delay_alu instid0(VALU_DEP_3) | instskip(NEXT) | instid1(VALU_DEP_3)
	v_fma_f32 v1, -v1, v95, v13
	v_fmac_f32_e32 v122, v0, v95
	s_delay_alu instid0(VALU_DEP_2) | instskip(NEXT) | instid1(VALU_DEP_2)
	v_dual_fmac_f32 v120, v78, v41 :: v_dual_fmac_f32 v1, v72, v40
	v_fmac_f32_e32 v122, v73, v40
	s_delay_alu instid0(VALU_DEP_2) | instskip(NEXT) | instid1(VALU_DEP_3)
	v_fmac_f32_e32 v120, v71, v42
	v_fma_f32 v1, -v73, v41, v1
	s_delay_alu instid0(VALU_DEP_3) | instskip(NEXT) | instid1(VALU_DEP_2)
	v_fmac_f32_e32 v122, v72, v41
	v_dual_fmac_f32 v120, v70, v43 :: v_dual_fmac_f32 v1, v20, v42
	s_delay_alu instid0(VALU_DEP_2) | instskip(NEXT) | instid1(VALU_DEP_2)
	v_fmac_f32_e32 v122, v21, v42
	v_fmac_f32_e32 v120, v67, v96
	s_delay_alu instid0(VALU_DEP_3) | instskip(NEXT) | instid1(VALU_DEP_3)
	v_fma_f32 v1, -v21, v43, v1
	v_fmac_f32_e32 v122, v20, v43
	s_delay_alu instid0(VALU_DEP_2) | instskip(NEXT) | instid1(VALU_DEP_2)
	v_dual_fmac_f32 v120, v66, v97 :: v_dual_fmac_f32 v1, v88, v96
	v_fmac_f32_e32 v122, v89, v96
	s_delay_alu instid0(VALU_DEP_2) | instskip(NEXT) | instid1(VALU_DEP_3)
	v_fmac_f32_e32 v120, v87, v98
	v_fma_f32 v1, -v89, v97, v1
	s_delay_alu instid0(VALU_DEP_3) | instskip(NEXT) | instid1(VALU_DEP_2)
	v_fmac_f32_e32 v122, v88, v97
	v_dual_fmac_f32 v120, v86, v99 :: v_dual_fmac_f32 v1, v80, v98
	s_delay_alu instid0(VALU_DEP_2) | instskip(NEXT) | instid1(VALU_DEP_2)
	v_fmac_f32_e32 v122, v81, v98
	v_fmac_f32_e32 v120, v55, v36
	s_delay_alu instid0(VALU_DEP_3) | instskip(NEXT) | instid1(VALU_DEP_3)
	v_fma_f32 v1, -v81, v99, v1
	v_fmac_f32_e32 v122, v80, v99
	s_delay_alu instid0(VALU_DEP_2) | instskip(NEXT) | instid1(VALU_DEP_2)
	v_dual_fmac_f32 v120, v54, v37 :: v_dual_fmac_f32 v1, v44, v36
	v_fmac_f32_e32 v122, v45, v36
	s_delay_alu instid0(VALU_DEP_2) | instskip(NEXT) | instid1(VALU_DEP_3)
	v_fmac_f32_e32 v120, v59, v38
	v_fma_f32 v1, -v45, v37, v1
	v_fmac_f32_e32 v118, v17, v92
	v_fma_f32 v17, -v17, v93, v101
	v_fmac_f32_e32 v122, v44, v37
	s_delay_alu instid0(VALU_DEP_4) | instskip(NEXT) | instid1(VALU_DEP_4)
	v_dual_fmac_f32 v120, v58, v39 :: v_dual_fmac_f32 v1, v60, v38
	v_fmac_f32_e32 v118, v16, v93
	v_fma_f32 v16, -v19, v93, v110
	v_fmac_f32_e32 v17, v4, v94
	v_fmac_f32_e32 v122, v61, v38
	v_fma_f32 v1, -v61, v39, v1
	v_fmac_f32_e32 v100, v26, v10
	v_fmac_f32_e32 v16, v6, v94
	v_fmac_f32_e32 v120, v51, v28
	v_fmac_f32_e32 v122, v60, v39
	v_fmac_f32_e32 v1, v32, v28
	v_fma_f32 v100, -v27, v11, v100
	s_clause 0x1
	global_load_b128 v[8:11], v[111:112], off offset:1632
	global_load_b128 v[24:27], v[111:112], off offset:1648
	v_fmac_f32_e32 v120, v50, v29
	v_fmac_f32_e32 v122, v33, v28
	v_fma_f32 v1, -v33, v29, v1
	v_fmac_f32_e32 v100, v14, v92
	v_add_co_u32 v111, vcc_lo, 0x800, v111
	s_delay_alu instid0(VALU_DEP_4)
	v_fmac_f32_e32 v122, v32, v29
	s_wait_alu 0xfffd
	v_add_co_ci_u32_e64 v112, null, 0, v112, vcc_lo
	v_cmp_ge_i32_e32 vcc_lo, v109, v119
	s_wait_alu 0xfffe
	s_or_b32 s6, vcc_lo, s6
	s_wait_loadcnt 0x1
	v_fmac_f32_e32 v120, v11, v30
	s_wait_loadcnt 0x0
	v_fmac_f32_e32 v1, v24, v30
	v_fma_f32 v12, -v15, v93, v100
	v_fmac_f32_e32 v121, v27, v30
	v_fmac_f32_e32 v118, v5, v94
	v_fma_f32 v5, -v5, v95, v17
	v_fmac_f32_e32 v122, v25, v30
	v_fmac_f32_e32 v12, v2, v94
	;; [unrolled: 1-line block ×4, first 2 shown]
	v_fma_f32 v4, -v7, v95, v16
	v_fmac_f32_e32 v5, v76, v40
	v_fma_f32 v0, -v3, v95, v12
	v_fmac_f32_e32 v120, v10, v31
	v_fmac_f32_e32 v118, v77, v40
	;; [unrolled: 1-line block ×3, first 2 shown]
	v_fma_f32 v2, -v77, v41, v5
	v_fmac_f32_e32 v0, v74, v40
	v_fma_f32 v124, -v25, v31, v1
	v_fmac_f32_e32 v118, v76, v41
	;; [unrolled: 2-line block ×4, first 2 shown]
	v_fmac_f32_e32 v118, v69, v42
	v_fmac_f32_e32 v3, v70, v42
	v_fma_f32 v2, -v69, v43, v2
	v_fmac_f32_e32 v0, v22, v42
	s_delay_alu instid0(VALU_DEP_4) | instskip(NEXT) | instid1(VALU_DEP_4)
	v_fmac_f32_e32 v118, v68, v43
	v_fma_f32 v3, -v71, v43, v3
	s_delay_alu instid0(VALU_DEP_4) | instskip(NEXT) | instid1(VALU_DEP_4)
	v_fmac_f32_e32 v2, v64, v96
	v_fma_f32 v0, -v23, v43, v0
	s_delay_alu instid0(VALU_DEP_4) | instskip(NEXT) | instid1(VALU_DEP_4)
	v_fmac_f32_e32 v118, v65, v96
	v_fmac_f32_e32 v3, v66, v96
	s_delay_alu instid0(VALU_DEP_4) | instskip(NEXT) | instid1(VALU_DEP_4)
	v_fma_f32 v2, -v65, v97, v2
	v_fmac_f32_e32 v0, v90, v96
	s_delay_alu instid0(VALU_DEP_4) | instskip(NEXT) | instid1(VALU_DEP_4)
	v_fmac_f32_e32 v118, v64, v97
	v_fma_f32 v3, -v67, v97, v3
	s_delay_alu instid0(VALU_DEP_4) | instskip(NEXT) | instid1(VALU_DEP_4)
	v_fmac_f32_e32 v2, v84, v98
	v_fma_f32 v0, -v91, v97, v0
	s_delay_alu instid0(VALU_DEP_4) | instskip(NEXT) | instid1(VALU_DEP_4)
	v_fmac_f32_e32 v118, v85, v98
	v_fmac_f32_e32 v3, v86, v98
	s_delay_alu instid0(VALU_DEP_4) | instskip(NEXT) | instid1(VALU_DEP_4)
	;; [unrolled: 12-line block ×6, first 2 shown]
	v_fma_f32 v125, -v9, v31, v2
	v_fmac_f32_e32 v0, v26, v30
	s_delay_alu instid0(VALU_DEP_4) | instskip(NEXT) | instid1(VALU_DEP_4)
	v_fmac_f32_e32 v118, v8, v31
	v_fma_f32 v126, -v11, v31, v3
	s_delay_alu instid0(VALU_DEP_3)
	v_fma_f32 v123, -v27, v31, v0
	s_wait_alu 0xfffe
	s_and_not1_b32 exec_lo, exec_lo, s6
	s_cbranch_execnz .LBB10_31
; %bb.32:
	s_or_b32 exec_lo, exec_lo, s6
.LBB10_33:
	s_wait_alu 0xfffe
	s_or_b32 exec_lo, exec_lo, s2
.LBB10_34:
	s_wait_alu 0xfffe
	s_or_b32 exec_lo, exec_lo, s3
.LBB10_35:
	v_mbcnt_lo_u32_b32 v0, -1, 0
	s_delay_alu instid0(VALU_DEP_1) | instskip(NEXT) | instid1(VALU_DEP_1)
	v_xor_b32_e32 v1, 2, v0
	v_cmp_gt_i32_e32 vcc_lo, 32, v1
	s_wait_alu 0xfffd
	v_cndmask_b32_e32 v1, v0, v1, vcc_lo
	s_delay_alu instid0(VALU_DEP_1)
	v_lshlrev_b32_e32 v1, 2, v1
	ds_bpermute_b32 v2, v1, v125
	ds_bpermute_b32 v3, v1, v118
	;; [unrolled: 1-line block ×8, first 2 shown]
	v_xor_b32_e32 v1, 1, v0
	s_delay_alu instid0(VALU_DEP_1)
	v_cmp_gt_i32_e32 vcc_lo, 32, v1
	s_wait_alu 0xfffd
	v_cndmask_b32_e32 v0, v0, v1, vcc_lo
	v_cmp_eq_u32_e32 vcc_lo, 3, v117
	s_wait_dscnt 0x6
	v_add_f32_e32 v1, v118, v3
	s_delay_alu instid0(VALU_DEP_3)
	v_dual_add_f32 v0, v125, v2 :: v_dual_lshlrev_b32 v15, 2, v0
	s_wait_dscnt 0x4
	v_dual_add_f32 v2, v126, v4 :: v_dual_add_f32 v3, v120, v5
	s_wait_dscnt 0x2
	v_dual_add_f32 v4, v124, v6 :: v_dual_add_f32 v5, v122, v7
	s_wait_dscnt 0x0
	v_dual_add_f32 v6, v123, v8 :: v_dual_add_f32 v7, v121, v9
	ds_bpermute_b32 v8, v15, v0
	ds_bpermute_b32 v9, v15, v1
	;; [unrolled: 1-line block ×8, first 2 shown]
	s_and_b32 exec_lo, exec_lo, vcc_lo
	s_cbranch_execz .LBB10_8
; %bb.36:
	s_load_b64 s[2:3], s[0:1], 0x50
	s_wait_dscnt 0x7
	v_add_f32_e32 v8, v0, v8
	s_wait_dscnt 0x4
	v_dual_add_f32 v0, v1, v9 :: v_dual_add_f32 v1, v3, v11
	s_wait_dscnt 0x2
	v_dual_add_f32 v9, v2, v10 :: v_dual_add_f32 v2, v5, v13
	;; [unrolled: 2-line block ×3, first 2 shown]
	v_add_f32_e32 v11, v6, v14
	v_mul_f32_e64 v4, v0, -v107
	v_mul_f32_e32 v5, v106, v0
	v_mul_f32_e64 v6, v1, -v107
	v_mul_f32_e32 v7, v106, v1
	;; [unrolled: 2-line block ×4, first 2 shown]
	v_cmp_eq_f32_e32 vcc_lo, 0, v104
	v_cmp_eq_f32_e64 s0, 0, v105
	v_fmac_f32_e32 v4, v106, v8
	v_dual_fmac_f32 v5, v107, v8 :: v_dual_fmac_f32 v6, v106, v9
	v_dual_fmac_f32 v7, v107, v9 :: v_dual_lshlrev_b32 v8, 2, v108
	v_dual_fmac_f32 v0, v106, v10 :: v_dual_fmac_f32 v3, v107, v11
	v_dual_fmac_f32 v1, v107, v10 :: v_dual_fmac_f32 v2, v106, v11
	s_and_b32 s0, vcc_lo, s0
	s_wait_alu 0xfffe
	s_and_saveexec_b32 s1, s0
	s_wait_alu 0xfffe
	s_xor_b32 s0, exec_lo, s1
	s_cbranch_execz .LBB10_38
; %bb.37:
	v_ashrrev_i32_e32 v9, 31, v8
                                        ; implicit-def: $vgpr104_vgpr105
	s_delay_alu instid0(VALU_DEP_1) | instskip(SKIP_1) | instid1(VALU_DEP_1)
	v_lshlrev_b64_e32 v[8:9], 3, v[8:9]
	s_wait_kmcnt 0x0
	v_add_co_u32 v8, vcc_lo, s2, v8
	s_wait_alu 0xfffd
	s_delay_alu instid0(VALU_DEP_2)
	v_add_co_ci_u32_e64 v9, null, s3, v9, vcc_lo
	s_clause 0x1
	global_store_b128 v[8:9], v[4:7], off
	global_store_b128 v[8:9], v[0:3], off offset:16
                                        ; implicit-def: $vgpr4
                                        ; implicit-def: $vgpr8
                                        ; implicit-def: $vgpr0
.LBB10_38:
	s_wait_alu 0xfffe
	s_and_not1_saveexec_b32 s0, s0
	s_cbranch_execz .LBB10_8
; %bb.39:
	v_ashrrev_i32_e32 v9, 31, v8
	s_delay_alu instid0(VALU_DEP_1) | instskip(SKIP_1) | instid1(VALU_DEP_1)
	v_lshlrev_b64_e32 v[8:9], 3, v[8:9]
	s_wait_kmcnt 0x0
	v_add_co_u32 v16, vcc_lo, s2, v8
	s_wait_alu 0xfffd
	s_delay_alu instid0(VALU_DEP_2)
	v_add_co_ci_u32_e64 v17, null, s3, v9, vcc_lo
	s_clause 0x1
	global_load_b128 v[8:11], v[16:17], off
	global_load_b128 v[12:15], v[16:17], off offset:16
	s_wait_loadcnt 0x1
	v_dual_fmac_f32 v4, v104, v8 :: v_dual_fmac_f32 v7, v105, v10
	v_dual_fmac_f32 v5, v105, v8 :: v_dual_fmac_f32 v6, v104, v10
	s_wait_loadcnt 0x0
	v_dual_fmac_f32 v0, v104, v12 :: v_dual_fmac_f32 v3, v105, v14
	v_dual_fmac_f32 v1, v105, v12 :: v_dual_fmac_f32 v2, v104, v14
	v_fma_f32 v4, -v105, v9, v4
	v_fmac_f32_e32 v5, v104, v9
	v_fma_f32 v6, -v105, v11, v6
	v_fmac_f32_e32 v7, v104, v11
	;; [unrolled: 2-line block ×4, first 2 shown]
	s_clause 0x1
	global_store_b128 v[16:17], v[4:7], off
	global_store_b128 v[16:17], v[0:3], off offset:16
	s_nop 0
	s_sendmsg sendmsg(MSG_DEALLOC_VGPRS)
	s_endpgm
	.section	.rodata,"a",@progbits
	.p2align	6, 0x0
	.amdhsa_kernel _ZN9rocsparseL18bsrxmvn_4x4_kernelILj128ELj4E21rocsparse_complex_numIfEiiS2_S2_S2_EEvT3_20rocsparse_direction_NS_24const_host_device_scalarIT1_EES3_PKS3_PKT2_SC_S9_PKT4_PKT5_S7_PT6_21rocsparse_index_base_b
		.amdhsa_group_segment_fixed_size 0
		.amdhsa_private_segment_fixed_size 0
		.amdhsa_kernarg_size 96
		.amdhsa_user_sgpr_count 2
		.amdhsa_user_sgpr_dispatch_ptr 0
		.amdhsa_user_sgpr_queue_ptr 0
		.amdhsa_user_sgpr_kernarg_segment_ptr 1
		.amdhsa_user_sgpr_dispatch_id 0
		.amdhsa_user_sgpr_private_segment_size 0
		.amdhsa_wavefront_size32 1
		.amdhsa_uses_dynamic_stack 0
		.amdhsa_enable_private_segment 0
		.amdhsa_system_sgpr_workgroup_id_x 1
		.amdhsa_system_sgpr_workgroup_id_y 0
		.amdhsa_system_sgpr_workgroup_id_z 0
		.amdhsa_system_sgpr_workgroup_info 0
		.amdhsa_system_vgpr_workitem_id 0
		.amdhsa_next_free_vgpr 152
		.amdhsa_next_free_sgpr 14
		.amdhsa_reserve_vcc 1
		.amdhsa_float_round_mode_32 0
		.amdhsa_float_round_mode_16_64 0
		.amdhsa_float_denorm_mode_32 3
		.amdhsa_float_denorm_mode_16_64 3
		.amdhsa_fp16_overflow 0
		.amdhsa_workgroup_processor_mode 1
		.amdhsa_memory_ordered 1
		.amdhsa_forward_progress 1
		.amdhsa_inst_pref_size 62
		.amdhsa_round_robin_scheduling 0
		.amdhsa_exception_fp_ieee_invalid_op 0
		.amdhsa_exception_fp_denorm_src 0
		.amdhsa_exception_fp_ieee_div_zero 0
		.amdhsa_exception_fp_ieee_overflow 0
		.amdhsa_exception_fp_ieee_underflow 0
		.amdhsa_exception_fp_ieee_inexact 0
		.amdhsa_exception_int_div_zero 0
	.end_amdhsa_kernel
	.section	.text._ZN9rocsparseL18bsrxmvn_4x4_kernelILj128ELj4E21rocsparse_complex_numIfEiiS2_S2_S2_EEvT3_20rocsparse_direction_NS_24const_host_device_scalarIT1_EES3_PKS3_PKT2_SC_S9_PKT4_PKT5_S7_PT6_21rocsparse_index_base_b,"axG",@progbits,_ZN9rocsparseL18bsrxmvn_4x4_kernelILj128ELj4E21rocsparse_complex_numIfEiiS2_S2_S2_EEvT3_20rocsparse_direction_NS_24const_host_device_scalarIT1_EES3_PKS3_PKT2_SC_S9_PKT4_PKT5_S7_PT6_21rocsparse_index_base_b,comdat
.Lfunc_end10:
	.size	_ZN9rocsparseL18bsrxmvn_4x4_kernelILj128ELj4E21rocsparse_complex_numIfEiiS2_S2_S2_EEvT3_20rocsparse_direction_NS_24const_host_device_scalarIT1_EES3_PKS3_PKT2_SC_S9_PKT4_PKT5_S7_PT6_21rocsparse_index_base_b, .Lfunc_end10-_ZN9rocsparseL18bsrxmvn_4x4_kernelILj128ELj4E21rocsparse_complex_numIfEiiS2_S2_S2_EEvT3_20rocsparse_direction_NS_24const_host_device_scalarIT1_EES3_PKS3_PKT2_SC_S9_PKT4_PKT5_S7_PT6_21rocsparse_index_base_b
                                        ; -- End function
	.set _ZN9rocsparseL18bsrxmvn_4x4_kernelILj128ELj4E21rocsparse_complex_numIfEiiS2_S2_S2_EEvT3_20rocsparse_direction_NS_24const_host_device_scalarIT1_EES3_PKS3_PKT2_SC_S9_PKT4_PKT5_S7_PT6_21rocsparse_index_base_b.num_vgpr, 152
	.set _ZN9rocsparseL18bsrxmvn_4x4_kernelILj128ELj4E21rocsparse_complex_numIfEiiS2_S2_S2_EEvT3_20rocsparse_direction_NS_24const_host_device_scalarIT1_EES3_PKS3_PKT2_SC_S9_PKT4_PKT5_S7_PT6_21rocsparse_index_base_b.num_agpr, 0
	.set _ZN9rocsparseL18bsrxmvn_4x4_kernelILj128ELj4E21rocsparse_complex_numIfEiiS2_S2_S2_EEvT3_20rocsparse_direction_NS_24const_host_device_scalarIT1_EES3_PKS3_PKT2_SC_S9_PKT4_PKT5_S7_PT6_21rocsparse_index_base_b.numbered_sgpr, 14
	.set _ZN9rocsparseL18bsrxmvn_4x4_kernelILj128ELj4E21rocsparse_complex_numIfEiiS2_S2_S2_EEvT3_20rocsparse_direction_NS_24const_host_device_scalarIT1_EES3_PKS3_PKT2_SC_S9_PKT4_PKT5_S7_PT6_21rocsparse_index_base_b.num_named_barrier, 0
	.set _ZN9rocsparseL18bsrxmvn_4x4_kernelILj128ELj4E21rocsparse_complex_numIfEiiS2_S2_S2_EEvT3_20rocsparse_direction_NS_24const_host_device_scalarIT1_EES3_PKS3_PKT2_SC_S9_PKT4_PKT5_S7_PT6_21rocsparse_index_base_b.private_seg_size, 0
	.set _ZN9rocsparseL18bsrxmvn_4x4_kernelILj128ELj4E21rocsparse_complex_numIfEiiS2_S2_S2_EEvT3_20rocsparse_direction_NS_24const_host_device_scalarIT1_EES3_PKS3_PKT2_SC_S9_PKT4_PKT5_S7_PT6_21rocsparse_index_base_b.uses_vcc, 1
	.set _ZN9rocsparseL18bsrxmvn_4x4_kernelILj128ELj4E21rocsparse_complex_numIfEiiS2_S2_S2_EEvT3_20rocsparse_direction_NS_24const_host_device_scalarIT1_EES3_PKS3_PKT2_SC_S9_PKT4_PKT5_S7_PT6_21rocsparse_index_base_b.uses_flat_scratch, 0
	.set _ZN9rocsparseL18bsrxmvn_4x4_kernelILj128ELj4E21rocsparse_complex_numIfEiiS2_S2_S2_EEvT3_20rocsparse_direction_NS_24const_host_device_scalarIT1_EES3_PKS3_PKT2_SC_S9_PKT4_PKT5_S7_PT6_21rocsparse_index_base_b.has_dyn_sized_stack, 0
	.set _ZN9rocsparseL18bsrxmvn_4x4_kernelILj128ELj4E21rocsparse_complex_numIfEiiS2_S2_S2_EEvT3_20rocsparse_direction_NS_24const_host_device_scalarIT1_EES3_PKS3_PKT2_SC_S9_PKT4_PKT5_S7_PT6_21rocsparse_index_base_b.has_recursion, 0
	.set _ZN9rocsparseL18bsrxmvn_4x4_kernelILj128ELj4E21rocsparse_complex_numIfEiiS2_S2_S2_EEvT3_20rocsparse_direction_NS_24const_host_device_scalarIT1_EES3_PKS3_PKT2_SC_S9_PKT4_PKT5_S7_PT6_21rocsparse_index_base_b.has_indirect_call, 0
	.section	.AMDGPU.csdata,"",@progbits
; Kernel info:
; codeLenInByte = 7820
; TotalNumSgprs: 16
; NumVgprs: 152
; ScratchSize: 0
; MemoryBound: 0
; FloatMode: 240
; IeeeMode: 1
; LDSByteSize: 0 bytes/workgroup (compile time only)
; SGPRBlocks: 0
; VGPRBlocks: 18
; NumSGPRsForWavesPerEU: 16
; NumVGPRsForWavesPerEU: 152
; Occupancy: 9
; WaveLimiterHint : 1
; COMPUTE_PGM_RSRC2:SCRATCH_EN: 0
; COMPUTE_PGM_RSRC2:USER_SGPR: 2
; COMPUTE_PGM_RSRC2:TRAP_HANDLER: 0
; COMPUTE_PGM_RSRC2:TGID_X_EN: 1
; COMPUTE_PGM_RSRC2:TGID_Y_EN: 0
; COMPUTE_PGM_RSRC2:TGID_Z_EN: 0
; COMPUTE_PGM_RSRC2:TIDIG_COMP_CNT: 0
	.section	.text._ZN9rocsparseL18bsrxmvn_4x4_kernelILj128ELj8E21rocsparse_complex_numIfEiiS2_S2_S2_EEvT3_20rocsparse_direction_NS_24const_host_device_scalarIT1_EES3_PKS3_PKT2_SC_S9_PKT4_PKT5_S7_PT6_21rocsparse_index_base_b,"axG",@progbits,_ZN9rocsparseL18bsrxmvn_4x4_kernelILj128ELj8E21rocsparse_complex_numIfEiiS2_S2_S2_EEvT3_20rocsparse_direction_NS_24const_host_device_scalarIT1_EES3_PKS3_PKT2_SC_S9_PKT4_PKT5_S7_PT6_21rocsparse_index_base_b,comdat
	.globl	_ZN9rocsparseL18bsrxmvn_4x4_kernelILj128ELj8E21rocsparse_complex_numIfEiiS2_S2_S2_EEvT3_20rocsparse_direction_NS_24const_host_device_scalarIT1_EES3_PKS3_PKT2_SC_S9_PKT4_PKT5_S7_PT6_21rocsparse_index_base_b ; -- Begin function _ZN9rocsparseL18bsrxmvn_4x4_kernelILj128ELj8E21rocsparse_complex_numIfEiiS2_S2_S2_EEvT3_20rocsparse_direction_NS_24const_host_device_scalarIT1_EES3_PKS3_PKT2_SC_S9_PKT4_PKT5_S7_PT6_21rocsparse_index_base_b
	.p2align	8
	.type	_ZN9rocsparseL18bsrxmvn_4x4_kernelILj128ELj8E21rocsparse_complex_numIfEiiS2_S2_S2_EEvT3_20rocsparse_direction_NS_24const_host_device_scalarIT1_EES3_PKS3_PKT2_SC_S9_PKT4_PKT5_S7_PT6_21rocsparse_index_base_b,@function
_ZN9rocsparseL18bsrxmvn_4x4_kernelILj128ELj8E21rocsparse_complex_numIfEiiS2_S2_S2_EEvT3_20rocsparse_direction_NS_24const_host_device_scalarIT1_EES3_PKS3_PKT2_SC_S9_PKT4_PKT5_S7_PT6_21rocsparse_index_base_b: ; @_ZN9rocsparseL18bsrxmvn_4x4_kernelILj128ELj8E21rocsparse_complex_numIfEiiS2_S2_S2_EEvT3_20rocsparse_direction_NS_24const_host_device_scalarIT1_EES3_PKS3_PKT2_SC_S9_PKT4_PKT5_S7_PT6_21rocsparse_index_base_b
; %bb.0:
	s_clause 0x2
	s_load_b64 s[12:13], s[0:1], 0x58
	s_load_b64 s[2:3], s[0:1], 0x8
	s_load_b64 s[4:5], s[0:1], 0x48
	s_add_nc_u64 s[6:7], s[0:1], 8
	s_wait_kmcnt 0x0
	s_bitcmp1_b32 s13, 0
	s_cselect_b32 s2, s6, s2
	s_cselect_b32 s3, s7, s3
	s_delay_alu instid0(SALU_CYCLE_1)
	v_dual_mov_b32 v1, s2 :: v_dual_mov_b32 v2, s3
	s_add_nc_u64 s[2:3], s[0:1], 0x48
	s_wait_alu 0xfffe
	s_cselect_b32 s2, s2, s4
	s_cselect_b32 s3, s3, s5
	flat_load_b64 v[106:107], v[1:2]
	s_wait_alu 0xfffe
	v_dual_mov_b32 v1, s2 :: v_dual_mov_b32 v2, s3
	flat_load_b64 v[104:105], v[1:2]
	s_wait_loadcnt_dscnt 0x101
	v_cmp_eq_f32_e32 vcc_lo, 0, v106
	v_cmp_eq_f32_e64 s2, 0, v107
	s_and_b32 s4, vcc_lo, s2
	s_mov_b32 s2, -1
	s_and_saveexec_b32 s3, s4
	s_cbranch_execz .LBB11_2
; %bb.1:
	s_wait_loadcnt_dscnt 0x0
	v_cmp_neq_f32_e32 vcc_lo, 1.0, v104
	v_cmp_neq_f32_e64 s2, 0, v105
	s_wait_alu 0xfffe
	s_or_b32 s2, vcc_lo, s2
	s_wait_alu 0xfffe
	s_or_not1_b32 s2, s2, exec_lo
.LBB11_2:
	s_wait_alu 0xfffe
	s_or_b32 exec_lo, exec_lo, s3
	s_and_saveexec_b32 s3, s2
	s_cbranch_execz .LBB11_8
; %bb.3:
	s_clause 0x1
	s_load_b64 s[4:5], s[0:1], 0x18
	s_load_b64 s[2:3], s[0:1], 0x0
	v_lshrrev_b32_e32 v1, 3, v0
	s_delay_alu instid0(VALU_DEP_1)
	v_lshl_or_b32 v108, ttmp9, 4, v1
	s_wait_kmcnt 0x0
	s_cmp_lg_u64 s[4:5], 0
	s_cbranch_scc0 .LBB11_9
; %bb.4:
	s_load_b32 s6, s[0:1], 0x10
	s_mov_b32 s7, 0
                                        ; implicit-def: $vgpr1
	s_wait_kmcnt 0x0
	v_cmp_gt_i32_e32 vcc_lo, s6, v108
	s_mov_b32 s6, 0
	s_and_saveexec_b32 s8, vcc_lo
	s_delay_alu instid0(SALU_CYCLE_1)
	s_xor_b32 s8, exec_lo, s8
	s_cbranch_execz .LBB11_6
; %bb.5:
	v_ashrrev_i32_e32 v109, 31, v108
	s_mov_b32 s6, exec_lo
	s_delay_alu instid0(VALU_DEP_1) | instskip(NEXT) | instid1(VALU_DEP_1)
	v_lshlrev_b64_e32 v[1:2], 2, v[108:109]
	v_add_co_u32 v1, vcc_lo, s4, v1
	s_delay_alu instid0(VALU_DEP_1)
	v_add_co_ci_u32_e64 v2, null, s5, v2, vcc_lo
	global_load_b32 v1, v[1:2], off
	s_wait_loadcnt 0x0
	v_subrev_nc_u32_e32 v1, s12, v1
.LBB11_6:
	s_or_b32 exec_lo, exec_lo, s8
	s_delay_alu instid0(SALU_CYCLE_1)
	s_and_b32 vcc_lo, exec_lo, s7
	s_wait_alu 0xfffe
	s_cbranch_vccz .LBB11_10
.LBB11_7:
	v_cmp_gt_i32_e32 vcc_lo, s2, v108
	s_and_not1_b32 s2, s6, exec_lo
	s_and_b32 s4, vcc_lo, exec_lo
	s_wait_alu 0xfffe
	s_or_b32 s6, s2, s4
	s_wait_alu 0xfffe
	s_and_b32 exec_lo, exec_lo, s6
	s_cbranch_execnz .LBB11_11
.LBB11_8:
	s_nop 0
	s_sendmsg sendmsg(MSG_DEALLOC_VGPRS)
	s_endpgm
.LBB11_9:
	s_mov_b32 s6, 0
                                        ; implicit-def: $vgpr1
	s_cbranch_execnz .LBB11_7
.LBB11_10:
	v_mov_b32_e32 v108, v1
	s_and_b32 exec_lo, exec_lo, s6
	s_cbranch_execz .LBB11_8
.LBB11_11:
	s_load_b256 s[4:11], s[0:1], 0x20
	s_delay_alu instid0(VALU_DEP_1) | instskip(SKIP_1) | instid1(VALU_DEP_2)
	v_ashrrev_i32_e32 v109, 31, v108
	v_and_b32_e32 v117, 7, v0
	v_lshlrev_b64_e32 v[1:2], 2, v[108:109]
	s_wait_kmcnt 0x0
	s_delay_alu instid0(VALU_DEP_1) | instskip(SKIP_1) | instid1(VALU_DEP_2)
	v_add_co_u32 v3, vcc_lo, s4, v1
	s_wait_alu 0xfffd
	v_add_co_ci_u32_e64 v4, null, s5, v2, vcc_lo
	v_add_co_u32 v1, vcc_lo, s6, v1
	s_wait_alu 0xfffd
	v_add_co_ci_u32_e64 v2, null, s7, v2, vcc_lo
	global_load_b32 v127, v[3:4], off
	v_add_co_u32 v3, vcc_lo, v3, 4
	s_wait_alu 0xfffd
	v_add_co_ci_u32_e64 v4, null, 0, v4, vcc_lo
	s_cmp_eq_u64 s[6:7], 0
	s_load_b64 s[4:5], s[0:1], 0x40
	s_cselect_b32 vcc_lo, -1, 0
	s_cmp_eq_u32 s3, 1
	s_wait_alu 0xfffe
	v_dual_cndmask_b32 v2, v2, v4 :: v_dual_cndmask_b32 v1, v1, v3
	global_load_b32 v2, v[1:2], off
	s_wait_loadcnt 0x1
	v_subrev_nc_u32_e32 v0, s12, v127
	s_delay_alu instid0(VALU_DEP_1) | instskip(NEXT) | instid1(VALU_DEP_1)
	v_add_nc_u32_e32 v109, v0, v117
	v_ashrrev_i32_e32 v110, 31, v109
	s_wait_loadcnt 0x0
	v_subrev_nc_u32_e32 v122, s12, v2
	s_delay_alu instid0(VALU_DEP_2) | instskip(NEXT) | instid1(VALU_DEP_2)
	v_lshlrev_b64_e32 v[0:1], 7, v[109:110]
	v_cmp_lt_i32_e64 s2, v109, v122
	s_delay_alu instid0(VALU_DEP_2) | instskip(SKIP_1) | instid1(VALU_DEP_3)
	v_add_co_u32 v111, vcc_lo, s10, v0
	s_wait_alu 0xfffd
	v_add_co_ci_u32_e64 v112, null, s11, v1, vcc_lo
	s_cbranch_scc1 .LBB11_23
; %bb.12:
	v_dual_mov_b32 v118, 0 :: v_dual_mov_b32 v125, 0
	v_dual_mov_b32 v123, 0 :: v_dual_mov_b32 v120, 0
	;; [unrolled: 1-line block ×4, first 2 shown]
	s_and_saveexec_b32 s3, s2
	s_cbranch_execz .LBB11_22
; %bb.13:
	v_dual_mov_b32 v119, 0 :: v_dual_add_nc_u32 v0, v127, v117
	v_not_b32_e32 v1, v127
	v_dual_mov_b32 v114, v112 :: v_dual_mov_b32 v115, v109
	s_delay_alu instid0(VALU_DEP_3) | instskip(SKIP_2) | instid1(VALU_DEP_3)
	v_subrev_nc_u32_e32 v0, s12, v0
	v_dual_mov_b32 v124, 0 :: v_dual_mov_b32 v123, 0
	v_dual_mov_b32 v120, 0 :: v_dual_mov_b32 v125, 0
	v_dual_mov_b32 v121, 0 :: v_dual_add_nc_u32 v0, 8, v0
	v_dual_mov_b32 v118, 0 :: v_dual_mov_b32 v113, v111
	s_mov_b32 s6, exec_lo
	s_delay_alu instid0(VALU_DEP_2) | instskip(NEXT) | instid1(VALU_DEP_1)
	v_max_i32_e32 v0, v0, v122
	v_add3_u32 v0, s12, v0, v1
	s_delay_alu instid0(VALU_DEP_1) | instskip(NEXT) | instid1(VALU_DEP_1)
	v_sub_nc_u32_e32 v0, v0, v117
	v_dual_mov_b32 v126, 0 :: v_dual_and_b32 v1, 24, v0
	s_delay_alu instid0(VALU_DEP_1)
	v_cmpx_ne_u32_e32 24, v1
	s_cbranch_execz .LBB11_17
; %bb.14:
	v_lshrrev_b32_e32 v1, 3, v0
	v_dual_mov_b32 v118, 0 :: v_dual_mov_b32 v115, v109
	v_dual_mov_b32 v114, v112 :: v_dual_mov_b32 v113, v111
	s_delay_alu instid0(VALU_DEP_3) | instskip(SKIP_2) | instid1(VALU_DEP_3)
	v_dual_mov_b32 v120, 0 :: v_dual_add_nc_u32 v1, 1, v1
	v_dual_mov_b32 v125, 0 :: v_dual_mov_b32 v124, 0
	v_dual_mov_b32 v123, 0 :: v_dual_mov_b32 v126, 0
	v_and_b32_e32 v1, 3, v1
	v_mov_b32_e32 v121, 0
	v_mov_b32_e32 v119, 0
	s_mov_b32 s7, 0
	s_delay_alu instid0(VALU_DEP_3)
	v_sub_nc_u32_e32 v1, 0, v1
.LBB11_15:                              ; =>This Inner Loop Header: Depth=1
	v_ashrrev_i32_e32 v116, 31, v115
	s_delay_alu instid0(VALU_DEP_2) | instskip(SKIP_2) | instid1(VALU_DEP_2)
	v_add_co_u32 v1, s10, v1, 1
	s_wait_alu 0xfffe
	s_or_b32 s7, s10, s7
	v_lshlrev_b64_e32 v[2:3], 2, v[115:116]
	s_delay_alu instid0(VALU_DEP_1) | instskip(SKIP_1) | instid1(VALU_DEP_2)
	v_add_co_u32 v2, vcc_lo, s8, v2
	s_wait_alu 0xfffd
	v_add_co_ci_u32_e64 v3, null, s9, v3, vcc_lo
	global_load_b32 v34, v[2:3], off
	s_clause 0x7
	global_load_b128 v[2:5], v[113:114], off offset:48
	global_load_b128 v[6:9], v[113:114], off offset:32
	;; [unrolled: 1-line block ×3, first 2 shown]
	global_load_b128 v[14:17], v[113:114], off
	global_load_b128 v[18:21], v[113:114], off offset:112
	global_load_b128 v[22:25], v[113:114], off offset:96
	;; [unrolled: 1-line block ×4, first 2 shown]
	s_wait_loadcnt 0x8
	v_subrev_nc_u32_e32 v34, s12, v34
	s_delay_alu instid0(VALU_DEP_1) | instskip(NEXT) | instid1(VALU_DEP_1)
	v_lshlrev_b32_e32 v34, 2, v34
	v_ashrrev_i32_e32 v35, 31, v34
	s_delay_alu instid0(VALU_DEP_1) | instskip(SKIP_1) | instid1(VALU_DEP_1)
	v_lshlrev_b64_e32 v[34:35], 3, v[34:35]
	s_wait_kmcnt 0x0
	v_add_co_u32 v38, vcc_lo, s4, v34
	s_wait_alu 0xfffd
	s_delay_alu instid0(VALU_DEP_2)
	v_add_co_ci_u32_e64 v39, null, s5, v35, vcc_lo
	v_add_co_u32 v113, vcc_lo, 0x400, v113
	s_wait_alu 0xfffd
	v_add_co_ci_u32_e64 v114, null, 0, v114, vcc_lo
	s_clause 0x1
	global_load_b128 v[34:37], v[38:39], off
	global_load_b128 v[38:41], v[38:39], off offset:16
	s_wait_loadcnt 0x1
	v_dual_fmac_f32 v118, v15, v34 :: v_dual_add_nc_u32 v115, 8, v115
	v_fmac_f32_e32 v119, v7, v34
	v_fmac_f32_e32 v120, v23, v34
	s_delay_alu instid0(VALU_DEP_3) | instskip(SKIP_1) | instid1(VALU_DEP_4)
	v_dual_fmac_f32 v121, v31, v34 :: v_dual_fmac_f32 v118, v14, v35
	v_fmac_f32_e32 v125, v14, v34
	v_fmac_f32_e32 v119, v6, v35
	s_delay_alu instid0(VALU_DEP_4) | instskip(NEXT) | instid1(VALU_DEP_4)
	v_fmac_f32_e32 v120, v22, v35
	v_dual_fmac_f32 v121, v30, v35 :: v_dual_fmac_f32 v118, v17, v36
	s_delay_alu instid0(VALU_DEP_4) | instskip(NEXT) | instid1(VALU_DEP_4)
	v_fma_f32 v15, -v15, v35, v125
	v_dual_fmac_f32 v126, v6, v34 :: v_dual_fmac_f32 v119, v9, v36
	s_delay_alu instid0(VALU_DEP_3) | instskip(NEXT) | instid1(VALU_DEP_3)
	v_fmac_f32_e32 v118, v16, v37
	v_fmac_f32_e32 v15, v16, v36
	s_delay_alu instid0(VALU_DEP_3) | instskip(SKIP_3) | instid1(VALU_DEP_4)
	v_fma_f32 v7, -v7, v35, v126
	v_fmac_f32_e32 v124, v30, v34
	v_dual_fmac_f32 v120, v25, v36 :: v_dual_fmac_f32 v119, v8, v37
	v_fmac_f32_e32 v121, v33, v36
	v_fmac_f32_e32 v7, v8, v36
	s_delay_alu instid0(VALU_DEP_4)
	v_fma_f32 v6, -v31, v35, v124
	v_fmac_f32_e32 v123, v22, v34
	v_fma_f32 v15, -v17, v37, v15
	v_fmac_f32_e32 v120, v24, v37
	;; [unrolled: 2-line block ×3, first 2 shown]
	v_fma_f32 v14, -v23, v35, v123
	s_wait_loadcnt 0x0
	v_dual_fmac_f32 v121, v32, v37 :: v_dual_fmac_f32 v118, v11, v38
	v_fmac_f32_e32 v15, v10, v38
	v_fma_f32 v6, -v33, v37, v6
	v_dual_fmac_f32 v14, v24, v36 :: v_dual_fmac_f32 v119, v3, v38
	s_delay_alu instid0(VALU_DEP_4) | instskip(SKIP_2) | instid1(VALU_DEP_4)
	v_fmac_f32_e32 v118, v10, v39
	v_fmac_f32_e32 v7, v2, v38
	;; [unrolled: 1-line block ×3, first 2 shown]
	v_fma_f32 v8, -v25, v37, v14
	v_fma_f32 v9, -v11, v39, v15
	v_fmac_f32_e32 v6, v26, v38
	v_fmac_f32_e32 v119, v2, v39
	v_dual_fmac_f32 v121, v27, v38 :: v_dual_fmac_f32 v120, v18, v39
	v_fmac_f32_e32 v118, v13, v40
	v_fma_f32 v3, -v3, v39, v7
	v_dual_fmac_f32 v8, v18, v38 :: v_dual_fmac_f32 v9, v12, v40
	v_fma_f32 v2, -v27, v39, v6
	v_fmac_f32_e32 v121, v26, v39
	s_delay_alu instid0(VALU_DEP_4) | instskip(NEXT) | instid1(VALU_DEP_4)
	v_fmac_f32_e32 v3, v4, v40
	v_fma_f32 v6, -v19, v39, v8
	v_dual_fmac_f32 v119, v5, v40 :: v_dual_fmac_f32 v118, v12, v41
	v_fmac_f32_e32 v2, v28, v40
	v_fmac_f32_e32 v120, v21, v40
	s_delay_alu instid0(VALU_DEP_4) | instskip(NEXT) | instid1(VALU_DEP_4)
	v_fmac_f32_e32 v6, v20, v40
	v_fmac_f32_e32 v119, v4, v41
	;; [unrolled: 1-line block ×3, first 2 shown]
	v_fma_f32 v125, -v13, v41, v9
	v_fma_f32 v126, -v5, v41, v3
	;; [unrolled: 1-line block ×4, first 2 shown]
	v_fmac_f32_e32 v120, v20, v41
	v_fmac_f32_e32 v121, v28, v41
	s_wait_alu 0xfffe
	s_and_not1_b32 exec_lo, exec_lo, s7
	s_cbranch_execnz .LBB11_15
; %bb.16:
	s_or_b32 exec_lo, exec_lo, s7
.LBB11_17:
	s_wait_alu 0xfffe
	s_or_b32 exec_lo, exec_lo, s6
	s_delay_alu instid0(SALU_CYCLE_1)
	s_mov_b32 s6, exec_lo
	v_cmpx_lt_u32_e32 23, v0
	s_cbranch_execz .LBB11_21
; %bb.18:
	s_mov_b32 s7, 0
.LBB11_19:                              ; =>This Inner Loop Header: Depth=1
	v_ashrrev_i32_e32 v116, 31, v115
	s_clause 0x1c
	global_load_b128 v[0:3], v[113:114], off offset:48
	global_load_b128 v[72:75], v[113:114], off offset:32
	;; [unrolled: 1-line block ×3, first 2 shown]
	global_load_b128 v[80:83], v[113:114], off
	global_load_b128 v[12:15], v[113:114], off offset:112
	global_load_b128 v[32:35], v[113:114], off offset:96
	;; [unrolled: 1-line block ×25, first 2 shown]
	v_lshlrev_b64_e32 v[140:141], 2, v[115:116]
	s_delay_alu instid0(VALU_DEP_1) | instskip(SKIP_1) | instid1(VALU_DEP_2)
	v_add_co_u32 v140, vcc_lo, s8, v140
	s_wait_alu 0xfffd
	v_add_co_ci_u32_e64 v141, null, s9, v141, vcc_lo
	s_clause 0x3
	global_load_b32 v110, v[140:141], off
	global_load_b32 v116, v[140:141], off offset:32
	global_load_b32 v148, v[140:141], off offset:64
	;; [unrolled: 1-line block ×3, first 2 shown]
	s_wait_loadcnt 0x3
	v_subrev_nc_u32_e32 v110, s12, v110
	s_wait_loadcnt 0x2
	v_subrev_nc_u32_e32 v116, s12, v116
	s_delay_alu instid0(VALU_DEP_2) | instskip(NEXT) | instid1(VALU_DEP_1)
	v_lshlrev_b32_e32 v140, 2, v110
	v_ashrrev_i32_e32 v141, 31, v140
	s_delay_alu instid0(VALU_DEP_1) | instskip(SKIP_1) | instid1(VALU_DEP_1)
	v_lshlrev_b64_e32 v[140:141], 3, v[140:141]
	s_wait_kmcnt 0x0
	v_add_co_u32 v144, vcc_lo, s4, v140
	s_wait_alu 0xfffd
	s_delay_alu instid0(VALU_DEP_2)
	v_add_co_ci_u32_e64 v145, null, s5, v141, vcc_lo
	s_clause 0x1
	global_load_b128 v[140:143], v[144:145], off
	global_load_b128 v[144:147], v[144:145], off offset:16
	s_wait_loadcnt 0x1
	v_fmac_f32_e32 v118, v81, v140
	v_fmac_f32_e32 v120, v33, v140
	;; [unrolled: 1-line block ×7, first 2 shown]
	v_fma_f32 v73, -v73, v141, v126
	s_delay_alu instid0(VALU_DEP_3) | instskip(NEXT) | instid1(VALU_DEP_3)
	v_dual_fmac_f32 v119, v72, v141 :: v_dual_fmac_f32 v118, v83, v142
	v_fma_f32 v81, -v81, v141, v125
	v_subrev_nc_u32_e32 v125, s12, v149
	s_delay_alu instid0(VALU_DEP_3) | instskip(SKIP_3) | instid1(VALU_DEP_4)
	v_fmac_f32_e32 v119, v75, v142
	v_fmac_f32_e32 v73, v74, v142
	;; [unrolled: 1-line block ×5, first 2 shown]
	s_delay_alu instid0(VALU_DEP_4)
	v_fma_f32 v150, -v75, v143, v73
	s_wait_loadcnt 0x0
	v_fmac_f32_e32 v118, v5, v144
	v_fma_f32 v110, -v83, v143, v81
	s_clause 0x1
	global_load_b128 v[80:83], v[113:114], off offset:3168
	global_load_b128 v[72:75], v[113:114], off offset:3136
	v_fmac_f32_e32 v150, v0, v144
	v_dual_fmac_f32 v118, v4, v145 :: v_dual_fmac_f32 v119, v1, v144
	v_fmac_f32_e32 v123, v32, v140
	v_fmac_f32_e32 v110, v4, v144
	s_delay_alu instid0(VALU_DEP_4) | instskip(NEXT) | instid1(VALU_DEP_4)
	v_fma_f32 v1, -v1, v145, v150
	v_dual_fmac_f32 v118, v7, v146 :: v_dual_fmac_f32 v119, v0, v145
	s_delay_alu instid0(VALU_DEP_4) | instskip(SKIP_2) | instid1(VALU_DEP_4)
	v_fma_f32 v33, -v33, v141, v123
	v_lshlrev_b32_e32 v123, 2, v125
	v_fma_f32 v5, -v5, v145, v110
	v_fmac_f32_e32 v118, v6, v147
	v_fmac_f32_e32 v1, v2, v146
	;; [unrolled: 1-line block ×3, first 2 shown]
	v_dual_fmac_f32 v121, v89, v140 :: v_dual_fmac_f32 v120, v32, v141
	v_fma_f32 v89, -v89, v141, v124
	v_subrev_nc_u32_e32 v124, s12, v148
	s_delay_alu instid0(VALU_DEP_3) | instskip(NEXT) | instid1(VALU_DEP_4)
	v_dual_fmac_f32 v121, v88, v141 :: v_dual_lshlrev_b32 v32, 2, v116
	v_fmac_f32_e32 v120, v35, v142
	s_delay_alu instid0(VALU_DEP_4) | instskip(SKIP_1) | instid1(VALU_DEP_4)
	v_fmac_f32_e32 v89, v90, v142
	v_fma_f32 v148, -v35, v143, v33
	v_ashrrev_i32_e32 v33, 31, v32
	s_delay_alu instid0(VALU_DEP_4) | instskip(SKIP_1) | instid1(VALU_DEP_3)
	v_dual_fmac_f32 v121, v91, v142 :: v_dual_fmac_f32 v120, v34, v143
	v_dual_fmac_f32 v5, v6, v146 :: v_dual_lshlrev_b32 v34, 2, v124
	v_lshlrev_b64_e32 v[32:33], 3, v[32:33]
	s_delay_alu instid0(VALU_DEP_3) | instskip(SKIP_1) | instid1(VALU_DEP_4)
	v_fmac_f32_e32 v121, v90, v143
	v_ashrrev_i32_e32 v124, 31, v123
	v_ashrrev_i32_e32 v35, 31, v34
	v_fma_f32 v110, -v7, v147, v5
	v_dual_fmac_f32 v119, v3, v146 :: v_dual_fmac_f32 v148, v12, v144
	v_add_co_u32 v125, vcc_lo, s4, v32
	s_delay_alu instid0(VALU_DEP_4)
	v_lshlrev_b64_e32 v[34:35], 3, v[34:35]
	s_wait_alu 0xfffd
	v_add_co_ci_u32_e64 v126, null, s5, v33, vcc_lo
	v_lshlrev_b64_e32 v[123:124], 3, v[123:124]
	v_fma_f32 v151, -v91, v143, v89
	global_load_b128 v[88:91], v[113:114], off offset:3152
	v_add_co_u32 v140, vcc_lo, s4, v34
	s_wait_alu 0xfffd
	v_add_co_ci_u32_e64 v141, null, s5, v35, vcc_lo
	s_clause 0x1
	global_load_b128 v[32:35], v[125:126], off
	global_load_b128 v[4:7], v[125:126], off offset:16
	v_add_co_u32 v142, vcc_lo, s4, v123
	s_wait_alu 0xfffd
	v_add_co_ci_u32_e64 v143, null, s5, v124, vcc_lo
	v_fma_f32 v116, -v3, v147, v1
	v_dual_fmac_f32 v119, v2, v147 :: v_dual_fmac_f32 v120, v13, v144
	s_clause 0x1
	global_load_b128 v[0:3], v[140:141], off
	global_load_b128 v[123:126], v[140:141], off offset:16
	v_fmac_f32_e32 v121, v21, v144
	v_fma_f32 v13, -v13, v145, v148
	v_add_co_u32 v113, vcc_lo, 0x1000, v113
	v_fmac_f32_e32 v120, v12, v145
	v_fmac_f32_e32 v151, v20, v144
	s_wait_alu 0xfffd
	v_add_co_ci_u32_e64 v114, null, 0, v114, vcc_lo
	s_delay_alu instid0(VALU_DEP_3) | instskip(NEXT) | instid1(VALU_DEP_3)
	v_fmac_f32_e32 v120, v15, v146
	v_fma_f32 v21, -v21, v145, v151
	s_delay_alu instid0(VALU_DEP_2) | instskip(NEXT) | instid1(VALU_DEP_2)
	v_dual_fmac_f32 v121, v20, v145 :: v_dual_fmac_f32 v120, v14, v147
	v_fmac_f32_e32 v21, v22, v146
	s_delay_alu instid0(VALU_DEP_2) | instskip(SKIP_1) | instid1(VALU_DEP_3)
	v_fmac_f32_e32 v121, v23, v146
	s_wait_loadcnt 0x3
	v_dual_fmac_f32 v120, v53, v32 :: v_dual_add_nc_u32 v115, 32, v115
	v_fmac_f32_e32 v110, v28, v32
	v_fma_f32 v140, -v23, v147, v21
	v_dual_fmac_f32 v118, v29, v32 :: v_dual_fmac_f32 v121, v22, v147
	v_fmac_f32_e32 v116, v24, v32
	global_load_b128 v[20:23], v[142:143], off
	v_dual_fmac_f32 v13, v14, v146 :: v_dual_fmac_f32 v140, v60, v32
	v_dual_fmac_f32 v119, v25, v32 :: v_dual_fmac_f32 v118, v28, v33
	;; [unrolled: 1-line block ×3, first 2 shown]
	s_delay_alu instid0(VALU_DEP_3)
	v_fma_f32 v141, -v15, v147, v13
	global_load_b128 v[12:15], v[142:143], off offset:16
	v_fma_f32 v29, -v29, v33, v110
	v_fmac_f32_e32 v119, v24, v33
	v_fma_f32 v24, -v61, v33, v140
	v_dual_fmac_f32 v141, v52, v32 :: v_dual_fmac_f32 v118, v31, v34
	v_fma_f32 v25, -v25, v33, v116
	v_cmp_ge_i32_e32 vcc_lo, v115, v122
	s_delay_alu instid0(VALU_DEP_4) | instskip(NEXT) | instid1(VALU_DEP_4)
	v_fmac_f32_e32 v24, v62, v34
	v_fma_f32 v28, -v53, v33, v141
	v_fmac_f32_e32 v121, v60, v33
	v_dual_fmac_f32 v119, v27, v34 :: v_dual_fmac_f32 v118, v30, v35
	v_fmac_f32_e32 v29, v30, v34
	s_delay_alu instid0(VALU_DEP_4) | instskip(NEXT) | instid1(VALU_DEP_3)
	v_fmac_f32_e32 v28, v54, v34
	v_dual_fmac_f32 v120, v55, v34 :: v_dual_fmac_f32 v119, v26, v35
	v_fmac_f32_e32 v121, v63, v34
	v_fma_f32 v24, -v63, v35, v24
	s_wait_loadcnt 0x4
	v_dual_fmac_f32 v25, v26, v34 :: v_dual_fmac_f32 v118, v17, v4
	v_fma_f32 v29, -v31, v35, v29
	v_fma_f32 v26, -v55, v35, v28
	v_fmac_f32_e32 v120, v54, v35
	v_fmac_f32_e32 v121, v62, v35
	v_dual_fmac_f32 v119, v9, v4 :: v_dual_fmac_f32 v118, v16, v5
	v_fmac_f32_e32 v29, v16, v4
	v_fmac_f32_e32 v24, v44, v4
	v_fma_f32 v25, -v27, v35, v25
	v_fmac_f32_e32 v26, v36, v4
	v_dual_fmac_f32 v120, v37, v4 :: v_dual_fmac_f32 v119, v8, v5
	v_fmac_f32_e32 v121, v45, v4
	s_delay_alu instid0(VALU_DEP_4) | instskip(SKIP_3) | instid1(VALU_DEP_4)
	v_dual_fmac_f32 v25, v8, v4 :: v_dual_fmac_f32 v118, v19, v6
	v_fma_f32 v4, -v17, v5, v29
	v_fma_f32 v8, -v45, v5, v24
	v_fmac_f32_e32 v120, v36, v5
	v_fma_f32 v9, -v9, v5, v25
	s_delay_alu instid0(VALU_DEP_4) | instskip(SKIP_3) | instid1(VALU_DEP_3)
	v_dual_fmac_f32 v121, v44, v5 :: v_dual_fmac_f32 v4, v18, v6
	v_dual_fmac_f32 v119, v11, v6 :: v_dual_fmac_f32 v118, v18, v7
	v_fma_f32 v16, -v37, v5, v26
	v_fmac_f32_e32 v8, v46, v6
	v_dual_fmac_f32 v120, v39, v6 :: v_dual_fmac_f32 v119, v10, v7
	v_fmac_f32_e32 v121, v47, v6
	v_fma_f32 v4, -v19, v7, v4
	v_fmac_f32_e32 v9, v10, v6
	s_delay_alu instid0(VALU_DEP_4)
	v_fmac_f32_e32 v120, v38, v7
	s_wait_loadcnt 0x3
	v_dual_fmac_f32 v118, v65, v0 :: v_dual_fmac_f32 v121, v46, v7
	v_fmac_f32_e32 v4, v64, v0
	v_fma_f32 v5, -v11, v7, v9
	v_fmac_f32_e32 v16, v38, v6
	v_fma_f32 v6, -v47, v7, v8
	v_dual_fmac_f32 v119, v57, v0 :: v_dual_fmac_f32 v118, v64, v1
	s_delay_alu instid0(VALU_DEP_4) | instskip(NEXT) | instid1(VALU_DEP_4)
	v_fmac_f32_e32 v5, v56, v0
	v_fma_f32 v8, -v39, v7, v16
	s_delay_alu instid0(VALU_DEP_3) | instskip(SKIP_2) | instid1(VALU_DEP_4)
	v_dual_fmac_f32 v120, v77, v0 :: v_dual_fmac_f32 v119, v56, v1
	v_fmac_f32_e32 v6, v128, v0
	v_fmac_f32_e32 v121, v129, v0
	;; [unrolled: 1-line block ×3, first 2 shown]
	v_fma_f32 v0, -v65, v1, v4
	v_fma_f32 v4, -v57, v1, v5
	v_fmac_f32_e32 v120, v76, v1
	v_fmac_f32_e32 v121, v128, v1
	;; [unrolled: 1-line block ×3, first 2 shown]
	v_fma_f32 v5, -v129, v1, v6
	v_fmac_f32_e32 v0, v66, v2
	v_fmac_f32_e32 v118, v67, v2
	;; [unrolled: 1-line block ×5, first 2 shown]
	v_fma_f32 v6, -v77, v1, v8
	v_dual_fmac_f32 v121, v131, v2 :: v_dual_fmac_f32 v118, v66, v3
	v_fmac_f32_e32 v120, v79, v2
	v_fma_f32 v1, -v59, v3, v4
	s_wait_loadcnt 0x2
	v_dual_fmac_f32 v6, v78, v2 :: v_dual_fmac_f32 v119, v41, v123
	v_fmac_f32_e32 v121, v130, v3
	v_fma_f32 v0, -v67, v3, v0
	v_fma_f32 v2, -v131, v3, v5
	s_delay_alu instid0(VALU_DEP_4) | instskip(SKIP_4) | instid1(VALU_DEP_4)
	v_fma_f32 v4, -v79, v3, v6
	v_dual_fmac_f32 v120, v78, v3 :: v_dual_fmac_f32 v119, v40, v124
	v_fmac_f32_e32 v121, v97, v123
	v_fmac_f32_e32 v118, v49, v123
	;; [unrolled: 1-line block ×3, first 2 shown]
	v_dual_fmac_f32 v2, v96, v123 :: v_dual_fmac_f32 v119, v43, v125
	s_delay_alu instid0(VALU_DEP_4) | instskip(SKIP_1) | instid1(VALU_DEP_4)
	v_fmac_f32_e32 v121, v96, v124
	v_fmac_f32_e32 v4, v68, v123
	v_fma_f32 v1, -v41, v124, v1
	v_fmac_f32_e32 v0, v48, v123
	s_delay_alu instid0(VALU_DEP_4) | instskip(NEXT) | instid1(VALU_DEP_4)
	v_dual_fmac_f32 v118, v48, v124 :: v_dual_fmac_f32 v121, v99, v125
	v_fma_f32 v3, -v69, v124, v4
	v_fmac_f32_e32 v120, v69, v123
	v_fma_f32 v2, -v97, v124, v2
	v_fmac_f32_e32 v1, v42, v125
	v_fma_f32 v0, -v49, v124, v0
	s_delay_alu instid0(VALU_DEP_4) | instskip(SKIP_3) | instid1(VALU_DEP_4)
	v_dual_fmac_f32 v3, v70, v125 :: v_dual_fmac_f32 v120, v68, v124
	v_dual_fmac_f32 v119, v42, v126 :: v_dual_fmac_f32 v118, v51, v125
	v_fmac_f32_e32 v121, v98, v126
	v_fmac_f32_e32 v2, v98, v125
	;; [unrolled: 1-line block ×3, first 2 shown]
	v_fma_f32 v1, -v43, v126, v1
	v_fmac_f32_e32 v0, v50, v125
	v_fma_f32 v3, -v71, v126, v3
	v_fmac_f32_e32 v118, v50, v126
	s_wait_alu 0xfffe
	s_or_b32 s7, vcc_lo, s7
	s_wait_loadcnt 0x1
	v_fmac_f32_e32 v1, v100, v20
	v_fma_f32 v0, -v51, v126, v0
	v_fmac_f32_e32 v119, v101, v20
	v_fma_f32 v2, -v99, v126, v2
	v_dual_fmac_f32 v121, v73, v20 :: v_dual_fmac_f32 v120, v70, v126
	v_fmac_f32_e32 v3, v80, v20
	v_fmac_f32_e32 v118, v133, v20
	v_fma_f32 v1, -v101, v21, v1
	v_fmac_f32_e32 v0, v132, v20
	v_fmac_f32_e32 v119, v100, v21
	;; [unrolled: 1-line block ×3, first 2 shown]
	v_dual_fmac_f32 v121, v72, v21 :: v_dual_fmac_f32 v120, v81, v20
	v_fma_f32 v3, -v81, v21, v3
	v_dual_fmac_f32 v118, v132, v21 :: v_dual_fmac_f32 v1, v102, v22
	v_fma_f32 v0, -v133, v21, v0
	v_fmac_f32_e32 v119, v103, v22
	v_fma_f32 v2, -v73, v21, v2
	v_dual_fmac_f32 v121, v75, v22 :: v_dual_fmac_f32 v120, v80, v21
	v_fmac_f32_e32 v3, v82, v22
	v_fmac_f32_e32 v118, v135, v22
	v_fma_f32 v1, -v103, v23, v1
	v_fmac_f32_e32 v0, v134, v22
	v_fmac_f32_e32 v119, v102, v23
	;; [unrolled: 1-line block ×3, first 2 shown]
	v_dual_fmac_f32 v121, v74, v23 :: v_dual_fmac_f32 v120, v83, v22
	v_fma_f32 v3, -v83, v23, v3
	s_wait_loadcnt 0x0
	v_dual_fmac_f32 v118, v134, v23 :: v_dual_fmac_f32 v1, v84, v12
	v_fma_f32 v0, -v135, v23, v0
	v_fmac_f32_e32 v119, v85, v12
	v_fma_f32 v2, -v75, v23, v2
	v_dual_fmac_f32 v121, v89, v12 :: v_dual_fmac_f32 v120, v82, v23
	v_fmac_f32_e32 v3, v136, v12
	v_fmac_f32_e32 v118, v93, v12
	v_fma_f32 v1, -v85, v13, v1
	v_fmac_f32_e32 v0, v92, v12
	v_fmac_f32_e32 v119, v84, v13
	;; [unrolled: 1-line block ×3, first 2 shown]
	v_dual_fmac_f32 v121, v88, v13 :: v_dual_fmac_f32 v120, v137, v12
	v_fma_f32 v3, -v137, v13, v3
	v_dual_fmac_f32 v118, v92, v13 :: v_dual_fmac_f32 v1, v86, v14
	v_fma_f32 v0, -v93, v13, v0
	v_fmac_f32_e32 v119, v87, v14
	v_fma_f32 v2, -v89, v13, v2
	v_dual_fmac_f32 v121, v91, v14 :: v_dual_fmac_f32 v120, v136, v13
	s_delay_alu instid0(VALU_DEP_4) | instskip(SKIP_1) | instid1(VALU_DEP_3)
	v_fmac_f32_e32 v0, v94, v14
	v_fmac_f32_e32 v3, v138, v14
	v_dual_fmac_f32 v118, v95, v14 :: v_dual_fmac_f32 v121, v90, v15
	v_fmac_f32_e32 v2, v90, v14
	v_dual_fmac_f32 v119, v86, v15 :: v_dual_fmac_f32 v120, v139, v14
	v_fma_f32 v125, -v95, v15, v0
	s_delay_alu instid0(VALU_DEP_4)
	v_fmac_f32_e32 v118, v94, v15
	v_fma_f32 v126, -v87, v15, v1
	v_fma_f32 v124, -v91, v15, v2
	;; [unrolled: 1-line block ×3, first 2 shown]
	v_fmac_f32_e32 v120, v138, v15
	s_wait_alu 0xfffe
	s_and_not1_b32 exec_lo, exec_lo, s7
	s_cbranch_execnz .LBB11_19
; %bb.20:
	s_or_b32 exec_lo, exec_lo, s7
.LBB11_21:
	s_wait_alu 0xfffe
	s_or_b32 exec_lo, exec_lo, s6
.LBB11_22:
	s_wait_alu 0xfffe
	s_or_b32 exec_lo, exec_lo, s3
	s_cbranch_execz .LBB11_24
	s_branch .LBB11_35
.LBB11_23:
                                        ; implicit-def: $vgpr118
                                        ; implicit-def: $vgpr125
                                        ; implicit-def: $vgpr123
                                        ; implicit-def: $vgpr120
                                        ; implicit-def: $vgpr124
                                        ; implicit-def: $vgpr121
                                        ; implicit-def: $vgpr126
                                        ; implicit-def: $vgpr119
.LBB11_24:
	v_dual_mov_b32 v118, 0 :: v_dual_mov_b32 v125, 0
	v_dual_mov_b32 v123, 0 :: v_dual_mov_b32 v120, 0
	;; [unrolled: 1-line block ×4, first 2 shown]
	s_and_saveexec_b32 s3, s2
	s_cbranch_execz .LBB11_34
; %bb.25:
	v_dual_mov_b32 v119, 0 :: v_dual_add_nc_u32 v0, v127, v117
	v_not_b32_e32 v1, v127
	v_dual_mov_b32 v124, 0 :: v_dual_mov_b32 v123, 0
	s_delay_alu instid0(VALU_DEP_3) | instskip(SKIP_3) | instid1(VALU_DEP_3)
	v_subrev_nc_u32_e32 v0, s12, v0
	v_dual_mov_b32 v120, 0 :: v_dual_mov_b32 v125, 0
	v_mov_b32_e32 v118, 0
	s_mov_b32 s2, exec_lo
	v_dual_mov_b32 v121, 0 :: v_dual_add_nc_u32 v0, 8, v0
	s_delay_alu instid0(VALU_DEP_1) | instskip(NEXT) | instid1(VALU_DEP_1)
	v_max_i32_e32 v0, v0, v122
	v_add3_u32 v0, s12, v0, v1
	s_delay_alu instid0(VALU_DEP_1) | instskip(NEXT) | instid1(VALU_DEP_1)
	v_sub_nc_u32_e32 v0, v0, v117
	v_dual_mov_b32 v126, 0 :: v_dual_and_b32 v1, 24, v0
	s_delay_alu instid0(VALU_DEP_1)
	v_cmpx_ne_u32_e32 24, v1
	s_cbranch_execz .LBB11_29
; %bb.26:
	v_lshrrev_b32_e32 v1, 3, v0
	v_dual_mov_b32 v125, 0 :: v_dual_mov_b32 v120, 0
	v_dual_mov_b32 v123, 0 :: v_dual_mov_b32 v124, 0
	s_delay_alu instid0(VALU_DEP_3) | instskip(SKIP_3) | instid1(VALU_DEP_3)
	v_dual_mov_b32 v118, 0 :: v_dual_add_nc_u32 v1, 1, v1
	v_mov_b32_e32 v121, 0
	v_mov_b32_e32 v119, 0
	s_mov_b32 s6, 0
	v_dual_mov_b32 v126, 0 :: v_dual_and_b32 v1, 3, v1
	s_delay_alu instid0(VALU_DEP_1)
	v_sub_nc_u32_e32 v1, 0, v1
.LBB11_27:                              ; =>This Inner Loop Header: Depth=1
	v_ashrrev_i32_e32 v110, 31, v109
	s_delay_alu instid0(VALU_DEP_2) | instskip(SKIP_2) | instid1(VALU_DEP_2)
	v_add_co_u32 v1, s7, v1, 1
	s_wait_alu 0xfffe
	s_or_b32 s6, s7, s6
	v_lshlrev_b64_e32 v[2:3], 2, v[109:110]
	s_delay_alu instid0(VALU_DEP_1) | instskip(SKIP_1) | instid1(VALU_DEP_2)
	v_add_co_u32 v2, vcc_lo, s8, v2
	s_wait_alu 0xfffd
	v_add_co_ci_u32_e64 v3, null, s9, v3, vcc_lo
	global_load_b32 v14, v[2:3], off
	s_clause 0x2
	global_load_b128 v[2:5], v[111:112], off offset:32
	global_load_b128 v[6:9], v[111:112], off offset:16
	global_load_b128 v[10:13], v[111:112], off
	s_wait_loadcnt 0x3
	v_subrev_nc_u32_e32 v14, s12, v14
	s_delay_alu instid0(VALU_DEP_1) | instskip(NEXT) | instid1(VALU_DEP_1)
	v_lshlrev_b32_e32 v14, 2, v14
	v_ashrrev_i32_e32 v15, 31, v14
	s_delay_alu instid0(VALU_DEP_1) | instskip(SKIP_1) | instid1(VALU_DEP_1)
	v_lshlrev_b64_e32 v[14:15], 3, v[14:15]
	s_wait_kmcnt 0x0
	v_add_co_u32 v18, vcc_lo, s4, v14
	s_wait_alu 0xfffd
	s_delay_alu instid0(VALU_DEP_2)
	v_add_co_ci_u32_e64 v19, null, s5, v15, vcc_lo
	s_clause 0x1
	global_load_b128 v[14:17], v[18:19], off
	global_load_b128 v[18:21], v[18:19], off offset:16
	s_clause 0x4
	global_load_b128 v[22:25], v[111:112], off offset:48
	global_load_b128 v[26:29], v[111:112], off offset:64
	;; [unrolled: 1-line block ×5, first 2 shown]
	v_add_nc_u32_e32 v109, 8, v109
	v_add_co_u32 v111, vcc_lo, 0x400, v111
	s_wait_alu 0xfffd
	v_add_co_ci_u32_e64 v112, null, 0, v112, vcc_lo
	s_wait_loadcnt 0x6
	v_fmac_f32_e32 v118, v11, v14
	v_fmac_f32_e32 v119, v13, v14
	;; [unrolled: 1-line block ×6, first 2 shown]
	v_dual_fmac_f32 v118, v10, v15 :: v_dual_fmac_f32 v123, v8, v14
	v_dual_fmac_f32 v119, v12, v15 :: v_dual_fmac_f32 v124, v6, v14
	v_fmac_f32_e32 v121, v6, v15
	v_fma_f32 v10, -v13, v15, v126
	v_fmac_f32_e32 v120, v8, v15
	v_fma_f32 v11, -v11, v15, v125
	;; [unrolled: 2-line block ×4, first 2 shown]
	v_fmac_f32_e32 v11, v2, v16
	v_fmac_f32_e32 v10, v4, v16
	s_wait_loadcnt 0x4
	v_dual_fmac_f32 v121, v23, v16 :: v_dual_fmac_f32 v118, v2, v17
	v_fmac_f32_e32 v6, v24, v16
	v_dual_fmac_f32 v120, v25, v16 :: v_dual_fmac_f32 v119, v4, v17
	v_fmac_f32_e32 v7, v22, v16
	v_fma_f32 v3, -v3, v17, v11
	v_fma_f32 v2, -v5, v17, v10
	v_fmac_f32_e32 v121, v22, v17
	v_fma_f32 v5, -v25, v17, v6
	v_fmac_f32_e32 v120, v24, v17
	v_fma_f32 v4, -v23, v17, v7
	s_wait_loadcnt 0x3
	v_fmac_f32_e32 v119, v29, v18
	v_fmac_f32_e32 v118, v27, v18
	s_wait_loadcnt 0x2
	v_fmac_f32_e32 v121, v31, v18
	v_fmac_f32_e32 v2, v28, v18
	v_fmac_f32_e32 v120, v33, v18
	v_fmac_f32_e32 v3, v26, v18
	v_dual_fmac_f32 v119, v28, v19 :: v_dual_fmac_f32 v4, v30, v18
	v_dual_fmac_f32 v118, v26, v19 :: v_dual_fmac_f32 v5, v32, v18
	v_fmac_f32_e32 v121, v30, v19
	v_fma_f32 v2, -v29, v19, v2
	v_fmac_f32_e32 v120, v32, v19
	v_fma_f32 v3, -v27, v19, v3
	s_wait_loadcnt 0x1
	v_fmac_f32_e32 v118, v35, v20
	v_fma_f32 v5, -v33, v19, v5
	v_fmac_f32_e32 v119, v37, v20
	v_fma_f32 v4, -v31, v19, v4
	v_fmac_f32_e32 v3, v34, v20
	v_fmac_f32_e32 v2, v36, v20
	s_wait_loadcnt 0x0
	v_dual_fmac_f32 v121, v39, v20 :: v_dual_fmac_f32 v118, v34, v21
	v_dual_fmac_f32 v4, v38, v20 :: v_dual_fmac_f32 v119, v36, v21
	v_fmac_f32_e32 v5, v40, v20
	s_delay_alu instid0(VALU_DEP_3)
	v_dual_fmac_f32 v120, v41, v20 :: v_dual_fmac_f32 v121, v38, v21
	v_fma_f32 v125, -v35, v21, v3
	v_fma_f32 v126, -v37, v21, v2
	;; [unrolled: 1-line block ×4, first 2 shown]
	v_fmac_f32_e32 v120, v40, v21
	s_wait_alu 0xfffe
	s_and_not1_b32 exec_lo, exec_lo, s6
	s_cbranch_execnz .LBB11_27
; %bb.28:
	s_or_b32 exec_lo, exec_lo, s6
.LBB11_29:
	s_wait_alu 0xfffe
	s_or_b32 exec_lo, exec_lo, s2
	s_delay_alu instid0(SALU_CYCLE_1)
	s_mov_b32 s2, exec_lo
	v_cmpx_lt_u32_e32 23, v0
	s_cbranch_execz .LBB11_33
; %bb.30:
	s_mov_b32 s6, 0
.LBB11_31:                              ; =>This Inner Loop Header: Depth=1
	v_ashrrev_i32_e32 v110, 31, v109
	s_clause 0x16
	global_load_b128 v[44:47], v[111:112], off offset:48
	global_load_b128 v[56:59], v[111:112], off offset:32
	;; [unrolled: 1-line block ×3, first 2 shown]
	global_load_b128 v[64:67], v[111:112], off
	global_load_b128 v[8:11], v[111:112], off offset:112
	global_load_b128 v[32:35], v[111:112], off offset:96
	;; [unrolled: 1-line block ×19, first 2 shown]
	v_lshlrev_b64_e32 v[92:93], 2, v[109:110]
	v_add_nc_u32_e32 v109, 32, v109
	s_delay_alu instid0(VALU_DEP_2) | instskip(SKIP_1) | instid1(VALU_DEP_3)
	v_add_co_u32 v92, vcc_lo, s8, v92
	s_wait_alu 0xfffd
	v_add_co_ci_u32_e64 v93, null, s9, v93, vcc_lo
	s_clause 0x3
	global_load_b32 v94, v[92:93], off
	global_load_b32 v100, v[92:93], off offset:32
	global_load_b32 v101, v[92:93], off offset:64
	;; [unrolled: 1-line block ×3, first 2 shown]
	s_wait_loadcnt 0x3
	v_subrev_nc_u32_e32 v92, s12, v94
	s_delay_alu instid0(VALU_DEP_1) | instskip(NEXT) | instid1(VALU_DEP_1)
	v_lshlrev_b32_e32 v92, 2, v92
	v_ashrrev_i32_e32 v93, 31, v92
	s_delay_alu instid0(VALU_DEP_1) | instskip(SKIP_1) | instid1(VALU_DEP_1)
	v_lshlrev_b64_e32 v[92:93], 3, v[92:93]
	s_wait_kmcnt 0x0
	v_add_co_u32 v96, vcc_lo, s4, v92
	s_wait_alu 0xfffd
	s_delay_alu instid0(VALU_DEP_2)
	v_add_co_ci_u32_e64 v97, null, s5, v93, vcc_lo
	s_clause 0x1
	global_load_b128 v[92:95], v[96:97], off
	global_load_b128 v[96:99], v[96:97], off offset:16
	s_wait_loadcnt 0x1
	v_fmac_f32_e32 v120, v63, v92
	s_delay_alu instid0(VALU_DEP_1) | instskip(NEXT) | instid1(VALU_DEP_1)
	v_dual_fmac_f32 v125, v64, v92 :: v_dual_fmac_f32 v120, v62, v93
	v_fma_f32 v103, -v65, v93, v125
	s_delay_alu instid0(VALU_DEP_1) | instskip(NEXT) | instid1(VALU_DEP_1)
	v_dual_fmac_f32 v126, v66, v92 :: v_dual_fmac_f32 v103, v56, v94
	v_fma_f32 v110, -v67, v93, v126
	v_fmac_f32_e32 v121, v61, v92
	s_delay_alu instid0(VALU_DEP_3) | instskip(NEXT) | instid1(VALU_DEP_3)
	v_fma_f32 v114, -v57, v95, v103
	v_fmac_f32_e32 v110, v58, v94
	s_delay_alu instid0(VALU_DEP_3) | instskip(SKIP_1) | instid1(VALU_DEP_3)
	v_dual_fmac_f32 v118, v65, v92 :: v_dual_fmac_f32 v121, v60, v93
	v_fmac_f32_e32 v119, v67, v92
	v_fma_f32 v110, -v59, v95, v110
	s_delay_alu instid0(VALU_DEP_3) | instskip(NEXT) | instid1(VALU_DEP_3)
	v_dual_fmac_f32 v118, v64, v93 :: v_dual_fmac_f32 v123, v62, v92
	v_dual_fmac_f32 v119, v66, v93 :: v_dual_fmac_f32 v124, v60, v92
	v_fmac_f32_e32 v121, v45, v94
	s_delay_alu instid0(VALU_DEP_3) | instskip(NEXT) | instid1(VALU_DEP_4)
	v_fmac_f32_e32 v118, v57, v94
	v_fma_f32 v113, -v63, v93, v123
	s_delay_alu instid0(VALU_DEP_4) | instskip(SKIP_4) | instid1(VALU_DEP_4)
	v_fmac_f32_e32 v119, v59, v94
	v_fma_f32 v92, -v61, v93, v124
	v_subrev_nc_u32_e32 v93, s12, v100
	v_fmac_f32_e32 v118, v56, v95
	v_subrev_nc_u32_e32 v100, s12, v101
	v_dual_fmac_f32 v119, v58, v95 :: v_dual_fmac_f32 v92, v44, v94
	v_dual_fmac_f32 v120, v47, v94 :: v_dual_fmac_f32 v121, v44, v95
	v_subrev_nc_u32_e32 v101, s12, v102
	v_dual_fmac_f32 v113, v46, v94 :: v_dual_lshlrev_b32 v44, 2, v93
	s_wait_loadcnt 0x0
	v_fmac_f32_e32 v119, v55, v96
	v_fma_f32 v115, -v45, v95, v92
	v_fmac_f32_e32 v120, v46, v95
	v_lshlrev_b32_e32 v46, 2, v100
	v_dual_fmac_f32 v121, v49, v96 :: v_dual_lshlrev_b32 v92, 2, v101
	v_ashrrev_i32_e32 v45, 31, v44
	v_fma_f32 v113, -v47, v95, v113
	v_fmac_f32_e32 v119, v54, v97
	v_ashrrev_i32_e32 v47, 31, v46
	v_ashrrev_i32_e32 v93, 31, v92
	v_lshlrev_b64_e32 v[44:45], 3, v[44:45]
	s_delay_alu instid0(VALU_DEP_4) | instskip(NEXT) | instid1(VALU_DEP_4)
	v_dual_fmac_f32 v110, v54, v96 :: v_dual_fmac_f32 v119, v35, v98
	v_lshlrev_b64_e32 v[46:47], 3, v[46:47]
	s_delay_alu instid0(VALU_DEP_4)
	v_lshlrev_b64_e32 v[92:93], 3, v[92:93]
	v_dual_fmac_f32 v118, v53, v96 :: v_dual_fmac_f32 v121, v48, v97
	v_add_co_u32 v94, vcc_lo, s4, v44
	s_wait_alu 0xfffd
	v_add_co_ci_u32_e64 v95, null, s5, v45, vcc_lo
	v_add_co_u32 v100, vcc_lo, s4, v46
	s_wait_alu 0xfffd
	v_add_co_ci_u32_e64 v101, null, s5, v47, vcc_lo
	;; [unrolled: 3-line block ×3, first 2 shown]
	v_fma_f32 v93, -v55, v97, v110
	v_fmac_f32_e32 v114, v52, v96
	v_dual_fmac_f32 v118, v52, v97 :: v_dual_fmac_f32 v113, v50, v96
	v_fmac_f32_e32 v115, v48, v96
	v_dual_fmac_f32 v120, v51, v96 :: v_dual_fmac_f32 v119, v34, v99
	v_fmac_f32_e32 v93, v34, v98
	v_fma_f32 v92, -v53, v97, v114
	s_delay_alu instid0(VALU_DEP_4)
	v_fma_f32 v96, -v49, v97, v115
	v_fma_f32 v110, -v51, v97, v113
	v_dual_fmac_f32 v120, v50, v97 :: v_dual_fmac_f32 v121, v9, v98
	v_fma_f32 v113, -v35, v99, v93
	v_fmac_f32_e32 v92, v32, v98
	v_fmac_f32_e32 v118, v33, v98
	;; [unrolled: 1-line block ×3, first 2 shown]
	v_dual_fmac_f32 v121, v8, v99 :: v_dual_fmac_f32 v120, v11, v98
	s_delay_alu instid0(VALU_DEP_4)
	v_fma_f32 v97, -v33, v99, v92
	v_fmac_f32_e32 v110, v10, v98
	s_clause 0x5
	global_load_b128 v[64:67], v[111:112], off offset:2112
	global_load_b128 v[52:55], v[111:112], off offset:3072
	;; [unrolled: 1-line block ×6, first 2 shown]
	v_fmac_f32_e32 v118, v32, v99
	global_load_b128 v[32:35], v[111:112], off offset:3152
	v_fma_f32 v114, -v9, v99, v96
	v_fma_f32 v110, -v11, v99, v110
	v_fmac_f32_e32 v120, v10, v99
	s_clause 0x1
	global_load_b128 v[8:11], v[94:95], off
	global_load_b128 v[92:95], v[94:95], off offset:16
	s_wait_loadcnt 0x1
	v_fmac_f32_e32 v97, v40, v8
	v_fmac_f32_e32 v113, v42, v8
	;; [unrolled: 1-line block ×4, first 2 shown]
	s_delay_alu instid0(VALU_DEP_4) | instskip(SKIP_3) | instid1(VALU_DEP_4)
	v_fma_f32 v115, -v41, v9, v97
	v_fmac_f32_e32 v118, v41, v8
	v_fma_f32 v113, -v43, v9, v113
	v_dual_fmac_f32 v119, v42, v9 :: v_dual_fmac_f32 v114, v36, v8
	v_fmac_f32_e32 v115, v28, v10
	s_delay_alu instid0(VALU_DEP_3)
	v_dual_fmac_f32 v118, v40, v9 :: v_dual_fmac_f32 v113, v30, v10
	s_clause 0x1
	global_load_b128 v[40:43], v[100:101], off
	global_load_b128 v[96:99], v[100:101], off offset:16
	v_dual_fmac_f32 v121, v36, v9 :: v_dual_fmac_f32 v110, v38, v8
	v_fmac_f32_e32 v119, v31, v10
	v_fmac_f32_e32 v120, v39, v8
	v_fma_f32 v8, -v37, v9, v114
	s_delay_alu instid0(VALU_DEP_4)
	v_fmac_f32_e32 v121, v25, v10
	v_fma_f32 v100, -v39, v9, v110
	v_fmac_f32_e32 v119, v30, v11
	v_fmac_f32_e32 v120, v38, v9
	global_load_b128 v[36:39], v[102:103], off
	v_fmac_f32_e32 v118, v29, v10
	v_fma_f32 v101, -v29, v11, v115
	v_fma_f32 v110, -v31, v11, v113
	v_dual_fmac_f32 v100, v26, v10 :: v_dual_fmac_f32 v121, v24, v11
	s_wait_loadcnt 0x3
	v_dual_fmac_f32 v118, v28, v11 :: v_dual_fmac_f32 v119, v19, v92
	global_load_b128 v[28:31], v[102:103], off offset:16
	v_dual_fmac_f32 v8, v24, v10 :: v_dual_fmac_f32 v121, v13, v92
	v_dual_fmac_f32 v120, v27, v10 :: v_dual_fmac_f32 v119, v18, v93
	v_fmac_f32_e32 v101, v16, v92
	s_delay_alu instid0(VALU_DEP_3) | instskip(SKIP_1) | instid1(VALU_DEP_4)
	v_fma_f32 v102, -v25, v11, v8
	v_fma_f32 v100, -v27, v11, v100
	v_dual_fmac_f32 v120, v26, v11 :: v_dual_fmac_f32 v121, v12, v93
	s_clause 0x1
	global_load_b128 v[8:11], v[111:112], off offset:3168
	global_load_b128 v[24:27], v[111:112], off offset:3184
	v_fmac_f32_e32 v102, v12, v92
	v_fmac_f32_e32 v118, v17, v92
	v_dual_fmac_f32 v110, v18, v92 :: v_dual_fmac_f32 v119, v7, v94
	v_fma_f32 v17, -v17, v93, v101
	v_fmac_f32_e32 v121, v1, v94
	v_fma_f32 v13, -v13, v93, v102
	v_fmac_f32_e32 v100, v14, v92
	v_dual_fmac_f32 v120, v15, v92 :: v_dual_fmac_f32 v119, v6, v95
	v_fmac_f32_e32 v17, v4, v94
	v_fmac_f32_e32 v118, v16, v93
	v_fma_f32 v16, -v19, v93, v110
	v_fmac_f32_e32 v13, v0, v94
	v_fma_f32 v12, -v15, v93, v100
	v_dual_fmac_f32 v120, v14, v93 :: v_dual_fmac_f32 v121, v0, v95
	v_add_co_u32 v111, vcc_lo, 0x1000, v111
	s_delay_alu instid0(VALU_DEP_4)
	v_fma_f32 v1, -v1, v95, v13
	v_fmac_f32_e32 v16, v6, v94
	v_fmac_f32_e32 v12, v2, v94
	s_wait_alu 0xfffd
	v_add_co_ci_u32_e64 v112, null, 0, v112, vcc_lo
	v_cmp_ge_i32_e32 vcc_lo, v109, v122
	s_wait_alu 0xfffe
	s_or_b32 s6, vcc_lo, s6
	s_wait_loadcnt 0x5
	v_dual_fmac_f32 v119, v79, v40 :: v_dual_fmac_f32 v118, v5, v94
	v_fma_f32 v5, -v5, v95, v17
	v_dual_fmac_f32 v1, v72, v40 :: v_dual_fmac_f32 v120, v3, v94
	s_delay_alu instid0(VALU_DEP_3) | instskip(SKIP_1) | instid1(VALU_DEP_4)
	v_fmac_f32_e32 v119, v78, v41
	v_fmac_f32_e32 v121, v73, v40
	;; [unrolled: 1-line block ×4, first 2 shown]
	v_fma_f32 v4, -v7, v95, v16
	v_fma_f32 v1, -v73, v41, v1
	;; [unrolled: 1-line block ×3, first 2 shown]
	v_dual_fmac_f32 v120, v2, v95 :: v_dual_fmac_f32 v121, v72, v41
	s_delay_alu instid0(VALU_DEP_3) | instskip(NEXT) | instid1(VALU_DEP_3)
	v_dual_fmac_f32 v4, v78, v40 :: v_dual_fmac_f32 v1, v20, v42
	v_dual_fmac_f32 v0, v74, v40 :: v_dual_fmac_f32 v119, v71, v42
	s_delay_alu instid0(VALU_DEP_3) | instskip(NEXT) | instid1(VALU_DEP_3)
	v_fmac_f32_e32 v120, v75, v40
	v_fma_f32 v3, -v79, v41, v4
	v_fma_f32 v2, -v77, v41, v5
	v_fmac_f32_e32 v121, v21, v42
	v_fma_f32 v0, -v75, v41, v0
	v_fmac_f32_e32 v119, v70, v43
	v_dual_fmac_f32 v3, v70, v42 :: v_dual_fmac_f32 v118, v77, v40
	s_delay_alu instid0(VALU_DEP_4) | instskip(SKIP_1) | instid1(VALU_DEP_3)
	v_dual_fmac_f32 v120, v74, v41 :: v_dual_fmac_f32 v121, v20, v43
	s_wait_loadcnt 0x4
	v_dual_fmac_f32 v2, v68, v42 :: v_dual_fmac_f32 v119, v67, v96
	s_delay_alu instid0(VALU_DEP_3) | instskip(SKIP_2) | instid1(VALU_DEP_4)
	v_fma_f32 v3, -v71, v43, v3
	v_fmac_f32_e32 v118, v76, v41
	v_dual_fmac_f32 v0, v22, v42 :: v_dual_fmac_f32 v121, v89, v96
	v_dual_fmac_f32 v120, v23, v42 :: v_dual_fmac_f32 v119, v66, v97
	v_fma_f32 v1, -v21, v43, v1
	s_delay_alu instid0(VALU_DEP_4)
	v_dual_fmac_f32 v3, v66, v96 :: v_dual_fmac_f32 v118, v69, v42
	v_fma_f32 v2, -v69, v43, v2
	v_fma_f32 v0, -v23, v43, v0
	v_dual_fmac_f32 v120, v22, v43 :: v_dual_fmac_f32 v121, v88, v97
	v_fmac_f32_e32 v1, v88, v96
	v_fma_f32 v3, -v67, v97, v3
	v_fmac_f32_e32 v118, v68, v43
	v_dual_fmac_f32 v2, v64, v96 :: v_dual_fmac_f32 v119, v87, v98
	v_dual_fmac_f32 v0, v90, v96 :: v_dual_fmac_f32 v121, v81, v98
	v_fmac_f32_e32 v120, v91, v96
	v_fma_f32 v1, -v89, v97, v1
	v_dual_fmac_f32 v3, v86, v98 :: v_dual_fmac_f32 v118, v65, v96
	v_fma_f32 v2, -v65, v97, v2
	v_fma_f32 v0, -v91, v97, v0
	s_delay_alu instid0(VALU_DEP_4) | instskip(NEXT) | instid1(VALU_DEP_4)
	v_fmac_f32_e32 v1, v80, v98
	v_fma_f32 v3, -v87, v99, v3
	v_dual_fmac_f32 v118, v64, v97 :: v_dual_fmac_f32 v119, v86, v99
	v_dual_fmac_f32 v120, v90, v97 :: v_dual_fmac_f32 v121, v80, v99
	v_fmac_f32_e32 v2, v84, v98
	v_fmac_f32_e32 v0, v82, v98
	v_fma_f32 v1, -v81, v99, v1
	s_wait_loadcnt 0x3
	v_dual_fmac_f32 v3, v54, v36 :: v_dual_fmac_f32 v118, v85, v98
	v_fmac_f32_e32 v119, v55, v36
	v_fmac_f32_e32 v120, v83, v98
	v_fma_f32 v2, -v85, v99, v2
	v_fmac_f32_e32 v1, v44, v36
	v_fmac_f32_e32 v121, v45, v36
	v_fma_f32 v0, -v83, v99, v0
	v_fma_f32 v3, -v55, v37, v3
	v_dual_fmac_f32 v118, v84, v99 :: v_dual_fmac_f32 v119, v54, v37
	s_delay_alu instid0(VALU_DEP_4)
	v_dual_fmac_f32 v120, v82, v99 :: v_dual_fmac_f32 v121, v44, v37
	v_fmac_f32_e32 v2, v52, v36
	v_fmac_f32_e32 v0, v46, v36
	v_fma_f32 v1, -v45, v37, v1
	v_dual_fmac_f32 v3, v58, v38 :: v_dual_fmac_f32 v118, v53, v36
	v_fmac_f32_e32 v119, v59, v38
	v_fmac_f32_e32 v120, v47, v36
	v_fma_f32 v2, -v53, v37, v2
	v_fmac_f32_e32 v1, v60, v38
	v_fmac_f32_e32 v121, v61, v38
	v_fma_f32 v0, -v47, v37, v0
	v_fma_f32 v3, -v59, v39, v3
	v_dual_fmac_f32 v118, v52, v37 :: v_dual_fmac_f32 v119, v58, v39
	s_delay_alu instid0(VALU_DEP_4)
	v_dual_fmac_f32 v120, v46, v37 :: v_dual_fmac_f32 v121, v60, v39
	v_fmac_f32_e32 v2, v56, v38
	v_fmac_f32_e32 v0, v62, v38
	v_fma_f32 v1, -v61, v39, v1
	s_wait_loadcnt 0x2
	v_dual_fmac_f32 v3, v50, v28 :: v_dual_fmac_f32 v118, v57, v38
	v_fmac_f32_e32 v119, v51, v28
	v_fmac_f32_e32 v120, v63, v38
	v_fma_f32 v2, -v57, v39, v2
	v_fmac_f32_e32 v1, v32, v28
	v_fmac_f32_e32 v121, v33, v28
	v_fma_f32 v0, -v63, v39, v0
	v_fma_f32 v3, -v51, v29, v3
	v_dual_fmac_f32 v118, v56, v39 :: v_dual_fmac_f32 v119, v50, v29
	s_delay_alu instid0(VALU_DEP_4)
	v_dual_fmac_f32 v120, v62, v39 :: v_dual_fmac_f32 v121, v32, v29
	v_fmac_f32_e32 v2, v48, v28
	v_fmac_f32_e32 v0, v34, v28
	v_fma_f32 v1, -v33, v29, v1
	s_wait_loadcnt 0x1
	v_dual_fmac_f32 v3, v10, v30 :: v_dual_fmac_f32 v118, v49, v28
	v_fmac_f32_e32 v119, v11, v30
	v_fmac_f32_e32 v120, v35, v28
	v_fma_f32 v2, -v49, v29, v2
	s_wait_loadcnt 0x0
	v_fmac_f32_e32 v1, v24, v30
	v_dual_fmac_f32 v118, v48, v29 :: v_dual_fmac_f32 v121, v25, v30
	v_fma_f32 v0, -v35, v29, v0
	v_fmac_f32_e32 v119, v10, v31
	v_fmac_f32_e32 v120, v34, v29
	;; [unrolled: 1-line block ×4, first 2 shown]
	v_dual_fmac_f32 v0, v26, v30 :: v_dual_fmac_f32 v121, v24, v31
	s_delay_alu instid0(VALU_DEP_4) | instskip(NEXT) | instid1(VALU_DEP_4)
	v_fmac_f32_e32 v120, v27, v30
	v_fma_f32 v125, -v9, v31, v2
	s_delay_alu instid0(VALU_DEP_4)
	v_fmac_f32_e32 v118, v8, v31
	v_fma_f32 v126, -v11, v31, v3
	v_fma_f32 v124, -v25, v31, v1
	;; [unrolled: 1-line block ×3, first 2 shown]
	v_fmac_f32_e32 v120, v26, v31
	s_wait_alu 0xfffe
	s_and_not1_b32 exec_lo, exec_lo, s6
	s_cbranch_execnz .LBB11_31
; %bb.32:
	s_or_b32 exec_lo, exec_lo, s6
.LBB11_33:
	s_wait_alu 0xfffe
	s_or_b32 exec_lo, exec_lo, s2
.LBB11_34:
	s_wait_alu 0xfffe
	s_or_b32 exec_lo, exec_lo, s3
.LBB11_35:
	v_mbcnt_lo_u32_b32 v0, -1, 0
	s_delay_alu instid0(VALU_DEP_1) | instskip(SKIP_2) | instid1(VALU_DEP_3)
	v_xor_b32_e32 v1, 4, v0
	v_xor_b32_e32 v9, 2, v0
	;; [unrolled: 1-line block ×3, first 2 shown]
	v_cmp_gt_i32_e32 vcc_lo, 32, v1
	s_wait_alu 0xfffd
	v_cndmask_b32_e32 v1, v0, v1, vcc_lo
	v_cmp_gt_i32_e32 vcc_lo, 32, v9
	s_delay_alu instid0(VALU_DEP_2)
	v_lshlrev_b32_e32 v1, 2, v1
	ds_bpermute_b32 v4, v1, v126
	s_wait_dscnt 0x0
	v_add_f32_e32 v4, v126, v4
	ds_bpermute_b32 v2, v1, v125
	ds_bpermute_b32 v8, v1, v123
	;; [unrolled: 1-line block ×7, first 2 shown]
	s_wait_alu 0xfffd
	v_cndmask_b32_e32 v9, v0, v9, vcc_lo
	v_cmp_gt_i32_e32 vcc_lo, 32, v17
	s_wait_alu 0xfffd
	v_cndmask_b32_e32 v0, v0, v17, vcc_lo
	v_cmp_eq_u32_e32 vcc_lo, 7, v117
	s_wait_dscnt 0x6
	v_add_f32_e32 v2, v125, v2
	s_wait_dscnt 0x5
	v_dual_add_f32 v8, v123, v8 :: v_dual_lshlrev_b32 v9, 2, v9
	s_wait_dscnt 0x2
	v_dual_add_f32 v3, v118, v3 :: v_dual_add_f32 v6, v124, v6
	s_wait_dscnt 0x0
	v_dual_add_f32 v7, v121, v7 :: v_dual_add_f32 v10, v120, v1
	ds_bpermute_b32 v1, v9, v2
	ds_bpermute_b32 v12, v9, v4
	v_add_f32_e32 v5, v119, v5
	ds_bpermute_b32 v11, v9, v3
	ds_bpermute_b32 v14, v9, v6
	;; [unrolled: 1-line block ×4, first 2 shown]
	s_wait_dscnt 0x5
	v_dual_add_f32 v0, v2, v1 :: v_dual_lshlrev_b32 v17, 2, v0
	s_wait_dscnt 0x4
	v_add_f32_e32 v2, v4, v12
	ds_bpermute_b32 v13, v9, v5
	ds_bpermute_b32 v9, v9, v10
	s_wait_dscnt 0x4
	v_dual_add_f32 v1, v3, v11 :: v_dual_add_f32 v4, v6, v14
	s_wait_dscnt 0x2
	v_add_f32_e32 v6, v8, v16
	ds_bpermute_b32 v8, v17, v0
	ds_bpermute_b32 v12, v17, v4
	;; [unrolled: 1-line block ×3, first 2 shown]
	s_wait_dscnt 0x4
	v_add_f32_e32 v3, v5, v13
	v_add_f32_e32 v5, v7, v15
	s_wait_dscnt 0x3
	v_add_f32_e32 v7, v10, v9
	ds_bpermute_b32 v9, v17, v1
	ds_bpermute_b32 v10, v17, v2
	;; [unrolled: 1-line block ×5, first 2 shown]
	s_and_b32 exec_lo, exec_lo, vcc_lo
	s_cbranch_execz .LBB11_8
; %bb.36:
	s_load_b64 s[2:3], s[0:1], 0x50
	s_wait_dscnt 0x7
	v_add_f32_e32 v8, v0, v8
	s_wait_dscnt 0x2
	v_dual_add_f32 v0, v1, v9 :: v_dual_add_f32 v1, v3, v11
	s_wait_dscnt 0x1
	v_dual_add_f32 v9, v2, v10 :: v_dual_add_f32 v2, v5, v13
	;; [unrolled: 2-line block ×3, first 2 shown]
	v_add_f32_e32 v11, v6, v14
	v_mul_f32_e64 v4, v0, -v107
	v_mul_f32_e32 v5, v106, v0
	v_mul_f32_e64 v6, v1, -v107
	v_mul_f32_e32 v7, v106, v1
	;; [unrolled: 2-line block ×4, first 2 shown]
	v_cmp_eq_f32_e32 vcc_lo, 0, v104
	v_cmp_eq_f32_e64 s0, 0, v105
	v_fmac_f32_e32 v4, v106, v8
	v_dual_fmac_f32 v5, v107, v8 :: v_dual_fmac_f32 v6, v106, v9
	v_dual_fmac_f32 v7, v107, v9 :: v_dual_lshlrev_b32 v8, 2, v108
	v_dual_fmac_f32 v0, v106, v10 :: v_dual_fmac_f32 v3, v107, v11
	v_dual_fmac_f32 v1, v107, v10 :: v_dual_fmac_f32 v2, v106, v11
	s_and_b32 s0, vcc_lo, s0
	s_wait_alu 0xfffe
	s_and_saveexec_b32 s1, s0
	s_wait_alu 0xfffe
	s_xor_b32 s0, exec_lo, s1
	s_cbranch_execz .LBB11_38
; %bb.37:
	v_ashrrev_i32_e32 v9, 31, v8
                                        ; implicit-def: $vgpr104_vgpr105
	s_delay_alu instid0(VALU_DEP_1) | instskip(SKIP_1) | instid1(VALU_DEP_1)
	v_lshlrev_b64_e32 v[8:9], 3, v[8:9]
	s_wait_kmcnt 0x0
	v_add_co_u32 v8, vcc_lo, s2, v8
	s_wait_alu 0xfffd
	s_delay_alu instid0(VALU_DEP_2)
	v_add_co_ci_u32_e64 v9, null, s3, v9, vcc_lo
	s_clause 0x1
	global_store_b128 v[8:9], v[4:7], off
	global_store_b128 v[8:9], v[0:3], off offset:16
                                        ; implicit-def: $vgpr4
                                        ; implicit-def: $vgpr8
                                        ; implicit-def: $vgpr0
.LBB11_38:
	s_wait_alu 0xfffe
	s_and_not1_saveexec_b32 s0, s0
	s_cbranch_execz .LBB11_8
; %bb.39:
	v_ashrrev_i32_e32 v9, 31, v8
	s_delay_alu instid0(VALU_DEP_1) | instskip(SKIP_1) | instid1(VALU_DEP_1)
	v_lshlrev_b64_e32 v[8:9], 3, v[8:9]
	s_wait_kmcnt 0x0
	v_add_co_u32 v16, vcc_lo, s2, v8
	s_wait_alu 0xfffd
	s_delay_alu instid0(VALU_DEP_2)
	v_add_co_ci_u32_e64 v17, null, s3, v9, vcc_lo
	s_clause 0x1
	global_load_b128 v[8:11], v[16:17], off
	global_load_b128 v[12:15], v[16:17], off offset:16
	s_wait_loadcnt 0x1
	v_dual_fmac_f32 v4, v104, v8 :: v_dual_fmac_f32 v7, v105, v10
	v_dual_fmac_f32 v5, v105, v8 :: v_dual_fmac_f32 v6, v104, v10
	s_wait_loadcnt 0x0
	v_dual_fmac_f32 v0, v104, v12 :: v_dual_fmac_f32 v3, v105, v14
	v_dual_fmac_f32 v1, v105, v12 :: v_dual_fmac_f32 v2, v104, v14
	v_fma_f32 v4, -v105, v9, v4
	v_fmac_f32_e32 v5, v104, v9
	v_fma_f32 v6, -v105, v11, v6
	v_fmac_f32_e32 v7, v104, v11
	;; [unrolled: 2-line block ×4, first 2 shown]
	s_clause 0x1
	global_store_b128 v[16:17], v[4:7], off
	global_store_b128 v[16:17], v[0:3], off offset:16
	s_nop 0
	s_sendmsg sendmsg(MSG_DEALLOC_VGPRS)
	s_endpgm
	.section	.rodata,"a",@progbits
	.p2align	6, 0x0
	.amdhsa_kernel _ZN9rocsparseL18bsrxmvn_4x4_kernelILj128ELj8E21rocsparse_complex_numIfEiiS2_S2_S2_EEvT3_20rocsparse_direction_NS_24const_host_device_scalarIT1_EES3_PKS3_PKT2_SC_S9_PKT4_PKT5_S7_PT6_21rocsparse_index_base_b
		.amdhsa_group_segment_fixed_size 0
		.amdhsa_private_segment_fixed_size 0
		.amdhsa_kernarg_size 96
		.amdhsa_user_sgpr_count 2
		.amdhsa_user_sgpr_dispatch_ptr 0
		.amdhsa_user_sgpr_queue_ptr 0
		.amdhsa_user_sgpr_kernarg_segment_ptr 1
		.amdhsa_user_sgpr_dispatch_id 0
		.amdhsa_user_sgpr_private_segment_size 0
		.amdhsa_wavefront_size32 1
		.amdhsa_uses_dynamic_stack 0
		.amdhsa_enable_private_segment 0
		.amdhsa_system_sgpr_workgroup_id_x 1
		.amdhsa_system_sgpr_workgroup_id_y 0
		.amdhsa_system_sgpr_workgroup_id_z 0
		.amdhsa_system_sgpr_workgroup_info 0
		.amdhsa_system_vgpr_workitem_id 0
		.amdhsa_next_free_vgpr 152
		.amdhsa_next_free_sgpr 14
		.amdhsa_reserve_vcc 1
		.amdhsa_float_round_mode_32 0
		.amdhsa_float_round_mode_16_64 0
		.amdhsa_float_denorm_mode_32 3
		.amdhsa_float_denorm_mode_16_64 3
		.amdhsa_fp16_overflow 0
		.amdhsa_workgroup_processor_mode 1
		.amdhsa_memory_ordered 1
		.amdhsa_forward_progress 1
		.amdhsa_inst_pref_size 61
		.amdhsa_round_robin_scheduling 0
		.amdhsa_exception_fp_ieee_invalid_op 0
		.amdhsa_exception_fp_denorm_src 0
		.amdhsa_exception_fp_ieee_div_zero 0
		.amdhsa_exception_fp_ieee_overflow 0
		.amdhsa_exception_fp_ieee_underflow 0
		.amdhsa_exception_fp_ieee_inexact 0
		.amdhsa_exception_int_div_zero 0
	.end_amdhsa_kernel
	.section	.text._ZN9rocsparseL18bsrxmvn_4x4_kernelILj128ELj8E21rocsparse_complex_numIfEiiS2_S2_S2_EEvT3_20rocsparse_direction_NS_24const_host_device_scalarIT1_EES3_PKS3_PKT2_SC_S9_PKT4_PKT5_S7_PT6_21rocsparse_index_base_b,"axG",@progbits,_ZN9rocsparseL18bsrxmvn_4x4_kernelILj128ELj8E21rocsparse_complex_numIfEiiS2_S2_S2_EEvT3_20rocsparse_direction_NS_24const_host_device_scalarIT1_EES3_PKS3_PKT2_SC_S9_PKT4_PKT5_S7_PT6_21rocsparse_index_base_b,comdat
.Lfunc_end11:
	.size	_ZN9rocsparseL18bsrxmvn_4x4_kernelILj128ELj8E21rocsparse_complex_numIfEiiS2_S2_S2_EEvT3_20rocsparse_direction_NS_24const_host_device_scalarIT1_EES3_PKS3_PKT2_SC_S9_PKT4_PKT5_S7_PT6_21rocsparse_index_base_b, .Lfunc_end11-_ZN9rocsparseL18bsrxmvn_4x4_kernelILj128ELj8E21rocsparse_complex_numIfEiiS2_S2_S2_EEvT3_20rocsparse_direction_NS_24const_host_device_scalarIT1_EES3_PKS3_PKT2_SC_S9_PKT4_PKT5_S7_PT6_21rocsparse_index_base_b
                                        ; -- End function
	.set _ZN9rocsparseL18bsrxmvn_4x4_kernelILj128ELj8E21rocsparse_complex_numIfEiiS2_S2_S2_EEvT3_20rocsparse_direction_NS_24const_host_device_scalarIT1_EES3_PKS3_PKT2_SC_S9_PKT4_PKT5_S7_PT6_21rocsparse_index_base_b.num_vgpr, 152
	.set _ZN9rocsparseL18bsrxmvn_4x4_kernelILj128ELj8E21rocsparse_complex_numIfEiiS2_S2_S2_EEvT3_20rocsparse_direction_NS_24const_host_device_scalarIT1_EES3_PKS3_PKT2_SC_S9_PKT4_PKT5_S7_PT6_21rocsparse_index_base_b.num_agpr, 0
	.set _ZN9rocsparseL18bsrxmvn_4x4_kernelILj128ELj8E21rocsparse_complex_numIfEiiS2_S2_S2_EEvT3_20rocsparse_direction_NS_24const_host_device_scalarIT1_EES3_PKS3_PKT2_SC_S9_PKT4_PKT5_S7_PT6_21rocsparse_index_base_b.numbered_sgpr, 14
	.set _ZN9rocsparseL18bsrxmvn_4x4_kernelILj128ELj8E21rocsparse_complex_numIfEiiS2_S2_S2_EEvT3_20rocsparse_direction_NS_24const_host_device_scalarIT1_EES3_PKS3_PKT2_SC_S9_PKT4_PKT5_S7_PT6_21rocsparse_index_base_b.num_named_barrier, 0
	.set _ZN9rocsparseL18bsrxmvn_4x4_kernelILj128ELj8E21rocsparse_complex_numIfEiiS2_S2_S2_EEvT3_20rocsparse_direction_NS_24const_host_device_scalarIT1_EES3_PKS3_PKT2_SC_S9_PKT4_PKT5_S7_PT6_21rocsparse_index_base_b.private_seg_size, 0
	.set _ZN9rocsparseL18bsrxmvn_4x4_kernelILj128ELj8E21rocsparse_complex_numIfEiiS2_S2_S2_EEvT3_20rocsparse_direction_NS_24const_host_device_scalarIT1_EES3_PKS3_PKT2_SC_S9_PKT4_PKT5_S7_PT6_21rocsparse_index_base_b.uses_vcc, 1
	.set _ZN9rocsparseL18bsrxmvn_4x4_kernelILj128ELj8E21rocsparse_complex_numIfEiiS2_S2_S2_EEvT3_20rocsparse_direction_NS_24const_host_device_scalarIT1_EES3_PKS3_PKT2_SC_S9_PKT4_PKT5_S7_PT6_21rocsparse_index_base_b.uses_flat_scratch, 0
	.set _ZN9rocsparseL18bsrxmvn_4x4_kernelILj128ELj8E21rocsparse_complex_numIfEiiS2_S2_S2_EEvT3_20rocsparse_direction_NS_24const_host_device_scalarIT1_EES3_PKS3_PKT2_SC_S9_PKT4_PKT5_S7_PT6_21rocsparse_index_base_b.has_dyn_sized_stack, 0
	.set _ZN9rocsparseL18bsrxmvn_4x4_kernelILj128ELj8E21rocsparse_complex_numIfEiiS2_S2_S2_EEvT3_20rocsparse_direction_NS_24const_host_device_scalarIT1_EES3_PKS3_PKT2_SC_S9_PKT4_PKT5_S7_PT6_21rocsparse_index_base_b.has_recursion, 0
	.set _ZN9rocsparseL18bsrxmvn_4x4_kernelILj128ELj8E21rocsparse_complex_numIfEiiS2_S2_S2_EEvT3_20rocsparse_direction_NS_24const_host_device_scalarIT1_EES3_PKS3_PKT2_SC_S9_PKT4_PKT5_S7_PT6_21rocsparse_index_base_b.has_indirect_call, 0
	.section	.AMDGPU.csdata,"",@progbits
; Kernel info:
; codeLenInByte = 7764
; TotalNumSgprs: 16
; NumVgprs: 152
; ScratchSize: 0
; MemoryBound: 0
; FloatMode: 240
; IeeeMode: 1
; LDSByteSize: 0 bytes/workgroup (compile time only)
; SGPRBlocks: 0
; VGPRBlocks: 18
; NumSGPRsForWavesPerEU: 16
; NumVGPRsForWavesPerEU: 152
; Occupancy: 9
; WaveLimiterHint : 1
; COMPUTE_PGM_RSRC2:SCRATCH_EN: 0
; COMPUTE_PGM_RSRC2:USER_SGPR: 2
; COMPUTE_PGM_RSRC2:TRAP_HANDLER: 0
; COMPUTE_PGM_RSRC2:TGID_X_EN: 1
; COMPUTE_PGM_RSRC2:TGID_Y_EN: 0
; COMPUTE_PGM_RSRC2:TGID_Z_EN: 0
; COMPUTE_PGM_RSRC2:TIDIG_COMP_CNT: 0
	.section	.text._ZN9rocsparseL18bsrxmvn_4x4_kernelILj128ELj16E21rocsparse_complex_numIfEiiS2_S2_S2_EEvT3_20rocsparse_direction_NS_24const_host_device_scalarIT1_EES3_PKS3_PKT2_SC_S9_PKT4_PKT5_S7_PT6_21rocsparse_index_base_b,"axG",@progbits,_ZN9rocsparseL18bsrxmvn_4x4_kernelILj128ELj16E21rocsparse_complex_numIfEiiS2_S2_S2_EEvT3_20rocsparse_direction_NS_24const_host_device_scalarIT1_EES3_PKS3_PKT2_SC_S9_PKT4_PKT5_S7_PT6_21rocsparse_index_base_b,comdat
	.globl	_ZN9rocsparseL18bsrxmvn_4x4_kernelILj128ELj16E21rocsparse_complex_numIfEiiS2_S2_S2_EEvT3_20rocsparse_direction_NS_24const_host_device_scalarIT1_EES3_PKS3_PKT2_SC_S9_PKT4_PKT5_S7_PT6_21rocsparse_index_base_b ; -- Begin function _ZN9rocsparseL18bsrxmvn_4x4_kernelILj128ELj16E21rocsparse_complex_numIfEiiS2_S2_S2_EEvT3_20rocsparse_direction_NS_24const_host_device_scalarIT1_EES3_PKS3_PKT2_SC_S9_PKT4_PKT5_S7_PT6_21rocsparse_index_base_b
	.p2align	8
	.type	_ZN9rocsparseL18bsrxmvn_4x4_kernelILj128ELj16E21rocsparse_complex_numIfEiiS2_S2_S2_EEvT3_20rocsparse_direction_NS_24const_host_device_scalarIT1_EES3_PKS3_PKT2_SC_S9_PKT4_PKT5_S7_PT6_21rocsparse_index_base_b,@function
_ZN9rocsparseL18bsrxmvn_4x4_kernelILj128ELj16E21rocsparse_complex_numIfEiiS2_S2_S2_EEvT3_20rocsparse_direction_NS_24const_host_device_scalarIT1_EES3_PKS3_PKT2_SC_S9_PKT4_PKT5_S7_PT6_21rocsparse_index_base_b: ; @_ZN9rocsparseL18bsrxmvn_4x4_kernelILj128ELj16E21rocsparse_complex_numIfEiiS2_S2_S2_EEvT3_20rocsparse_direction_NS_24const_host_device_scalarIT1_EES3_PKS3_PKT2_SC_S9_PKT4_PKT5_S7_PT6_21rocsparse_index_base_b
; %bb.0:
	s_clause 0x2
	s_load_b64 s[12:13], s[0:1], 0x58
	s_load_b64 s[2:3], s[0:1], 0x8
	;; [unrolled: 1-line block ×3, first 2 shown]
	s_add_nc_u64 s[6:7], s[0:1], 8
	s_wait_kmcnt 0x0
	s_bitcmp1_b32 s13, 0
	s_cselect_b32 s2, s6, s2
	s_cselect_b32 s3, s7, s3
	s_delay_alu instid0(SALU_CYCLE_1)
	v_dual_mov_b32 v1, s2 :: v_dual_mov_b32 v2, s3
	s_add_nc_u64 s[2:3], s[0:1], 0x48
	s_wait_alu 0xfffe
	s_cselect_b32 s2, s2, s4
	s_cselect_b32 s3, s3, s5
	flat_load_b64 v[106:107], v[1:2]
	s_wait_alu 0xfffe
	v_dual_mov_b32 v1, s2 :: v_dual_mov_b32 v2, s3
	flat_load_b64 v[104:105], v[1:2]
	s_wait_loadcnt_dscnt 0x101
	v_cmp_eq_f32_e32 vcc_lo, 0, v106
	v_cmp_eq_f32_e64 s2, 0, v107
	s_and_b32 s4, vcc_lo, s2
	s_mov_b32 s2, -1
	s_and_saveexec_b32 s3, s4
	s_cbranch_execz .LBB12_2
; %bb.1:
	s_wait_loadcnt_dscnt 0x0
	v_cmp_neq_f32_e32 vcc_lo, 1.0, v104
	v_cmp_neq_f32_e64 s2, 0, v105
	s_wait_alu 0xfffe
	s_or_b32 s2, vcc_lo, s2
	s_wait_alu 0xfffe
	s_or_not1_b32 s2, s2, exec_lo
.LBB12_2:
	s_wait_alu 0xfffe
	s_or_b32 exec_lo, exec_lo, s3
	s_and_saveexec_b32 s3, s2
	s_cbranch_execz .LBB12_8
; %bb.3:
	s_clause 0x1
	s_load_b64 s[4:5], s[0:1], 0x18
	s_load_b64 s[2:3], s[0:1], 0x0
	v_lshrrev_b32_e32 v1, 4, v0
	s_delay_alu instid0(VALU_DEP_1)
	v_lshl_or_b32 v108, ttmp9, 3, v1
	s_wait_kmcnt 0x0
	s_cmp_lg_u64 s[4:5], 0
	s_cbranch_scc0 .LBB12_9
; %bb.4:
	s_load_b32 s6, s[0:1], 0x10
	s_mov_b32 s7, 0
                                        ; implicit-def: $vgpr1
	s_wait_kmcnt 0x0
	v_cmp_gt_i32_e32 vcc_lo, s6, v108
	s_mov_b32 s6, 0
	s_and_saveexec_b32 s8, vcc_lo
	s_delay_alu instid0(SALU_CYCLE_1)
	s_xor_b32 s8, exec_lo, s8
	s_cbranch_execz .LBB12_6
; %bb.5:
	v_ashrrev_i32_e32 v109, 31, v108
	s_mov_b32 s6, exec_lo
	s_delay_alu instid0(VALU_DEP_1) | instskip(NEXT) | instid1(VALU_DEP_1)
	v_lshlrev_b64_e32 v[1:2], 2, v[108:109]
	v_add_co_u32 v1, vcc_lo, s4, v1
	s_delay_alu instid0(VALU_DEP_1)
	v_add_co_ci_u32_e64 v2, null, s5, v2, vcc_lo
	global_load_b32 v1, v[1:2], off
	s_wait_loadcnt 0x0
	v_subrev_nc_u32_e32 v1, s12, v1
.LBB12_6:
	s_or_b32 exec_lo, exec_lo, s8
	s_delay_alu instid0(SALU_CYCLE_1)
	s_and_b32 vcc_lo, exec_lo, s7
	s_wait_alu 0xfffe
	s_cbranch_vccz .LBB12_10
.LBB12_7:
	v_cmp_gt_i32_e32 vcc_lo, s2, v108
	s_and_not1_b32 s2, s6, exec_lo
	s_and_b32 s4, vcc_lo, exec_lo
	s_wait_alu 0xfffe
	s_or_b32 s6, s2, s4
	s_wait_alu 0xfffe
	s_and_b32 exec_lo, exec_lo, s6
	s_cbranch_execnz .LBB12_11
.LBB12_8:
	s_nop 0
	s_sendmsg sendmsg(MSG_DEALLOC_VGPRS)
	s_endpgm
.LBB12_9:
	s_mov_b32 s6, 0
                                        ; implicit-def: $vgpr1
	s_cbranch_execnz .LBB12_7
.LBB12_10:
	v_mov_b32_e32 v108, v1
	s_and_b32 exec_lo, exec_lo, s6
	s_cbranch_execz .LBB12_8
.LBB12_11:
	s_load_b256 s[4:11], s[0:1], 0x20
	s_delay_alu instid0(VALU_DEP_1) | instskip(SKIP_1) | instid1(VALU_DEP_2)
	v_ashrrev_i32_e32 v109, 31, v108
	v_and_b32_e32 v117, 15, v0
	v_lshlrev_b64_e32 v[1:2], 2, v[108:109]
	s_wait_kmcnt 0x0
	s_delay_alu instid0(VALU_DEP_1) | instskip(SKIP_1) | instid1(VALU_DEP_2)
	v_add_co_u32 v3, vcc_lo, s4, v1
	s_wait_alu 0xfffd
	v_add_co_ci_u32_e64 v4, null, s5, v2, vcc_lo
	v_add_co_u32 v1, vcc_lo, s6, v1
	s_wait_alu 0xfffd
	v_add_co_ci_u32_e64 v2, null, s7, v2, vcc_lo
	global_load_b32 v127, v[3:4], off
	v_add_co_u32 v3, vcc_lo, v3, 4
	s_wait_alu 0xfffd
	v_add_co_ci_u32_e64 v4, null, 0, v4, vcc_lo
	s_cmp_eq_u64 s[6:7], 0
	s_load_b64 s[4:5], s[0:1], 0x40
	s_cselect_b32 vcc_lo, -1, 0
	s_cmp_eq_u32 s3, 1
	s_wait_alu 0xfffe
	v_dual_cndmask_b32 v2, v2, v4 :: v_dual_cndmask_b32 v1, v1, v3
	global_load_b32 v2, v[1:2], off
	s_wait_loadcnt 0x1
	v_subrev_nc_u32_e32 v0, s12, v127
	s_delay_alu instid0(VALU_DEP_1) | instskip(NEXT) | instid1(VALU_DEP_1)
	v_add_nc_u32_e32 v109, v0, v117
	v_ashrrev_i32_e32 v110, 31, v109
	s_wait_loadcnt 0x0
	v_subrev_nc_u32_e32 v122, s12, v2
	s_delay_alu instid0(VALU_DEP_2) | instskip(NEXT) | instid1(VALU_DEP_2)
	v_lshlrev_b64_e32 v[0:1], 7, v[109:110]
	v_cmp_lt_i32_e64 s2, v109, v122
	s_delay_alu instid0(VALU_DEP_2) | instskip(SKIP_1) | instid1(VALU_DEP_3)
	v_add_co_u32 v111, vcc_lo, s10, v0
	s_wait_alu 0xfffd
	v_add_co_ci_u32_e64 v112, null, s11, v1, vcc_lo
	s_cbranch_scc1 .LBB12_23
; %bb.12:
	v_dual_mov_b32 v118, 0 :: v_dual_mov_b32 v125, 0
	v_dual_mov_b32 v123, 0 :: v_dual_mov_b32 v120, 0
	;; [unrolled: 1-line block ×4, first 2 shown]
	s_and_saveexec_b32 s3, s2
	s_cbranch_execz .LBB12_22
; %bb.13:
	v_dual_mov_b32 v119, 0 :: v_dual_add_nc_u32 v0, v127, v117
	v_not_b32_e32 v1, v127
	v_dual_mov_b32 v114, v112 :: v_dual_mov_b32 v115, v109
	s_delay_alu instid0(VALU_DEP_3) | instskip(SKIP_2) | instid1(VALU_DEP_3)
	v_subrev_nc_u32_e32 v0, s12, v0
	v_dual_mov_b32 v124, 0 :: v_dual_mov_b32 v123, 0
	v_dual_mov_b32 v120, 0 :: v_dual_mov_b32 v125, 0
	v_dual_mov_b32 v121, 0 :: v_dual_add_nc_u32 v0, 16, v0
	v_dual_mov_b32 v118, 0 :: v_dual_mov_b32 v113, v111
	s_mov_b32 s6, exec_lo
	s_delay_alu instid0(VALU_DEP_2) | instskip(NEXT) | instid1(VALU_DEP_1)
	v_max_i32_e32 v0, v0, v122
	v_add3_u32 v0, s12, v0, v1
	s_delay_alu instid0(VALU_DEP_1) | instskip(NEXT) | instid1(VALU_DEP_1)
	v_sub_nc_u32_e32 v0, v0, v117
	v_dual_mov_b32 v126, 0 :: v_dual_and_b32 v1, 48, v0
	s_delay_alu instid0(VALU_DEP_1)
	v_cmpx_ne_u32_e32 48, v1
	s_cbranch_execz .LBB12_17
; %bb.14:
	v_lshrrev_b32_e32 v1, 4, v0
	v_dual_mov_b32 v118, 0 :: v_dual_mov_b32 v115, v109
	v_dual_mov_b32 v114, v112 :: v_dual_mov_b32 v113, v111
	s_delay_alu instid0(VALU_DEP_3) | instskip(SKIP_2) | instid1(VALU_DEP_3)
	v_dual_mov_b32 v120, 0 :: v_dual_add_nc_u32 v1, 1, v1
	v_dual_mov_b32 v125, 0 :: v_dual_mov_b32 v124, 0
	v_dual_mov_b32 v123, 0 :: v_dual_mov_b32 v126, 0
	v_and_b32_e32 v1, 3, v1
	v_mov_b32_e32 v121, 0
	v_mov_b32_e32 v119, 0
	s_mov_b32 s7, 0
	s_delay_alu instid0(VALU_DEP_3)
	v_sub_nc_u32_e32 v1, 0, v1
.LBB12_15:                              ; =>This Inner Loop Header: Depth=1
	v_ashrrev_i32_e32 v116, 31, v115
	s_delay_alu instid0(VALU_DEP_2) | instskip(SKIP_2) | instid1(VALU_DEP_2)
	v_add_co_u32 v1, s10, v1, 1
	s_wait_alu 0xfffe
	s_or_b32 s7, s10, s7
	v_lshlrev_b64_e32 v[2:3], 2, v[115:116]
	s_delay_alu instid0(VALU_DEP_1) | instskip(SKIP_1) | instid1(VALU_DEP_2)
	v_add_co_u32 v2, vcc_lo, s8, v2
	s_wait_alu 0xfffd
	v_add_co_ci_u32_e64 v3, null, s9, v3, vcc_lo
	global_load_b32 v34, v[2:3], off
	s_clause 0x7
	global_load_b128 v[2:5], v[113:114], off offset:48
	global_load_b128 v[6:9], v[113:114], off offset:32
	;; [unrolled: 1-line block ×3, first 2 shown]
	global_load_b128 v[14:17], v[113:114], off
	global_load_b128 v[18:21], v[113:114], off offset:112
	global_load_b128 v[22:25], v[113:114], off offset:96
	;; [unrolled: 1-line block ×4, first 2 shown]
	s_wait_loadcnt 0x8
	v_subrev_nc_u32_e32 v34, s12, v34
	s_delay_alu instid0(VALU_DEP_1) | instskip(NEXT) | instid1(VALU_DEP_1)
	v_lshlrev_b32_e32 v34, 2, v34
	v_ashrrev_i32_e32 v35, 31, v34
	s_delay_alu instid0(VALU_DEP_1) | instskip(SKIP_1) | instid1(VALU_DEP_1)
	v_lshlrev_b64_e32 v[34:35], 3, v[34:35]
	s_wait_kmcnt 0x0
	v_add_co_u32 v38, vcc_lo, s4, v34
	s_wait_alu 0xfffd
	s_delay_alu instid0(VALU_DEP_2)
	v_add_co_ci_u32_e64 v39, null, s5, v35, vcc_lo
	v_add_co_u32 v113, vcc_lo, 0x800, v113
	s_wait_alu 0xfffd
	v_add_co_ci_u32_e64 v114, null, 0, v114, vcc_lo
	s_clause 0x1
	global_load_b128 v[34:37], v[38:39], off
	global_load_b128 v[38:41], v[38:39], off offset:16
	s_wait_loadcnt 0x1
	v_dual_fmac_f32 v118, v15, v34 :: v_dual_add_nc_u32 v115, 16, v115
	v_fmac_f32_e32 v119, v7, v34
	v_fmac_f32_e32 v120, v23, v34
	s_delay_alu instid0(VALU_DEP_3) | instskip(SKIP_1) | instid1(VALU_DEP_4)
	v_dual_fmac_f32 v121, v31, v34 :: v_dual_fmac_f32 v118, v14, v35
	v_fmac_f32_e32 v125, v14, v34
	v_fmac_f32_e32 v119, v6, v35
	s_delay_alu instid0(VALU_DEP_4) | instskip(NEXT) | instid1(VALU_DEP_4)
	v_fmac_f32_e32 v120, v22, v35
	v_dual_fmac_f32 v121, v30, v35 :: v_dual_fmac_f32 v118, v17, v36
	s_delay_alu instid0(VALU_DEP_4) | instskip(NEXT) | instid1(VALU_DEP_4)
	v_fma_f32 v15, -v15, v35, v125
	v_dual_fmac_f32 v126, v6, v34 :: v_dual_fmac_f32 v119, v9, v36
	s_delay_alu instid0(VALU_DEP_3) | instskip(NEXT) | instid1(VALU_DEP_3)
	v_fmac_f32_e32 v118, v16, v37
	v_fmac_f32_e32 v15, v16, v36
	s_delay_alu instid0(VALU_DEP_3) | instskip(SKIP_3) | instid1(VALU_DEP_4)
	v_fma_f32 v7, -v7, v35, v126
	v_fmac_f32_e32 v124, v30, v34
	v_dual_fmac_f32 v120, v25, v36 :: v_dual_fmac_f32 v119, v8, v37
	v_fmac_f32_e32 v121, v33, v36
	v_fmac_f32_e32 v7, v8, v36
	s_delay_alu instid0(VALU_DEP_4)
	v_fma_f32 v6, -v31, v35, v124
	v_fmac_f32_e32 v123, v22, v34
	v_fma_f32 v15, -v17, v37, v15
	v_fmac_f32_e32 v120, v24, v37
	;; [unrolled: 2-line block ×3, first 2 shown]
	v_fma_f32 v14, -v23, v35, v123
	s_wait_loadcnt 0x0
	v_dual_fmac_f32 v121, v32, v37 :: v_dual_fmac_f32 v118, v11, v38
	v_fmac_f32_e32 v15, v10, v38
	v_fma_f32 v6, -v33, v37, v6
	v_dual_fmac_f32 v14, v24, v36 :: v_dual_fmac_f32 v119, v3, v38
	s_delay_alu instid0(VALU_DEP_4) | instskip(SKIP_2) | instid1(VALU_DEP_4)
	v_fmac_f32_e32 v118, v10, v39
	v_fmac_f32_e32 v7, v2, v38
	;; [unrolled: 1-line block ×3, first 2 shown]
	v_fma_f32 v8, -v25, v37, v14
	v_fma_f32 v9, -v11, v39, v15
	v_fmac_f32_e32 v6, v26, v38
	v_fmac_f32_e32 v119, v2, v39
	v_dual_fmac_f32 v121, v27, v38 :: v_dual_fmac_f32 v120, v18, v39
	v_fmac_f32_e32 v118, v13, v40
	v_fma_f32 v3, -v3, v39, v7
	v_dual_fmac_f32 v8, v18, v38 :: v_dual_fmac_f32 v9, v12, v40
	v_fma_f32 v2, -v27, v39, v6
	v_fmac_f32_e32 v121, v26, v39
	s_delay_alu instid0(VALU_DEP_4) | instskip(NEXT) | instid1(VALU_DEP_4)
	v_fmac_f32_e32 v3, v4, v40
	v_fma_f32 v6, -v19, v39, v8
	v_dual_fmac_f32 v119, v5, v40 :: v_dual_fmac_f32 v118, v12, v41
	v_fmac_f32_e32 v2, v28, v40
	v_fmac_f32_e32 v120, v21, v40
	s_delay_alu instid0(VALU_DEP_4) | instskip(NEXT) | instid1(VALU_DEP_4)
	v_fmac_f32_e32 v6, v20, v40
	v_fmac_f32_e32 v119, v4, v41
	;; [unrolled: 1-line block ×3, first 2 shown]
	v_fma_f32 v125, -v13, v41, v9
	v_fma_f32 v126, -v5, v41, v3
	v_fma_f32 v124, -v29, v41, v2
	v_fma_f32 v123, -v21, v41, v6
	v_fmac_f32_e32 v120, v20, v41
	v_fmac_f32_e32 v121, v28, v41
	s_wait_alu 0xfffe
	s_and_not1_b32 exec_lo, exec_lo, s7
	s_cbranch_execnz .LBB12_15
; %bb.16:
	s_or_b32 exec_lo, exec_lo, s7
.LBB12_17:
	s_wait_alu 0xfffe
	s_or_b32 exec_lo, exec_lo, s6
	s_delay_alu instid0(SALU_CYCLE_1)
	s_mov_b32 s6, exec_lo
	v_cmpx_lt_u32_e32 47, v0
	s_cbranch_execz .LBB12_21
; %bb.18:
	s_mov_b32 s7, 0
.LBB12_19:                              ; =>This Inner Loop Header: Depth=1
	v_ashrrev_i32_e32 v116, 31, v115
	s_clause 0x1c
	global_load_b128 v[0:3], v[113:114], off offset:48
	global_load_b128 v[72:75], v[113:114], off offset:32
	;; [unrolled: 1-line block ×3, first 2 shown]
	global_load_b128 v[80:83], v[113:114], off
	global_load_b128 v[12:15], v[113:114], off offset:112
	global_load_b128 v[32:35], v[113:114], off offset:96
	;; [unrolled: 1-line block ×25, first 2 shown]
	v_lshlrev_b64_e32 v[140:141], 2, v[115:116]
	s_delay_alu instid0(VALU_DEP_1) | instskip(SKIP_1) | instid1(VALU_DEP_2)
	v_add_co_u32 v140, vcc_lo, s8, v140
	s_wait_alu 0xfffd
	v_add_co_ci_u32_e64 v141, null, s9, v141, vcc_lo
	s_clause 0x3
	global_load_b32 v110, v[140:141], off
	global_load_b32 v116, v[140:141], off offset:64
	global_load_b32 v148, v[140:141], off offset:128
	;; [unrolled: 1-line block ×3, first 2 shown]
	s_wait_loadcnt 0x3
	v_subrev_nc_u32_e32 v110, s12, v110
	s_wait_loadcnt 0x2
	v_subrev_nc_u32_e32 v116, s12, v116
	s_delay_alu instid0(VALU_DEP_2) | instskip(NEXT) | instid1(VALU_DEP_1)
	v_lshlrev_b32_e32 v140, 2, v110
	v_ashrrev_i32_e32 v141, 31, v140
	s_delay_alu instid0(VALU_DEP_1) | instskip(SKIP_1) | instid1(VALU_DEP_1)
	v_lshlrev_b64_e32 v[140:141], 3, v[140:141]
	s_wait_kmcnt 0x0
	v_add_co_u32 v144, vcc_lo, s4, v140
	s_wait_alu 0xfffd
	s_delay_alu instid0(VALU_DEP_2)
	v_add_co_ci_u32_e64 v145, null, s5, v141, vcc_lo
	s_clause 0x1
	global_load_b128 v[140:143], v[144:145], off
	global_load_b128 v[144:147], v[144:145], off offset:16
	s_wait_loadcnt 0x1
	v_fmac_f32_e32 v118, v81, v140
	v_fmac_f32_e32 v120, v33, v140
	;; [unrolled: 1-line block ×7, first 2 shown]
	v_fma_f32 v73, -v73, v141, v126
	s_delay_alu instid0(VALU_DEP_3) | instskip(NEXT) | instid1(VALU_DEP_3)
	v_dual_fmac_f32 v119, v72, v141 :: v_dual_fmac_f32 v118, v83, v142
	v_fma_f32 v81, -v81, v141, v125
	v_subrev_nc_u32_e32 v125, s12, v149
	s_delay_alu instid0(VALU_DEP_3) | instskip(SKIP_3) | instid1(VALU_DEP_4)
	v_fmac_f32_e32 v119, v75, v142
	v_fmac_f32_e32 v73, v74, v142
	;; [unrolled: 1-line block ×5, first 2 shown]
	s_delay_alu instid0(VALU_DEP_4)
	v_fma_f32 v150, -v75, v143, v73
	s_wait_loadcnt 0x0
	v_fmac_f32_e32 v118, v5, v144
	v_fma_f32 v110, -v83, v143, v81
	s_clause 0x1
	global_load_b128 v[80:83], v[113:114], off offset:6240
	global_load_b128 v[72:75], v[113:114], off offset:6208
	v_fmac_f32_e32 v150, v0, v144
	v_dual_fmac_f32 v118, v4, v145 :: v_dual_fmac_f32 v119, v1, v144
	v_fmac_f32_e32 v123, v32, v140
	v_fmac_f32_e32 v110, v4, v144
	s_delay_alu instid0(VALU_DEP_4) | instskip(NEXT) | instid1(VALU_DEP_4)
	v_fma_f32 v1, -v1, v145, v150
	v_dual_fmac_f32 v118, v7, v146 :: v_dual_fmac_f32 v119, v0, v145
	s_delay_alu instid0(VALU_DEP_4) | instskip(SKIP_2) | instid1(VALU_DEP_4)
	v_fma_f32 v33, -v33, v141, v123
	v_lshlrev_b32_e32 v123, 2, v125
	v_fma_f32 v5, -v5, v145, v110
	v_fmac_f32_e32 v118, v6, v147
	v_fmac_f32_e32 v1, v2, v146
	;; [unrolled: 1-line block ×3, first 2 shown]
	v_dual_fmac_f32 v121, v89, v140 :: v_dual_fmac_f32 v120, v32, v141
	v_fma_f32 v89, -v89, v141, v124
	v_subrev_nc_u32_e32 v124, s12, v148
	s_delay_alu instid0(VALU_DEP_3) | instskip(NEXT) | instid1(VALU_DEP_4)
	v_dual_fmac_f32 v121, v88, v141 :: v_dual_lshlrev_b32 v32, 2, v116
	v_fmac_f32_e32 v120, v35, v142
	s_delay_alu instid0(VALU_DEP_4) | instskip(SKIP_1) | instid1(VALU_DEP_4)
	v_fmac_f32_e32 v89, v90, v142
	v_fma_f32 v148, -v35, v143, v33
	v_ashrrev_i32_e32 v33, 31, v32
	s_delay_alu instid0(VALU_DEP_4) | instskip(SKIP_1) | instid1(VALU_DEP_3)
	v_dual_fmac_f32 v121, v91, v142 :: v_dual_fmac_f32 v120, v34, v143
	v_dual_fmac_f32 v5, v6, v146 :: v_dual_lshlrev_b32 v34, 2, v124
	v_lshlrev_b64_e32 v[32:33], 3, v[32:33]
	s_delay_alu instid0(VALU_DEP_3) | instskip(SKIP_1) | instid1(VALU_DEP_4)
	v_fmac_f32_e32 v121, v90, v143
	v_ashrrev_i32_e32 v124, 31, v123
	v_ashrrev_i32_e32 v35, 31, v34
	v_fma_f32 v110, -v7, v147, v5
	v_dual_fmac_f32 v119, v3, v146 :: v_dual_fmac_f32 v148, v12, v144
	v_add_co_u32 v125, vcc_lo, s4, v32
	s_delay_alu instid0(VALU_DEP_4)
	v_lshlrev_b64_e32 v[34:35], 3, v[34:35]
	s_wait_alu 0xfffd
	v_add_co_ci_u32_e64 v126, null, s5, v33, vcc_lo
	v_lshlrev_b64_e32 v[123:124], 3, v[123:124]
	v_fma_f32 v151, -v91, v143, v89
	global_load_b128 v[88:91], v[113:114], off offset:6224
	v_add_co_u32 v140, vcc_lo, s4, v34
	s_wait_alu 0xfffd
	v_add_co_ci_u32_e64 v141, null, s5, v35, vcc_lo
	s_clause 0x1
	global_load_b128 v[32:35], v[125:126], off
	global_load_b128 v[4:7], v[125:126], off offset:16
	v_add_co_u32 v142, vcc_lo, s4, v123
	s_wait_alu 0xfffd
	v_add_co_ci_u32_e64 v143, null, s5, v124, vcc_lo
	v_fma_f32 v116, -v3, v147, v1
	v_dual_fmac_f32 v119, v2, v147 :: v_dual_fmac_f32 v120, v13, v144
	s_clause 0x1
	global_load_b128 v[0:3], v[140:141], off
	global_load_b128 v[123:126], v[140:141], off offset:16
	v_fmac_f32_e32 v121, v21, v144
	v_fma_f32 v13, -v13, v145, v148
	v_add_co_u32 v113, vcc_lo, 0x2000, v113
	v_fmac_f32_e32 v120, v12, v145
	v_fmac_f32_e32 v151, v20, v144
	s_wait_alu 0xfffd
	v_add_co_ci_u32_e64 v114, null, 0, v114, vcc_lo
	s_delay_alu instid0(VALU_DEP_3) | instskip(NEXT) | instid1(VALU_DEP_3)
	v_fmac_f32_e32 v120, v15, v146
	v_fma_f32 v21, -v21, v145, v151
	s_delay_alu instid0(VALU_DEP_2) | instskip(NEXT) | instid1(VALU_DEP_2)
	v_dual_fmac_f32 v121, v20, v145 :: v_dual_fmac_f32 v120, v14, v147
	v_fmac_f32_e32 v21, v22, v146
	s_delay_alu instid0(VALU_DEP_2) | instskip(SKIP_1) | instid1(VALU_DEP_3)
	v_fmac_f32_e32 v121, v23, v146
	s_wait_loadcnt 0x3
	v_dual_fmac_f32 v120, v53, v32 :: v_dual_add_nc_u32 v115, 64, v115
	v_fmac_f32_e32 v110, v28, v32
	v_fma_f32 v140, -v23, v147, v21
	v_dual_fmac_f32 v118, v29, v32 :: v_dual_fmac_f32 v121, v22, v147
	v_fmac_f32_e32 v116, v24, v32
	global_load_b128 v[20:23], v[142:143], off
	v_dual_fmac_f32 v13, v14, v146 :: v_dual_fmac_f32 v140, v60, v32
	v_dual_fmac_f32 v119, v25, v32 :: v_dual_fmac_f32 v118, v28, v33
	;; [unrolled: 1-line block ×3, first 2 shown]
	s_delay_alu instid0(VALU_DEP_3)
	v_fma_f32 v141, -v15, v147, v13
	global_load_b128 v[12:15], v[142:143], off offset:16
	v_fma_f32 v29, -v29, v33, v110
	v_fmac_f32_e32 v119, v24, v33
	v_fma_f32 v24, -v61, v33, v140
	v_dual_fmac_f32 v141, v52, v32 :: v_dual_fmac_f32 v118, v31, v34
	v_fma_f32 v25, -v25, v33, v116
	v_cmp_ge_i32_e32 vcc_lo, v115, v122
	s_delay_alu instid0(VALU_DEP_4) | instskip(NEXT) | instid1(VALU_DEP_4)
	v_fmac_f32_e32 v24, v62, v34
	v_fma_f32 v28, -v53, v33, v141
	v_fmac_f32_e32 v121, v60, v33
	v_dual_fmac_f32 v119, v27, v34 :: v_dual_fmac_f32 v118, v30, v35
	v_fmac_f32_e32 v29, v30, v34
	s_delay_alu instid0(VALU_DEP_4) | instskip(NEXT) | instid1(VALU_DEP_3)
	v_fmac_f32_e32 v28, v54, v34
	v_dual_fmac_f32 v120, v55, v34 :: v_dual_fmac_f32 v119, v26, v35
	v_fmac_f32_e32 v121, v63, v34
	v_fma_f32 v24, -v63, v35, v24
	s_wait_loadcnt 0x4
	v_dual_fmac_f32 v25, v26, v34 :: v_dual_fmac_f32 v118, v17, v4
	v_fma_f32 v29, -v31, v35, v29
	v_fma_f32 v26, -v55, v35, v28
	v_fmac_f32_e32 v120, v54, v35
	v_fmac_f32_e32 v121, v62, v35
	v_dual_fmac_f32 v119, v9, v4 :: v_dual_fmac_f32 v118, v16, v5
	v_fmac_f32_e32 v29, v16, v4
	v_fmac_f32_e32 v24, v44, v4
	v_fma_f32 v25, -v27, v35, v25
	v_fmac_f32_e32 v26, v36, v4
	v_dual_fmac_f32 v120, v37, v4 :: v_dual_fmac_f32 v119, v8, v5
	v_fmac_f32_e32 v121, v45, v4
	s_delay_alu instid0(VALU_DEP_4) | instskip(SKIP_3) | instid1(VALU_DEP_4)
	v_dual_fmac_f32 v25, v8, v4 :: v_dual_fmac_f32 v118, v19, v6
	v_fma_f32 v4, -v17, v5, v29
	v_fma_f32 v8, -v45, v5, v24
	v_fmac_f32_e32 v120, v36, v5
	v_fma_f32 v9, -v9, v5, v25
	s_delay_alu instid0(VALU_DEP_4) | instskip(SKIP_3) | instid1(VALU_DEP_3)
	v_dual_fmac_f32 v121, v44, v5 :: v_dual_fmac_f32 v4, v18, v6
	v_dual_fmac_f32 v119, v11, v6 :: v_dual_fmac_f32 v118, v18, v7
	v_fma_f32 v16, -v37, v5, v26
	v_fmac_f32_e32 v8, v46, v6
	v_dual_fmac_f32 v120, v39, v6 :: v_dual_fmac_f32 v119, v10, v7
	v_fmac_f32_e32 v121, v47, v6
	v_fma_f32 v4, -v19, v7, v4
	v_fmac_f32_e32 v9, v10, v6
	s_delay_alu instid0(VALU_DEP_4)
	v_fmac_f32_e32 v120, v38, v7
	s_wait_loadcnt 0x3
	v_dual_fmac_f32 v118, v65, v0 :: v_dual_fmac_f32 v121, v46, v7
	v_fmac_f32_e32 v4, v64, v0
	v_fma_f32 v5, -v11, v7, v9
	v_fmac_f32_e32 v16, v38, v6
	v_fma_f32 v6, -v47, v7, v8
	v_dual_fmac_f32 v119, v57, v0 :: v_dual_fmac_f32 v118, v64, v1
	s_delay_alu instid0(VALU_DEP_4) | instskip(NEXT) | instid1(VALU_DEP_4)
	v_fmac_f32_e32 v5, v56, v0
	v_fma_f32 v8, -v39, v7, v16
	s_delay_alu instid0(VALU_DEP_3) | instskip(SKIP_2) | instid1(VALU_DEP_4)
	v_dual_fmac_f32 v120, v77, v0 :: v_dual_fmac_f32 v119, v56, v1
	v_fmac_f32_e32 v6, v128, v0
	v_fmac_f32_e32 v121, v129, v0
	;; [unrolled: 1-line block ×3, first 2 shown]
	v_fma_f32 v0, -v65, v1, v4
	v_fma_f32 v4, -v57, v1, v5
	v_fmac_f32_e32 v120, v76, v1
	v_fmac_f32_e32 v121, v128, v1
	;; [unrolled: 1-line block ×3, first 2 shown]
	v_fma_f32 v5, -v129, v1, v6
	v_fmac_f32_e32 v0, v66, v2
	v_fmac_f32_e32 v118, v67, v2
	;; [unrolled: 1-line block ×5, first 2 shown]
	v_fma_f32 v6, -v77, v1, v8
	v_dual_fmac_f32 v121, v131, v2 :: v_dual_fmac_f32 v118, v66, v3
	v_fmac_f32_e32 v120, v79, v2
	v_fma_f32 v1, -v59, v3, v4
	s_wait_loadcnt 0x2
	v_dual_fmac_f32 v6, v78, v2 :: v_dual_fmac_f32 v119, v41, v123
	v_fmac_f32_e32 v121, v130, v3
	v_fma_f32 v0, -v67, v3, v0
	v_fma_f32 v2, -v131, v3, v5
	s_delay_alu instid0(VALU_DEP_4) | instskip(SKIP_4) | instid1(VALU_DEP_4)
	v_fma_f32 v4, -v79, v3, v6
	v_dual_fmac_f32 v120, v78, v3 :: v_dual_fmac_f32 v119, v40, v124
	v_fmac_f32_e32 v121, v97, v123
	v_fmac_f32_e32 v118, v49, v123
	;; [unrolled: 1-line block ×3, first 2 shown]
	v_dual_fmac_f32 v2, v96, v123 :: v_dual_fmac_f32 v119, v43, v125
	s_delay_alu instid0(VALU_DEP_4) | instskip(SKIP_1) | instid1(VALU_DEP_4)
	v_fmac_f32_e32 v121, v96, v124
	v_fmac_f32_e32 v4, v68, v123
	v_fma_f32 v1, -v41, v124, v1
	v_fmac_f32_e32 v0, v48, v123
	s_delay_alu instid0(VALU_DEP_4) | instskip(NEXT) | instid1(VALU_DEP_4)
	v_dual_fmac_f32 v118, v48, v124 :: v_dual_fmac_f32 v121, v99, v125
	v_fma_f32 v3, -v69, v124, v4
	v_fmac_f32_e32 v120, v69, v123
	v_fma_f32 v2, -v97, v124, v2
	v_fmac_f32_e32 v1, v42, v125
	v_fma_f32 v0, -v49, v124, v0
	s_delay_alu instid0(VALU_DEP_4) | instskip(SKIP_3) | instid1(VALU_DEP_4)
	v_dual_fmac_f32 v3, v70, v125 :: v_dual_fmac_f32 v120, v68, v124
	v_dual_fmac_f32 v119, v42, v126 :: v_dual_fmac_f32 v118, v51, v125
	v_fmac_f32_e32 v121, v98, v126
	v_fmac_f32_e32 v2, v98, v125
	;; [unrolled: 1-line block ×3, first 2 shown]
	v_fma_f32 v1, -v43, v126, v1
	v_fmac_f32_e32 v0, v50, v125
	v_fma_f32 v3, -v71, v126, v3
	v_fmac_f32_e32 v118, v50, v126
	s_wait_alu 0xfffe
	s_or_b32 s7, vcc_lo, s7
	s_wait_loadcnt 0x1
	v_fmac_f32_e32 v1, v100, v20
	v_fma_f32 v0, -v51, v126, v0
	v_fmac_f32_e32 v119, v101, v20
	v_fma_f32 v2, -v99, v126, v2
	v_dual_fmac_f32 v121, v73, v20 :: v_dual_fmac_f32 v120, v70, v126
	v_fmac_f32_e32 v3, v80, v20
	v_fmac_f32_e32 v118, v133, v20
	v_fma_f32 v1, -v101, v21, v1
	v_fmac_f32_e32 v0, v132, v20
	v_fmac_f32_e32 v119, v100, v21
	;; [unrolled: 1-line block ×3, first 2 shown]
	v_dual_fmac_f32 v121, v72, v21 :: v_dual_fmac_f32 v120, v81, v20
	v_fma_f32 v3, -v81, v21, v3
	v_dual_fmac_f32 v118, v132, v21 :: v_dual_fmac_f32 v1, v102, v22
	v_fma_f32 v0, -v133, v21, v0
	v_fmac_f32_e32 v119, v103, v22
	v_fma_f32 v2, -v73, v21, v2
	v_dual_fmac_f32 v121, v75, v22 :: v_dual_fmac_f32 v120, v80, v21
	v_fmac_f32_e32 v3, v82, v22
	v_fmac_f32_e32 v118, v135, v22
	v_fma_f32 v1, -v103, v23, v1
	v_fmac_f32_e32 v0, v134, v22
	v_fmac_f32_e32 v119, v102, v23
	;; [unrolled: 1-line block ×3, first 2 shown]
	v_dual_fmac_f32 v121, v74, v23 :: v_dual_fmac_f32 v120, v83, v22
	v_fma_f32 v3, -v83, v23, v3
	s_wait_loadcnt 0x0
	v_dual_fmac_f32 v118, v134, v23 :: v_dual_fmac_f32 v1, v84, v12
	v_fma_f32 v0, -v135, v23, v0
	v_fmac_f32_e32 v119, v85, v12
	v_fma_f32 v2, -v75, v23, v2
	v_dual_fmac_f32 v121, v89, v12 :: v_dual_fmac_f32 v120, v82, v23
	v_fmac_f32_e32 v3, v136, v12
	v_fmac_f32_e32 v118, v93, v12
	v_fma_f32 v1, -v85, v13, v1
	v_fmac_f32_e32 v0, v92, v12
	v_fmac_f32_e32 v119, v84, v13
	;; [unrolled: 1-line block ×3, first 2 shown]
	v_dual_fmac_f32 v121, v88, v13 :: v_dual_fmac_f32 v120, v137, v12
	v_fma_f32 v3, -v137, v13, v3
	v_dual_fmac_f32 v118, v92, v13 :: v_dual_fmac_f32 v1, v86, v14
	v_fma_f32 v0, -v93, v13, v0
	v_fmac_f32_e32 v119, v87, v14
	v_fma_f32 v2, -v89, v13, v2
	v_dual_fmac_f32 v121, v91, v14 :: v_dual_fmac_f32 v120, v136, v13
	s_delay_alu instid0(VALU_DEP_4) | instskip(SKIP_1) | instid1(VALU_DEP_3)
	v_fmac_f32_e32 v0, v94, v14
	v_fmac_f32_e32 v3, v138, v14
	v_dual_fmac_f32 v118, v95, v14 :: v_dual_fmac_f32 v121, v90, v15
	v_fmac_f32_e32 v2, v90, v14
	v_dual_fmac_f32 v119, v86, v15 :: v_dual_fmac_f32 v120, v139, v14
	v_fma_f32 v125, -v95, v15, v0
	s_delay_alu instid0(VALU_DEP_4)
	v_fmac_f32_e32 v118, v94, v15
	v_fma_f32 v126, -v87, v15, v1
	v_fma_f32 v124, -v91, v15, v2
	;; [unrolled: 1-line block ×3, first 2 shown]
	v_fmac_f32_e32 v120, v138, v15
	s_wait_alu 0xfffe
	s_and_not1_b32 exec_lo, exec_lo, s7
	s_cbranch_execnz .LBB12_19
; %bb.20:
	s_or_b32 exec_lo, exec_lo, s7
.LBB12_21:
	s_wait_alu 0xfffe
	s_or_b32 exec_lo, exec_lo, s6
.LBB12_22:
	s_wait_alu 0xfffe
	s_or_b32 exec_lo, exec_lo, s3
	s_cbranch_execz .LBB12_24
	s_branch .LBB12_35
.LBB12_23:
                                        ; implicit-def: $vgpr118
                                        ; implicit-def: $vgpr125
                                        ; implicit-def: $vgpr123
                                        ; implicit-def: $vgpr120
                                        ; implicit-def: $vgpr124
                                        ; implicit-def: $vgpr121
                                        ; implicit-def: $vgpr126
                                        ; implicit-def: $vgpr119
.LBB12_24:
	v_dual_mov_b32 v118, 0 :: v_dual_mov_b32 v125, 0
	v_dual_mov_b32 v123, 0 :: v_dual_mov_b32 v120, 0
	;; [unrolled: 1-line block ×4, first 2 shown]
	s_and_saveexec_b32 s3, s2
	s_cbranch_execz .LBB12_34
; %bb.25:
	v_dual_mov_b32 v119, 0 :: v_dual_add_nc_u32 v0, v127, v117
	v_not_b32_e32 v1, v127
	v_dual_mov_b32 v124, 0 :: v_dual_mov_b32 v123, 0
	s_delay_alu instid0(VALU_DEP_3) | instskip(SKIP_3) | instid1(VALU_DEP_3)
	v_subrev_nc_u32_e32 v0, s12, v0
	v_dual_mov_b32 v120, 0 :: v_dual_mov_b32 v125, 0
	v_mov_b32_e32 v118, 0
	s_mov_b32 s2, exec_lo
	v_dual_mov_b32 v121, 0 :: v_dual_add_nc_u32 v0, 16, v0
	s_delay_alu instid0(VALU_DEP_1) | instskip(NEXT) | instid1(VALU_DEP_1)
	v_max_i32_e32 v0, v0, v122
	v_add3_u32 v0, s12, v0, v1
	s_delay_alu instid0(VALU_DEP_1) | instskip(NEXT) | instid1(VALU_DEP_1)
	v_sub_nc_u32_e32 v0, v0, v117
	v_dual_mov_b32 v126, 0 :: v_dual_and_b32 v1, 48, v0
	s_delay_alu instid0(VALU_DEP_1)
	v_cmpx_ne_u32_e32 48, v1
	s_cbranch_execz .LBB12_29
; %bb.26:
	v_lshrrev_b32_e32 v1, 4, v0
	v_dual_mov_b32 v125, 0 :: v_dual_mov_b32 v120, 0
	v_dual_mov_b32 v123, 0 :: v_dual_mov_b32 v124, 0
	s_delay_alu instid0(VALU_DEP_3) | instskip(SKIP_3) | instid1(VALU_DEP_3)
	v_dual_mov_b32 v118, 0 :: v_dual_add_nc_u32 v1, 1, v1
	v_mov_b32_e32 v121, 0
	v_mov_b32_e32 v119, 0
	s_mov_b32 s6, 0
	v_dual_mov_b32 v126, 0 :: v_dual_and_b32 v1, 3, v1
	s_delay_alu instid0(VALU_DEP_1)
	v_sub_nc_u32_e32 v1, 0, v1
.LBB12_27:                              ; =>This Inner Loop Header: Depth=1
	v_ashrrev_i32_e32 v110, 31, v109
	s_delay_alu instid0(VALU_DEP_2) | instskip(SKIP_2) | instid1(VALU_DEP_2)
	v_add_co_u32 v1, s7, v1, 1
	s_wait_alu 0xfffe
	s_or_b32 s6, s7, s6
	v_lshlrev_b64_e32 v[2:3], 2, v[109:110]
	s_delay_alu instid0(VALU_DEP_1) | instskip(SKIP_1) | instid1(VALU_DEP_2)
	v_add_co_u32 v2, vcc_lo, s8, v2
	s_wait_alu 0xfffd
	v_add_co_ci_u32_e64 v3, null, s9, v3, vcc_lo
	global_load_b32 v14, v[2:3], off
	s_clause 0x2
	global_load_b128 v[2:5], v[111:112], off offset:32
	global_load_b128 v[6:9], v[111:112], off offset:16
	global_load_b128 v[10:13], v[111:112], off
	s_wait_loadcnt 0x3
	v_subrev_nc_u32_e32 v14, s12, v14
	s_delay_alu instid0(VALU_DEP_1) | instskip(NEXT) | instid1(VALU_DEP_1)
	v_lshlrev_b32_e32 v14, 2, v14
	v_ashrrev_i32_e32 v15, 31, v14
	s_delay_alu instid0(VALU_DEP_1) | instskip(SKIP_1) | instid1(VALU_DEP_1)
	v_lshlrev_b64_e32 v[14:15], 3, v[14:15]
	s_wait_kmcnt 0x0
	v_add_co_u32 v18, vcc_lo, s4, v14
	s_wait_alu 0xfffd
	s_delay_alu instid0(VALU_DEP_2)
	v_add_co_ci_u32_e64 v19, null, s5, v15, vcc_lo
	s_clause 0x1
	global_load_b128 v[14:17], v[18:19], off
	global_load_b128 v[18:21], v[18:19], off offset:16
	s_clause 0x4
	global_load_b128 v[22:25], v[111:112], off offset:48
	global_load_b128 v[26:29], v[111:112], off offset:64
	;; [unrolled: 1-line block ×5, first 2 shown]
	v_add_nc_u32_e32 v109, 16, v109
	v_add_co_u32 v111, vcc_lo, 0x800, v111
	s_wait_alu 0xfffd
	v_add_co_ci_u32_e64 v112, null, 0, v112, vcc_lo
	s_wait_loadcnt 0x6
	v_fmac_f32_e32 v118, v11, v14
	v_fmac_f32_e32 v119, v13, v14
	;; [unrolled: 1-line block ×6, first 2 shown]
	v_dual_fmac_f32 v118, v10, v15 :: v_dual_fmac_f32 v123, v8, v14
	v_dual_fmac_f32 v119, v12, v15 :: v_dual_fmac_f32 v124, v6, v14
	v_fmac_f32_e32 v121, v6, v15
	v_fma_f32 v10, -v13, v15, v126
	v_fmac_f32_e32 v120, v8, v15
	v_fma_f32 v11, -v11, v15, v125
	;; [unrolled: 2-line block ×4, first 2 shown]
	v_fmac_f32_e32 v11, v2, v16
	v_fmac_f32_e32 v10, v4, v16
	s_wait_loadcnt 0x4
	v_dual_fmac_f32 v121, v23, v16 :: v_dual_fmac_f32 v118, v2, v17
	v_fmac_f32_e32 v6, v24, v16
	v_dual_fmac_f32 v120, v25, v16 :: v_dual_fmac_f32 v119, v4, v17
	v_fmac_f32_e32 v7, v22, v16
	v_fma_f32 v3, -v3, v17, v11
	v_fma_f32 v2, -v5, v17, v10
	v_fmac_f32_e32 v121, v22, v17
	v_fma_f32 v5, -v25, v17, v6
	v_fmac_f32_e32 v120, v24, v17
	v_fma_f32 v4, -v23, v17, v7
	s_wait_loadcnt 0x3
	v_fmac_f32_e32 v119, v29, v18
	v_fmac_f32_e32 v118, v27, v18
	s_wait_loadcnt 0x2
	v_fmac_f32_e32 v121, v31, v18
	v_fmac_f32_e32 v2, v28, v18
	;; [unrolled: 1-line block ×4, first 2 shown]
	v_dual_fmac_f32 v119, v28, v19 :: v_dual_fmac_f32 v4, v30, v18
	v_dual_fmac_f32 v118, v26, v19 :: v_dual_fmac_f32 v5, v32, v18
	v_fmac_f32_e32 v121, v30, v19
	v_fma_f32 v2, -v29, v19, v2
	v_fmac_f32_e32 v120, v32, v19
	v_fma_f32 v3, -v27, v19, v3
	s_wait_loadcnt 0x1
	v_fmac_f32_e32 v118, v35, v20
	v_fma_f32 v5, -v33, v19, v5
	v_fmac_f32_e32 v119, v37, v20
	v_fma_f32 v4, -v31, v19, v4
	v_fmac_f32_e32 v3, v34, v20
	v_fmac_f32_e32 v2, v36, v20
	s_wait_loadcnt 0x0
	v_dual_fmac_f32 v121, v39, v20 :: v_dual_fmac_f32 v118, v34, v21
	v_dual_fmac_f32 v4, v38, v20 :: v_dual_fmac_f32 v119, v36, v21
	v_fmac_f32_e32 v5, v40, v20
	s_delay_alu instid0(VALU_DEP_3)
	v_dual_fmac_f32 v120, v41, v20 :: v_dual_fmac_f32 v121, v38, v21
	v_fma_f32 v125, -v35, v21, v3
	v_fma_f32 v126, -v37, v21, v2
	;; [unrolled: 1-line block ×4, first 2 shown]
	v_fmac_f32_e32 v120, v40, v21
	s_wait_alu 0xfffe
	s_and_not1_b32 exec_lo, exec_lo, s6
	s_cbranch_execnz .LBB12_27
; %bb.28:
	s_or_b32 exec_lo, exec_lo, s6
.LBB12_29:
	s_wait_alu 0xfffe
	s_or_b32 exec_lo, exec_lo, s2
	s_delay_alu instid0(SALU_CYCLE_1)
	s_mov_b32 s2, exec_lo
	v_cmpx_lt_u32_e32 47, v0
	s_cbranch_execz .LBB12_33
; %bb.30:
	s_mov_b32 s6, 0
.LBB12_31:                              ; =>This Inner Loop Header: Depth=1
	v_ashrrev_i32_e32 v110, 31, v109
	s_clause 0x16
	global_load_b128 v[44:47], v[111:112], off offset:48
	global_load_b128 v[56:59], v[111:112], off offset:32
	;; [unrolled: 1-line block ×3, first 2 shown]
	global_load_b128 v[64:67], v[111:112], off
	global_load_b128 v[8:11], v[111:112], off offset:112
	global_load_b128 v[32:35], v[111:112], off offset:96
	;; [unrolled: 1-line block ×19, first 2 shown]
	v_lshlrev_b64_e32 v[92:93], 2, v[109:110]
	v_add_nc_u32_e32 v109, 64, v109
	s_delay_alu instid0(VALU_DEP_2) | instskip(SKIP_1) | instid1(VALU_DEP_3)
	v_add_co_u32 v92, vcc_lo, s8, v92
	s_wait_alu 0xfffd
	v_add_co_ci_u32_e64 v93, null, s9, v93, vcc_lo
	s_clause 0x3
	global_load_b32 v94, v[92:93], off
	global_load_b32 v100, v[92:93], off offset:64
	global_load_b32 v101, v[92:93], off offset:128
	;; [unrolled: 1-line block ×3, first 2 shown]
	s_wait_loadcnt 0x3
	v_subrev_nc_u32_e32 v92, s12, v94
	s_delay_alu instid0(VALU_DEP_1) | instskip(NEXT) | instid1(VALU_DEP_1)
	v_lshlrev_b32_e32 v92, 2, v92
	v_ashrrev_i32_e32 v93, 31, v92
	s_delay_alu instid0(VALU_DEP_1) | instskip(SKIP_1) | instid1(VALU_DEP_1)
	v_lshlrev_b64_e32 v[92:93], 3, v[92:93]
	s_wait_kmcnt 0x0
	v_add_co_u32 v96, vcc_lo, s4, v92
	s_wait_alu 0xfffd
	s_delay_alu instid0(VALU_DEP_2)
	v_add_co_ci_u32_e64 v97, null, s5, v93, vcc_lo
	s_clause 0x1
	global_load_b128 v[92:95], v[96:97], off
	global_load_b128 v[96:99], v[96:97], off offset:16
	s_wait_loadcnt 0x1
	v_fmac_f32_e32 v120, v63, v92
	s_delay_alu instid0(VALU_DEP_1) | instskip(NEXT) | instid1(VALU_DEP_1)
	v_dual_fmac_f32 v125, v64, v92 :: v_dual_fmac_f32 v120, v62, v93
	v_fma_f32 v103, -v65, v93, v125
	s_delay_alu instid0(VALU_DEP_1) | instskip(NEXT) | instid1(VALU_DEP_1)
	v_dual_fmac_f32 v126, v66, v92 :: v_dual_fmac_f32 v103, v56, v94
	v_fma_f32 v110, -v67, v93, v126
	v_fmac_f32_e32 v121, v61, v92
	s_delay_alu instid0(VALU_DEP_3) | instskip(NEXT) | instid1(VALU_DEP_3)
	v_fma_f32 v114, -v57, v95, v103
	v_fmac_f32_e32 v110, v58, v94
	s_delay_alu instid0(VALU_DEP_3) | instskip(SKIP_1) | instid1(VALU_DEP_3)
	v_dual_fmac_f32 v118, v65, v92 :: v_dual_fmac_f32 v121, v60, v93
	v_fmac_f32_e32 v119, v67, v92
	v_fma_f32 v110, -v59, v95, v110
	s_delay_alu instid0(VALU_DEP_3) | instskip(NEXT) | instid1(VALU_DEP_3)
	v_dual_fmac_f32 v118, v64, v93 :: v_dual_fmac_f32 v123, v62, v92
	v_dual_fmac_f32 v119, v66, v93 :: v_dual_fmac_f32 v124, v60, v92
	v_fmac_f32_e32 v121, v45, v94
	s_delay_alu instid0(VALU_DEP_3) | instskip(NEXT) | instid1(VALU_DEP_4)
	v_fmac_f32_e32 v118, v57, v94
	v_fma_f32 v113, -v63, v93, v123
	s_delay_alu instid0(VALU_DEP_4) | instskip(SKIP_4) | instid1(VALU_DEP_4)
	v_fmac_f32_e32 v119, v59, v94
	v_fma_f32 v92, -v61, v93, v124
	v_subrev_nc_u32_e32 v93, s12, v100
	v_fmac_f32_e32 v118, v56, v95
	v_subrev_nc_u32_e32 v100, s12, v101
	v_dual_fmac_f32 v119, v58, v95 :: v_dual_fmac_f32 v92, v44, v94
	v_dual_fmac_f32 v120, v47, v94 :: v_dual_fmac_f32 v121, v44, v95
	v_subrev_nc_u32_e32 v101, s12, v102
	v_dual_fmac_f32 v113, v46, v94 :: v_dual_lshlrev_b32 v44, 2, v93
	s_wait_loadcnt 0x0
	v_fmac_f32_e32 v119, v55, v96
	v_fma_f32 v115, -v45, v95, v92
	v_fmac_f32_e32 v120, v46, v95
	v_lshlrev_b32_e32 v46, 2, v100
	v_dual_fmac_f32 v121, v49, v96 :: v_dual_lshlrev_b32 v92, 2, v101
	v_ashrrev_i32_e32 v45, 31, v44
	v_fma_f32 v113, -v47, v95, v113
	v_fmac_f32_e32 v119, v54, v97
	v_ashrrev_i32_e32 v47, 31, v46
	v_ashrrev_i32_e32 v93, 31, v92
	v_lshlrev_b64_e32 v[44:45], 3, v[44:45]
	s_delay_alu instid0(VALU_DEP_4) | instskip(NEXT) | instid1(VALU_DEP_4)
	v_dual_fmac_f32 v110, v54, v96 :: v_dual_fmac_f32 v119, v35, v98
	v_lshlrev_b64_e32 v[46:47], 3, v[46:47]
	s_delay_alu instid0(VALU_DEP_4)
	v_lshlrev_b64_e32 v[92:93], 3, v[92:93]
	v_dual_fmac_f32 v118, v53, v96 :: v_dual_fmac_f32 v121, v48, v97
	v_add_co_u32 v94, vcc_lo, s4, v44
	s_wait_alu 0xfffd
	v_add_co_ci_u32_e64 v95, null, s5, v45, vcc_lo
	v_add_co_u32 v100, vcc_lo, s4, v46
	s_wait_alu 0xfffd
	v_add_co_ci_u32_e64 v101, null, s5, v47, vcc_lo
	;; [unrolled: 3-line block ×3, first 2 shown]
	v_fma_f32 v93, -v55, v97, v110
	v_fmac_f32_e32 v114, v52, v96
	v_dual_fmac_f32 v118, v52, v97 :: v_dual_fmac_f32 v113, v50, v96
	v_fmac_f32_e32 v115, v48, v96
	v_dual_fmac_f32 v120, v51, v96 :: v_dual_fmac_f32 v119, v34, v99
	v_fmac_f32_e32 v93, v34, v98
	v_fma_f32 v92, -v53, v97, v114
	s_delay_alu instid0(VALU_DEP_4)
	v_fma_f32 v96, -v49, v97, v115
	v_fma_f32 v110, -v51, v97, v113
	v_dual_fmac_f32 v120, v50, v97 :: v_dual_fmac_f32 v121, v9, v98
	v_fma_f32 v113, -v35, v99, v93
	v_fmac_f32_e32 v92, v32, v98
	v_fmac_f32_e32 v118, v33, v98
	;; [unrolled: 1-line block ×3, first 2 shown]
	v_dual_fmac_f32 v121, v8, v99 :: v_dual_fmac_f32 v120, v11, v98
	s_delay_alu instid0(VALU_DEP_4)
	v_fma_f32 v97, -v33, v99, v92
	v_fmac_f32_e32 v110, v10, v98
	s_clause 0x5
	global_load_b128 v[64:67], v[111:112], off offset:4160
	global_load_b128 v[52:55], v[111:112], off offset:6144
	;; [unrolled: 1-line block ×6, first 2 shown]
	v_fmac_f32_e32 v118, v32, v99
	global_load_b128 v[32:35], v[111:112], off offset:6224
	v_fma_f32 v114, -v9, v99, v96
	v_fma_f32 v110, -v11, v99, v110
	v_fmac_f32_e32 v120, v10, v99
	s_clause 0x1
	global_load_b128 v[8:11], v[94:95], off
	global_load_b128 v[92:95], v[94:95], off offset:16
	s_wait_loadcnt 0x1
	v_fmac_f32_e32 v97, v40, v8
	v_fmac_f32_e32 v113, v42, v8
	;; [unrolled: 1-line block ×4, first 2 shown]
	s_delay_alu instid0(VALU_DEP_4) | instskip(SKIP_3) | instid1(VALU_DEP_4)
	v_fma_f32 v115, -v41, v9, v97
	v_fmac_f32_e32 v118, v41, v8
	v_fma_f32 v113, -v43, v9, v113
	v_dual_fmac_f32 v119, v42, v9 :: v_dual_fmac_f32 v114, v36, v8
	v_fmac_f32_e32 v115, v28, v10
	s_delay_alu instid0(VALU_DEP_3)
	v_dual_fmac_f32 v118, v40, v9 :: v_dual_fmac_f32 v113, v30, v10
	s_clause 0x1
	global_load_b128 v[40:43], v[100:101], off
	global_load_b128 v[96:99], v[100:101], off offset:16
	v_dual_fmac_f32 v121, v36, v9 :: v_dual_fmac_f32 v110, v38, v8
	v_fmac_f32_e32 v119, v31, v10
	v_fmac_f32_e32 v120, v39, v8
	v_fma_f32 v8, -v37, v9, v114
	s_delay_alu instid0(VALU_DEP_4)
	v_fmac_f32_e32 v121, v25, v10
	v_fma_f32 v100, -v39, v9, v110
	v_fmac_f32_e32 v119, v30, v11
	v_fmac_f32_e32 v120, v38, v9
	global_load_b128 v[36:39], v[102:103], off
	v_fmac_f32_e32 v118, v29, v10
	v_fma_f32 v101, -v29, v11, v115
	v_fma_f32 v110, -v31, v11, v113
	v_dual_fmac_f32 v100, v26, v10 :: v_dual_fmac_f32 v121, v24, v11
	s_wait_loadcnt 0x3
	v_dual_fmac_f32 v118, v28, v11 :: v_dual_fmac_f32 v119, v19, v92
	global_load_b128 v[28:31], v[102:103], off offset:16
	v_dual_fmac_f32 v8, v24, v10 :: v_dual_fmac_f32 v121, v13, v92
	v_dual_fmac_f32 v120, v27, v10 :: v_dual_fmac_f32 v119, v18, v93
	v_fmac_f32_e32 v101, v16, v92
	s_delay_alu instid0(VALU_DEP_3) | instskip(SKIP_1) | instid1(VALU_DEP_4)
	v_fma_f32 v102, -v25, v11, v8
	v_fma_f32 v100, -v27, v11, v100
	v_dual_fmac_f32 v120, v26, v11 :: v_dual_fmac_f32 v121, v12, v93
	s_clause 0x1
	global_load_b128 v[8:11], v[111:112], off offset:6240
	global_load_b128 v[24:27], v[111:112], off offset:6256
	v_fmac_f32_e32 v102, v12, v92
	v_fmac_f32_e32 v118, v17, v92
	v_dual_fmac_f32 v110, v18, v92 :: v_dual_fmac_f32 v119, v7, v94
	v_fma_f32 v17, -v17, v93, v101
	v_fmac_f32_e32 v121, v1, v94
	v_fma_f32 v13, -v13, v93, v102
	v_fmac_f32_e32 v100, v14, v92
	v_dual_fmac_f32 v120, v15, v92 :: v_dual_fmac_f32 v119, v6, v95
	v_fmac_f32_e32 v17, v4, v94
	v_fmac_f32_e32 v118, v16, v93
	v_fma_f32 v16, -v19, v93, v110
	v_fmac_f32_e32 v13, v0, v94
	v_fma_f32 v12, -v15, v93, v100
	v_dual_fmac_f32 v120, v14, v93 :: v_dual_fmac_f32 v121, v0, v95
	v_add_co_u32 v111, vcc_lo, 0x2000, v111
	s_delay_alu instid0(VALU_DEP_4)
	v_fma_f32 v1, -v1, v95, v13
	v_fmac_f32_e32 v16, v6, v94
	v_fmac_f32_e32 v12, v2, v94
	s_wait_alu 0xfffd
	v_add_co_ci_u32_e64 v112, null, 0, v112, vcc_lo
	v_cmp_ge_i32_e32 vcc_lo, v109, v122
	s_wait_alu 0xfffe
	s_or_b32 s6, vcc_lo, s6
	s_wait_loadcnt 0x5
	v_dual_fmac_f32 v119, v79, v40 :: v_dual_fmac_f32 v118, v5, v94
	v_fma_f32 v5, -v5, v95, v17
	v_dual_fmac_f32 v1, v72, v40 :: v_dual_fmac_f32 v120, v3, v94
	s_delay_alu instid0(VALU_DEP_3) | instskip(SKIP_1) | instid1(VALU_DEP_4)
	v_fmac_f32_e32 v119, v78, v41
	v_fmac_f32_e32 v121, v73, v40
	;; [unrolled: 1-line block ×4, first 2 shown]
	v_fma_f32 v4, -v7, v95, v16
	v_fma_f32 v1, -v73, v41, v1
	v_fma_f32 v0, -v3, v95, v12
	v_dual_fmac_f32 v120, v2, v95 :: v_dual_fmac_f32 v121, v72, v41
	s_delay_alu instid0(VALU_DEP_3) | instskip(NEXT) | instid1(VALU_DEP_3)
	v_dual_fmac_f32 v4, v78, v40 :: v_dual_fmac_f32 v1, v20, v42
	v_dual_fmac_f32 v0, v74, v40 :: v_dual_fmac_f32 v119, v71, v42
	s_delay_alu instid0(VALU_DEP_3) | instskip(NEXT) | instid1(VALU_DEP_3)
	v_fmac_f32_e32 v120, v75, v40
	v_fma_f32 v3, -v79, v41, v4
	v_fma_f32 v2, -v77, v41, v5
	v_fmac_f32_e32 v121, v21, v42
	v_fma_f32 v0, -v75, v41, v0
	v_fmac_f32_e32 v119, v70, v43
	v_dual_fmac_f32 v3, v70, v42 :: v_dual_fmac_f32 v118, v77, v40
	s_delay_alu instid0(VALU_DEP_4) | instskip(SKIP_1) | instid1(VALU_DEP_3)
	v_dual_fmac_f32 v120, v74, v41 :: v_dual_fmac_f32 v121, v20, v43
	s_wait_loadcnt 0x4
	v_dual_fmac_f32 v2, v68, v42 :: v_dual_fmac_f32 v119, v67, v96
	s_delay_alu instid0(VALU_DEP_3) | instskip(SKIP_2) | instid1(VALU_DEP_4)
	v_fma_f32 v3, -v71, v43, v3
	v_fmac_f32_e32 v118, v76, v41
	v_dual_fmac_f32 v0, v22, v42 :: v_dual_fmac_f32 v121, v89, v96
	v_dual_fmac_f32 v120, v23, v42 :: v_dual_fmac_f32 v119, v66, v97
	v_fma_f32 v1, -v21, v43, v1
	s_delay_alu instid0(VALU_DEP_4)
	v_dual_fmac_f32 v3, v66, v96 :: v_dual_fmac_f32 v118, v69, v42
	v_fma_f32 v2, -v69, v43, v2
	v_fma_f32 v0, -v23, v43, v0
	v_dual_fmac_f32 v120, v22, v43 :: v_dual_fmac_f32 v121, v88, v97
	v_fmac_f32_e32 v1, v88, v96
	v_fma_f32 v3, -v67, v97, v3
	v_fmac_f32_e32 v118, v68, v43
	v_dual_fmac_f32 v2, v64, v96 :: v_dual_fmac_f32 v119, v87, v98
	v_dual_fmac_f32 v0, v90, v96 :: v_dual_fmac_f32 v121, v81, v98
	v_fmac_f32_e32 v120, v91, v96
	v_fma_f32 v1, -v89, v97, v1
	v_dual_fmac_f32 v3, v86, v98 :: v_dual_fmac_f32 v118, v65, v96
	v_fma_f32 v2, -v65, v97, v2
	v_fma_f32 v0, -v91, v97, v0
	s_delay_alu instid0(VALU_DEP_4) | instskip(NEXT) | instid1(VALU_DEP_4)
	v_fmac_f32_e32 v1, v80, v98
	v_fma_f32 v3, -v87, v99, v3
	v_dual_fmac_f32 v118, v64, v97 :: v_dual_fmac_f32 v119, v86, v99
	v_dual_fmac_f32 v120, v90, v97 :: v_dual_fmac_f32 v121, v80, v99
	v_fmac_f32_e32 v2, v84, v98
	v_fmac_f32_e32 v0, v82, v98
	v_fma_f32 v1, -v81, v99, v1
	s_wait_loadcnt 0x3
	v_dual_fmac_f32 v3, v54, v36 :: v_dual_fmac_f32 v118, v85, v98
	v_fmac_f32_e32 v119, v55, v36
	v_fmac_f32_e32 v120, v83, v98
	v_fma_f32 v2, -v85, v99, v2
	v_fmac_f32_e32 v1, v44, v36
	v_fmac_f32_e32 v121, v45, v36
	v_fma_f32 v0, -v83, v99, v0
	v_fma_f32 v3, -v55, v37, v3
	v_dual_fmac_f32 v118, v84, v99 :: v_dual_fmac_f32 v119, v54, v37
	s_delay_alu instid0(VALU_DEP_4)
	v_dual_fmac_f32 v120, v82, v99 :: v_dual_fmac_f32 v121, v44, v37
	v_fmac_f32_e32 v2, v52, v36
	v_fmac_f32_e32 v0, v46, v36
	v_fma_f32 v1, -v45, v37, v1
	v_dual_fmac_f32 v3, v58, v38 :: v_dual_fmac_f32 v118, v53, v36
	v_fmac_f32_e32 v119, v59, v38
	v_fmac_f32_e32 v120, v47, v36
	v_fma_f32 v2, -v53, v37, v2
	v_fmac_f32_e32 v1, v60, v38
	v_fmac_f32_e32 v121, v61, v38
	v_fma_f32 v0, -v47, v37, v0
	v_fma_f32 v3, -v59, v39, v3
	v_dual_fmac_f32 v118, v52, v37 :: v_dual_fmac_f32 v119, v58, v39
	s_delay_alu instid0(VALU_DEP_4)
	v_dual_fmac_f32 v120, v46, v37 :: v_dual_fmac_f32 v121, v60, v39
	v_fmac_f32_e32 v2, v56, v38
	v_fmac_f32_e32 v0, v62, v38
	v_fma_f32 v1, -v61, v39, v1
	s_wait_loadcnt 0x2
	v_dual_fmac_f32 v3, v50, v28 :: v_dual_fmac_f32 v118, v57, v38
	v_fmac_f32_e32 v119, v51, v28
	v_fmac_f32_e32 v120, v63, v38
	v_fma_f32 v2, -v57, v39, v2
	v_fmac_f32_e32 v1, v32, v28
	v_fmac_f32_e32 v121, v33, v28
	v_fma_f32 v0, -v63, v39, v0
	v_fma_f32 v3, -v51, v29, v3
	v_dual_fmac_f32 v118, v56, v39 :: v_dual_fmac_f32 v119, v50, v29
	s_delay_alu instid0(VALU_DEP_4)
	v_dual_fmac_f32 v120, v62, v39 :: v_dual_fmac_f32 v121, v32, v29
	v_fmac_f32_e32 v2, v48, v28
	v_fmac_f32_e32 v0, v34, v28
	v_fma_f32 v1, -v33, v29, v1
	s_wait_loadcnt 0x1
	v_dual_fmac_f32 v3, v10, v30 :: v_dual_fmac_f32 v118, v49, v28
	v_fmac_f32_e32 v119, v11, v30
	v_fmac_f32_e32 v120, v35, v28
	v_fma_f32 v2, -v49, v29, v2
	s_wait_loadcnt 0x0
	v_fmac_f32_e32 v1, v24, v30
	v_dual_fmac_f32 v118, v48, v29 :: v_dual_fmac_f32 v121, v25, v30
	v_fma_f32 v0, -v35, v29, v0
	v_fmac_f32_e32 v119, v10, v31
	v_fmac_f32_e32 v120, v34, v29
	;; [unrolled: 1-line block ×4, first 2 shown]
	v_dual_fmac_f32 v0, v26, v30 :: v_dual_fmac_f32 v121, v24, v31
	s_delay_alu instid0(VALU_DEP_4) | instskip(NEXT) | instid1(VALU_DEP_4)
	v_fmac_f32_e32 v120, v27, v30
	v_fma_f32 v125, -v9, v31, v2
	s_delay_alu instid0(VALU_DEP_4)
	v_fmac_f32_e32 v118, v8, v31
	v_fma_f32 v126, -v11, v31, v3
	v_fma_f32 v124, -v25, v31, v1
	;; [unrolled: 1-line block ×3, first 2 shown]
	v_fmac_f32_e32 v120, v26, v31
	s_wait_alu 0xfffe
	s_and_not1_b32 exec_lo, exec_lo, s6
	s_cbranch_execnz .LBB12_31
; %bb.32:
	s_or_b32 exec_lo, exec_lo, s6
.LBB12_33:
	s_wait_alu 0xfffe
	s_or_b32 exec_lo, exec_lo, s2
.LBB12_34:
	s_wait_alu 0xfffe
	s_or_b32 exec_lo, exec_lo, s3
.LBB12_35:
	v_mbcnt_lo_u32_b32 v0, -1, 0
	s_delay_alu instid0(VALU_DEP_1) | instskip(SKIP_2) | instid1(VALU_DEP_3)
	v_xor_b32_e32 v1, 8, v0
	v_xor_b32_e32 v9, 4, v0
	;; [unrolled: 1-line block ×3, first 2 shown]
	v_cmp_gt_i32_e32 vcc_lo, 32, v1
	s_wait_alu 0xfffd
	v_cndmask_b32_e32 v1, v0, v1, vcc_lo
	v_cmp_gt_i32_e32 vcc_lo, 32, v9
	s_delay_alu instid0(VALU_DEP_2)
	v_lshlrev_b32_e32 v1, 2, v1
	ds_bpermute_b32 v4, v1, v126
	s_wait_dscnt 0x0
	v_add_f32_e32 v4, v126, v4
	ds_bpermute_b32 v2, v1, v125
	ds_bpermute_b32 v6, v1, v124
	;; [unrolled: 1-line block ×3, first 2 shown]
	s_wait_alu 0xfffd
	v_cndmask_b32_e32 v9, v0, v9, vcc_lo
	ds_bpermute_b32 v3, v1, v118
	ds_bpermute_b32 v5, v1, v119
	;; [unrolled: 1-line block ×4, first 2 shown]
	v_cmp_gt_i32_e32 vcc_lo, 32, v17
	s_wait_dscnt 0x6
	s_wait_alu 0xfffd
	v_dual_cndmask_b32 v17, v0, v17 :: v_dual_add_f32 v2, v125, v2
	s_wait_dscnt 0x5
	v_add_f32_e32 v6, v124, v6
	s_wait_dscnt 0x4
	v_dual_add_f32 v8, v123, v8 :: v_dual_lshlrev_b32 v9, 2, v9
	s_wait_dscnt 0x0
	v_add_f32_e32 v1, v120, v1
	ds_bpermute_b32 v10, v9, v2
	ds_bpermute_b32 v12, v9, v4
	;; [unrolled: 1-line block ×3, first 2 shown]
	v_add_f32_e32 v3, v118, v3
	v_add_f32_e32 v5, v119, v5
	;; [unrolled: 1-line block ×3, first 2 shown]
	ds_bpermute_b32 v16, v9, v8
	s_wait_dscnt 0x3
	v_dual_add_f32 v2, v2, v10 :: v_dual_lshlrev_b32 v17, 2, v17
	ds_bpermute_b32 v13, v9, v5
	s_wait_dscnt 0x3
	v_add_f32_e32 v4, v4, v12
	ds_bpermute_b32 v11, v9, v3
	s_wait_dscnt 0x3
	v_add_f32_e32 v6, v6, v14
	ds_bpermute_b32 v15, v9, v7
	ds_bpermute_b32 v9, v9, v1
	s_wait_dscnt 0x2
	v_dual_add_f32 v8, v8, v16 :: v_dual_add_f32 v3, v3, v11
	ds_bpermute_b32 v11, v17, v4
	v_add_f32_e32 v5, v5, v13
	s_wait_dscnt 0x1
	v_add_f32_e32 v9, v1, v9
	ds_bpermute_b32 v1, v17, v2
	v_add_f32_e32 v7, v7, v15
	ds_bpermute_b32 v10, v17, v3
	ds_bpermute_b32 v12, v17, v5
	;; [unrolled: 1-line block ×6, first 2 shown]
	v_xor_b32_e32 v17, 1, v0
	s_delay_alu instid0(VALU_DEP_1) | instskip(SKIP_4) | instid1(VALU_DEP_2)
	v_cmp_gt_i32_e32 vcc_lo, 32, v17
	s_wait_alu 0xfffd
	v_cndmask_b32_e32 v0, v0, v17, vcc_lo
	v_cmp_eq_u32_e32 vcc_lo, 15, v117
	s_wait_dscnt 0x6
	v_dual_add_f32 v0, v2, v1 :: v_dual_lshlrev_b32 v17, 2, v0
	s_wait_dscnt 0x5
	v_dual_add_f32 v1, v3, v10 :: v_dual_add_f32 v2, v4, v11
	s_wait_dscnt 0x3
	v_dual_add_f32 v3, v5, v12 :: v_dual_add_f32 v4, v6, v13
	;; [unrolled: 2-line block ×3, first 2 shown]
	s_wait_dscnt 0x0
	v_add_f32_e32 v7, v9, v16
	ds_bpermute_b32 v8, v17, v0
	ds_bpermute_b32 v9, v17, v1
	;; [unrolled: 1-line block ×8, first 2 shown]
	s_and_b32 exec_lo, exec_lo, vcc_lo
	s_cbranch_execz .LBB12_8
; %bb.36:
	s_load_b64 s[2:3], s[0:1], 0x50
	s_wait_dscnt 0x7
	v_add_f32_e32 v8, v0, v8
	s_wait_dscnt 0x4
	v_dual_add_f32 v0, v1, v9 :: v_dual_add_f32 v1, v3, v11
	s_wait_dscnt 0x2
	v_dual_add_f32 v9, v2, v10 :: v_dual_add_f32 v2, v5, v13
	;; [unrolled: 2-line block ×3, first 2 shown]
	v_add_f32_e32 v11, v6, v14
	v_mul_f32_e64 v4, v0, -v107
	v_mul_f32_e32 v5, v106, v0
	v_mul_f32_e64 v6, v1, -v107
	v_mul_f32_e32 v7, v106, v1
	;; [unrolled: 2-line block ×4, first 2 shown]
	v_cmp_eq_f32_e32 vcc_lo, 0, v104
	v_cmp_eq_f32_e64 s0, 0, v105
	v_fmac_f32_e32 v4, v106, v8
	v_dual_fmac_f32 v5, v107, v8 :: v_dual_fmac_f32 v6, v106, v9
	v_dual_fmac_f32 v7, v107, v9 :: v_dual_lshlrev_b32 v8, 2, v108
	v_dual_fmac_f32 v0, v106, v10 :: v_dual_fmac_f32 v3, v107, v11
	v_dual_fmac_f32 v1, v107, v10 :: v_dual_fmac_f32 v2, v106, v11
	s_and_b32 s0, vcc_lo, s0
	s_wait_alu 0xfffe
	s_and_saveexec_b32 s1, s0
	s_wait_alu 0xfffe
	s_xor_b32 s0, exec_lo, s1
	s_cbranch_execz .LBB12_38
; %bb.37:
	v_ashrrev_i32_e32 v9, 31, v8
                                        ; implicit-def: $vgpr104_vgpr105
	s_delay_alu instid0(VALU_DEP_1) | instskip(SKIP_1) | instid1(VALU_DEP_1)
	v_lshlrev_b64_e32 v[8:9], 3, v[8:9]
	s_wait_kmcnt 0x0
	v_add_co_u32 v8, vcc_lo, s2, v8
	s_wait_alu 0xfffd
	s_delay_alu instid0(VALU_DEP_2)
	v_add_co_ci_u32_e64 v9, null, s3, v9, vcc_lo
	s_clause 0x1
	global_store_b128 v[8:9], v[4:7], off
	global_store_b128 v[8:9], v[0:3], off offset:16
                                        ; implicit-def: $vgpr4
                                        ; implicit-def: $vgpr8
                                        ; implicit-def: $vgpr0
.LBB12_38:
	s_wait_alu 0xfffe
	s_and_not1_saveexec_b32 s0, s0
	s_cbranch_execz .LBB12_8
; %bb.39:
	v_ashrrev_i32_e32 v9, 31, v8
	s_delay_alu instid0(VALU_DEP_1) | instskip(SKIP_1) | instid1(VALU_DEP_1)
	v_lshlrev_b64_e32 v[8:9], 3, v[8:9]
	s_wait_kmcnt 0x0
	v_add_co_u32 v16, vcc_lo, s2, v8
	s_wait_alu 0xfffd
	s_delay_alu instid0(VALU_DEP_2)
	v_add_co_ci_u32_e64 v17, null, s3, v9, vcc_lo
	s_clause 0x1
	global_load_b128 v[8:11], v[16:17], off
	global_load_b128 v[12:15], v[16:17], off offset:16
	s_wait_loadcnt 0x1
	v_dual_fmac_f32 v4, v104, v8 :: v_dual_fmac_f32 v7, v105, v10
	v_dual_fmac_f32 v5, v105, v8 :: v_dual_fmac_f32 v6, v104, v10
	s_wait_loadcnt 0x0
	v_dual_fmac_f32 v0, v104, v12 :: v_dual_fmac_f32 v3, v105, v14
	v_dual_fmac_f32 v1, v105, v12 :: v_dual_fmac_f32 v2, v104, v14
	v_fma_f32 v4, -v105, v9, v4
	v_fmac_f32_e32 v5, v104, v9
	v_fma_f32 v6, -v105, v11, v6
	v_fmac_f32_e32 v7, v104, v11
	;; [unrolled: 2-line block ×4, first 2 shown]
	s_clause 0x1
	global_store_b128 v[16:17], v[4:7], off
	global_store_b128 v[16:17], v[0:3], off offset:16
	s_nop 0
	s_sendmsg sendmsg(MSG_DEALLOC_VGPRS)
	s_endpgm
	.section	.rodata,"a",@progbits
	.p2align	6, 0x0
	.amdhsa_kernel _ZN9rocsparseL18bsrxmvn_4x4_kernelILj128ELj16E21rocsparse_complex_numIfEiiS2_S2_S2_EEvT3_20rocsparse_direction_NS_24const_host_device_scalarIT1_EES3_PKS3_PKT2_SC_S9_PKT4_PKT5_S7_PT6_21rocsparse_index_base_b
		.amdhsa_group_segment_fixed_size 0
		.amdhsa_private_segment_fixed_size 0
		.amdhsa_kernarg_size 96
		.amdhsa_user_sgpr_count 2
		.amdhsa_user_sgpr_dispatch_ptr 0
		.amdhsa_user_sgpr_queue_ptr 0
		.amdhsa_user_sgpr_kernarg_segment_ptr 1
		.amdhsa_user_sgpr_dispatch_id 0
		.amdhsa_user_sgpr_private_segment_size 0
		.amdhsa_wavefront_size32 1
		.amdhsa_uses_dynamic_stack 0
		.amdhsa_enable_private_segment 0
		.amdhsa_system_sgpr_workgroup_id_x 1
		.amdhsa_system_sgpr_workgroup_id_y 0
		.amdhsa_system_sgpr_workgroup_id_z 0
		.amdhsa_system_sgpr_workgroup_info 0
		.amdhsa_system_vgpr_workitem_id 0
		.amdhsa_next_free_vgpr 152
		.amdhsa_next_free_sgpr 14
		.amdhsa_reserve_vcc 1
		.amdhsa_float_round_mode_32 0
		.amdhsa_float_round_mode_16_64 0
		.amdhsa_float_denorm_mode_32 3
		.amdhsa_float_denorm_mode_16_64 3
		.amdhsa_fp16_overflow 0
		.amdhsa_workgroup_processor_mode 1
		.amdhsa_memory_ordered 1
		.amdhsa_forward_progress 1
		.amdhsa_inst_pref_size 62
		.amdhsa_round_robin_scheduling 0
		.amdhsa_exception_fp_ieee_invalid_op 0
		.amdhsa_exception_fp_denorm_src 0
		.amdhsa_exception_fp_ieee_div_zero 0
		.amdhsa_exception_fp_ieee_overflow 0
		.amdhsa_exception_fp_ieee_underflow 0
		.amdhsa_exception_fp_ieee_inexact 0
		.amdhsa_exception_int_div_zero 0
	.end_amdhsa_kernel
	.section	.text._ZN9rocsparseL18bsrxmvn_4x4_kernelILj128ELj16E21rocsparse_complex_numIfEiiS2_S2_S2_EEvT3_20rocsparse_direction_NS_24const_host_device_scalarIT1_EES3_PKS3_PKT2_SC_S9_PKT4_PKT5_S7_PT6_21rocsparse_index_base_b,"axG",@progbits,_ZN9rocsparseL18bsrxmvn_4x4_kernelILj128ELj16E21rocsparse_complex_numIfEiiS2_S2_S2_EEvT3_20rocsparse_direction_NS_24const_host_device_scalarIT1_EES3_PKS3_PKT2_SC_S9_PKT4_PKT5_S7_PT6_21rocsparse_index_base_b,comdat
.Lfunc_end12:
	.size	_ZN9rocsparseL18bsrxmvn_4x4_kernelILj128ELj16E21rocsparse_complex_numIfEiiS2_S2_S2_EEvT3_20rocsparse_direction_NS_24const_host_device_scalarIT1_EES3_PKS3_PKT2_SC_S9_PKT4_PKT5_S7_PT6_21rocsparse_index_base_b, .Lfunc_end12-_ZN9rocsparseL18bsrxmvn_4x4_kernelILj128ELj16E21rocsparse_complex_numIfEiiS2_S2_S2_EEvT3_20rocsparse_direction_NS_24const_host_device_scalarIT1_EES3_PKS3_PKT2_SC_S9_PKT4_PKT5_S7_PT6_21rocsparse_index_base_b
                                        ; -- End function
	.set _ZN9rocsparseL18bsrxmvn_4x4_kernelILj128ELj16E21rocsparse_complex_numIfEiiS2_S2_S2_EEvT3_20rocsparse_direction_NS_24const_host_device_scalarIT1_EES3_PKS3_PKT2_SC_S9_PKT4_PKT5_S7_PT6_21rocsparse_index_base_b.num_vgpr, 152
	.set _ZN9rocsparseL18bsrxmvn_4x4_kernelILj128ELj16E21rocsparse_complex_numIfEiiS2_S2_S2_EEvT3_20rocsparse_direction_NS_24const_host_device_scalarIT1_EES3_PKS3_PKT2_SC_S9_PKT4_PKT5_S7_PT6_21rocsparse_index_base_b.num_agpr, 0
	.set _ZN9rocsparseL18bsrxmvn_4x4_kernelILj128ELj16E21rocsparse_complex_numIfEiiS2_S2_S2_EEvT3_20rocsparse_direction_NS_24const_host_device_scalarIT1_EES3_PKS3_PKT2_SC_S9_PKT4_PKT5_S7_PT6_21rocsparse_index_base_b.numbered_sgpr, 14
	.set _ZN9rocsparseL18bsrxmvn_4x4_kernelILj128ELj16E21rocsparse_complex_numIfEiiS2_S2_S2_EEvT3_20rocsparse_direction_NS_24const_host_device_scalarIT1_EES3_PKS3_PKT2_SC_S9_PKT4_PKT5_S7_PT6_21rocsparse_index_base_b.num_named_barrier, 0
	.set _ZN9rocsparseL18bsrxmvn_4x4_kernelILj128ELj16E21rocsparse_complex_numIfEiiS2_S2_S2_EEvT3_20rocsparse_direction_NS_24const_host_device_scalarIT1_EES3_PKS3_PKT2_SC_S9_PKT4_PKT5_S7_PT6_21rocsparse_index_base_b.private_seg_size, 0
	.set _ZN9rocsparseL18bsrxmvn_4x4_kernelILj128ELj16E21rocsparse_complex_numIfEiiS2_S2_S2_EEvT3_20rocsparse_direction_NS_24const_host_device_scalarIT1_EES3_PKS3_PKT2_SC_S9_PKT4_PKT5_S7_PT6_21rocsparse_index_base_b.uses_vcc, 1
	.set _ZN9rocsparseL18bsrxmvn_4x4_kernelILj128ELj16E21rocsparse_complex_numIfEiiS2_S2_S2_EEvT3_20rocsparse_direction_NS_24const_host_device_scalarIT1_EES3_PKS3_PKT2_SC_S9_PKT4_PKT5_S7_PT6_21rocsparse_index_base_b.uses_flat_scratch, 0
	.set _ZN9rocsparseL18bsrxmvn_4x4_kernelILj128ELj16E21rocsparse_complex_numIfEiiS2_S2_S2_EEvT3_20rocsparse_direction_NS_24const_host_device_scalarIT1_EES3_PKS3_PKT2_SC_S9_PKT4_PKT5_S7_PT6_21rocsparse_index_base_b.has_dyn_sized_stack, 0
	.set _ZN9rocsparseL18bsrxmvn_4x4_kernelILj128ELj16E21rocsparse_complex_numIfEiiS2_S2_S2_EEvT3_20rocsparse_direction_NS_24const_host_device_scalarIT1_EES3_PKS3_PKT2_SC_S9_PKT4_PKT5_S7_PT6_21rocsparse_index_base_b.has_recursion, 0
	.set _ZN9rocsparseL18bsrxmvn_4x4_kernelILj128ELj16E21rocsparse_complex_numIfEiiS2_S2_S2_EEvT3_20rocsparse_direction_NS_24const_host_device_scalarIT1_EES3_PKS3_PKT2_SC_S9_PKT4_PKT5_S7_PT6_21rocsparse_index_base_b.has_indirect_call, 0
	.section	.AMDGPU.csdata,"",@progbits
; Kernel info:
; codeLenInByte = 7900
; TotalNumSgprs: 16
; NumVgprs: 152
; ScratchSize: 0
; MemoryBound: 0
; FloatMode: 240
; IeeeMode: 1
; LDSByteSize: 0 bytes/workgroup (compile time only)
; SGPRBlocks: 0
; VGPRBlocks: 18
; NumSGPRsForWavesPerEU: 16
; NumVGPRsForWavesPerEU: 152
; Occupancy: 9
; WaveLimiterHint : 1
; COMPUTE_PGM_RSRC2:SCRATCH_EN: 0
; COMPUTE_PGM_RSRC2:USER_SGPR: 2
; COMPUTE_PGM_RSRC2:TRAP_HANDLER: 0
; COMPUTE_PGM_RSRC2:TGID_X_EN: 1
; COMPUTE_PGM_RSRC2:TGID_Y_EN: 0
; COMPUTE_PGM_RSRC2:TGID_Z_EN: 0
; COMPUTE_PGM_RSRC2:TIDIG_COMP_CNT: 0
	.section	.text._ZN9rocsparseL18bsrxmvn_4x4_kernelILj128ELj32E21rocsparse_complex_numIfEiiS2_S2_S2_EEvT3_20rocsparse_direction_NS_24const_host_device_scalarIT1_EES3_PKS3_PKT2_SC_S9_PKT4_PKT5_S7_PT6_21rocsparse_index_base_b,"axG",@progbits,_ZN9rocsparseL18bsrxmvn_4x4_kernelILj128ELj32E21rocsparse_complex_numIfEiiS2_S2_S2_EEvT3_20rocsparse_direction_NS_24const_host_device_scalarIT1_EES3_PKS3_PKT2_SC_S9_PKT4_PKT5_S7_PT6_21rocsparse_index_base_b,comdat
	.globl	_ZN9rocsparseL18bsrxmvn_4x4_kernelILj128ELj32E21rocsparse_complex_numIfEiiS2_S2_S2_EEvT3_20rocsparse_direction_NS_24const_host_device_scalarIT1_EES3_PKS3_PKT2_SC_S9_PKT4_PKT5_S7_PT6_21rocsparse_index_base_b ; -- Begin function _ZN9rocsparseL18bsrxmvn_4x4_kernelILj128ELj32E21rocsparse_complex_numIfEiiS2_S2_S2_EEvT3_20rocsparse_direction_NS_24const_host_device_scalarIT1_EES3_PKS3_PKT2_SC_S9_PKT4_PKT5_S7_PT6_21rocsparse_index_base_b
	.p2align	8
	.type	_ZN9rocsparseL18bsrxmvn_4x4_kernelILj128ELj32E21rocsparse_complex_numIfEiiS2_S2_S2_EEvT3_20rocsparse_direction_NS_24const_host_device_scalarIT1_EES3_PKS3_PKT2_SC_S9_PKT4_PKT5_S7_PT6_21rocsparse_index_base_b,@function
_ZN9rocsparseL18bsrxmvn_4x4_kernelILj128ELj32E21rocsparse_complex_numIfEiiS2_S2_S2_EEvT3_20rocsparse_direction_NS_24const_host_device_scalarIT1_EES3_PKS3_PKT2_SC_S9_PKT4_PKT5_S7_PT6_21rocsparse_index_base_b: ; @_ZN9rocsparseL18bsrxmvn_4x4_kernelILj128ELj32E21rocsparse_complex_numIfEiiS2_S2_S2_EEvT3_20rocsparse_direction_NS_24const_host_device_scalarIT1_EES3_PKS3_PKT2_SC_S9_PKT4_PKT5_S7_PT6_21rocsparse_index_base_b
; %bb.0:
	s_clause 0x2
	s_load_b64 s[12:13], s[0:1], 0x58
	s_load_b64 s[2:3], s[0:1], 0x8
	;; [unrolled: 1-line block ×3, first 2 shown]
	s_add_nc_u64 s[6:7], s[0:1], 8
	s_wait_kmcnt 0x0
	s_bitcmp1_b32 s13, 0
	s_cselect_b32 s2, s6, s2
	s_cselect_b32 s3, s7, s3
	s_delay_alu instid0(SALU_CYCLE_1)
	v_dual_mov_b32 v1, s2 :: v_dual_mov_b32 v2, s3
	s_add_nc_u64 s[2:3], s[0:1], 0x48
	s_wait_alu 0xfffe
	s_cselect_b32 s2, s2, s4
	s_cselect_b32 s3, s3, s5
	flat_load_b64 v[106:107], v[1:2]
	s_wait_alu 0xfffe
	v_dual_mov_b32 v1, s2 :: v_dual_mov_b32 v2, s3
	flat_load_b64 v[104:105], v[1:2]
	s_wait_loadcnt_dscnt 0x101
	v_cmp_eq_f32_e32 vcc_lo, 0, v106
	v_cmp_eq_f32_e64 s2, 0, v107
	s_and_b32 s4, vcc_lo, s2
	s_mov_b32 s2, -1
	s_and_saveexec_b32 s3, s4
	s_cbranch_execz .LBB13_2
; %bb.1:
	s_wait_loadcnt_dscnt 0x0
	v_cmp_neq_f32_e32 vcc_lo, 1.0, v104
	v_cmp_neq_f32_e64 s2, 0, v105
	s_wait_alu 0xfffe
	s_or_b32 s2, vcc_lo, s2
	s_wait_alu 0xfffe
	s_or_not1_b32 s2, s2, exec_lo
.LBB13_2:
	s_wait_alu 0xfffe
	s_or_b32 exec_lo, exec_lo, s3
	s_and_saveexec_b32 s3, s2
	s_cbranch_execz .LBB13_8
; %bb.3:
	s_clause 0x1
	s_load_b64 s[4:5], s[0:1], 0x18
	s_load_b64 s[2:3], s[0:1], 0x0
	v_lshrrev_b32_e32 v1, 5, v0
	s_delay_alu instid0(VALU_DEP_1)
	v_lshl_or_b32 v108, ttmp9, 2, v1
	s_wait_kmcnt 0x0
	s_cmp_lg_u64 s[4:5], 0
	s_cbranch_scc0 .LBB13_9
; %bb.4:
	s_load_b32 s6, s[0:1], 0x10
	s_mov_b32 s7, 0
                                        ; implicit-def: $vgpr1
	s_wait_kmcnt 0x0
	v_cmp_gt_i32_e32 vcc_lo, s6, v108
	s_mov_b32 s6, 0
	s_and_saveexec_b32 s8, vcc_lo
	s_delay_alu instid0(SALU_CYCLE_1)
	s_xor_b32 s8, exec_lo, s8
	s_cbranch_execz .LBB13_6
; %bb.5:
	v_ashrrev_i32_e32 v109, 31, v108
	s_mov_b32 s6, exec_lo
	s_delay_alu instid0(VALU_DEP_1) | instskip(NEXT) | instid1(VALU_DEP_1)
	v_lshlrev_b64_e32 v[1:2], 2, v[108:109]
	v_add_co_u32 v1, vcc_lo, s4, v1
	s_delay_alu instid0(VALU_DEP_1)
	v_add_co_ci_u32_e64 v2, null, s5, v2, vcc_lo
	global_load_b32 v1, v[1:2], off
	s_wait_loadcnt 0x0
	v_subrev_nc_u32_e32 v1, s12, v1
.LBB13_6:
	s_or_b32 exec_lo, exec_lo, s8
	s_delay_alu instid0(SALU_CYCLE_1)
	s_and_b32 vcc_lo, exec_lo, s7
	s_wait_alu 0xfffe
	s_cbranch_vccz .LBB13_10
.LBB13_7:
	v_cmp_gt_i32_e32 vcc_lo, s2, v108
	s_and_not1_b32 s2, s6, exec_lo
	s_and_b32 s4, vcc_lo, exec_lo
	s_wait_alu 0xfffe
	s_or_b32 s6, s2, s4
	s_wait_alu 0xfffe
	s_and_b32 exec_lo, exec_lo, s6
	s_cbranch_execnz .LBB13_11
.LBB13_8:
	s_nop 0
	s_sendmsg sendmsg(MSG_DEALLOC_VGPRS)
	s_endpgm
.LBB13_9:
	s_mov_b32 s6, 0
                                        ; implicit-def: $vgpr1
	s_cbranch_execnz .LBB13_7
.LBB13_10:
	v_mov_b32_e32 v108, v1
	s_and_b32 exec_lo, exec_lo, s6
	s_cbranch_execz .LBB13_8
.LBB13_11:
	s_load_b256 s[4:11], s[0:1], 0x20
	s_delay_alu instid0(VALU_DEP_1) | instskip(SKIP_1) | instid1(VALU_DEP_2)
	v_ashrrev_i32_e32 v109, 31, v108
	v_and_b32_e32 v117, 31, v0
	v_lshlrev_b64_e32 v[1:2], 2, v[108:109]
	s_wait_kmcnt 0x0
	s_delay_alu instid0(VALU_DEP_1) | instskip(SKIP_1) | instid1(VALU_DEP_2)
	v_add_co_u32 v3, vcc_lo, s4, v1
	s_wait_alu 0xfffd
	v_add_co_ci_u32_e64 v4, null, s5, v2, vcc_lo
	v_add_co_u32 v1, vcc_lo, s6, v1
	s_wait_alu 0xfffd
	v_add_co_ci_u32_e64 v2, null, s7, v2, vcc_lo
	global_load_b32 v127, v[3:4], off
	v_add_co_u32 v3, vcc_lo, v3, 4
	s_wait_alu 0xfffd
	v_add_co_ci_u32_e64 v4, null, 0, v4, vcc_lo
	s_cmp_eq_u64 s[6:7], 0
	s_load_b64 s[4:5], s[0:1], 0x40
	s_cselect_b32 vcc_lo, -1, 0
	s_cmp_eq_u32 s3, 1
	s_wait_alu 0xfffe
	v_dual_cndmask_b32 v2, v2, v4 :: v_dual_cndmask_b32 v1, v1, v3
	global_load_b32 v2, v[1:2], off
	s_wait_loadcnt 0x1
	v_subrev_nc_u32_e32 v0, s12, v127
	s_delay_alu instid0(VALU_DEP_1) | instskip(NEXT) | instid1(VALU_DEP_1)
	v_add_nc_u32_e32 v109, v0, v117
	v_ashrrev_i32_e32 v110, 31, v109
	s_wait_loadcnt 0x0
	v_subrev_nc_u32_e32 v122, s12, v2
	s_delay_alu instid0(VALU_DEP_2) | instskip(NEXT) | instid1(VALU_DEP_2)
	v_lshlrev_b64_e32 v[0:1], 7, v[109:110]
	v_cmp_lt_i32_e64 s2, v109, v122
	s_delay_alu instid0(VALU_DEP_2) | instskip(SKIP_1) | instid1(VALU_DEP_3)
	v_add_co_u32 v111, vcc_lo, s10, v0
	s_wait_alu 0xfffd
	v_add_co_ci_u32_e64 v112, null, s11, v1, vcc_lo
	s_cbranch_scc1 .LBB13_23
; %bb.12:
	v_dual_mov_b32 v118, 0 :: v_dual_mov_b32 v125, 0
	v_dual_mov_b32 v123, 0 :: v_dual_mov_b32 v120, 0
	;; [unrolled: 1-line block ×4, first 2 shown]
	s_and_saveexec_b32 s3, s2
	s_cbranch_execz .LBB13_22
; %bb.13:
	v_dual_mov_b32 v119, 0 :: v_dual_add_nc_u32 v0, v127, v117
	v_not_b32_e32 v1, v127
	v_dual_mov_b32 v114, v112 :: v_dual_mov_b32 v115, v109
	s_delay_alu instid0(VALU_DEP_3) | instskip(SKIP_2) | instid1(VALU_DEP_3)
	v_subrev_nc_u32_e32 v0, s12, v0
	v_dual_mov_b32 v124, 0 :: v_dual_mov_b32 v123, 0
	v_dual_mov_b32 v120, 0 :: v_dual_mov_b32 v125, 0
	v_dual_mov_b32 v121, 0 :: v_dual_add_nc_u32 v0, 32, v0
	v_dual_mov_b32 v118, 0 :: v_dual_mov_b32 v113, v111
	s_mov_b32 s6, exec_lo
	s_delay_alu instid0(VALU_DEP_2) | instskip(NEXT) | instid1(VALU_DEP_1)
	v_max_i32_e32 v0, v0, v122
	v_add3_u32 v0, s12, v0, v1
	s_delay_alu instid0(VALU_DEP_1) | instskip(NEXT) | instid1(VALU_DEP_1)
	v_sub_nc_u32_e32 v0, v0, v117
	v_dual_mov_b32 v126, 0 :: v_dual_and_b32 v1, 0x60, v0
	s_delay_alu instid0(VALU_DEP_1)
	v_cmpx_ne_u32_e32 0x60, v1
	s_cbranch_execz .LBB13_17
; %bb.14:
	v_lshrrev_b32_e32 v1, 5, v0
	v_dual_mov_b32 v118, 0 :: v_dual_mov_b32 v115, v109
	v_dual_mov_b32 v114, v112 :: v_dual_mov_b32 v113, v111
	s_delay_alu instid0(VALU_DEP_3) | instskip(SKIP_2) | instid1(VALU_DEP_3)
	v_dual_mov_b32 v120, 0 :: v_dual_add_nc_u32 v1, 1, v1
	v_dual_mov_b32 v125, 0 :: v_dual_mov_b32 v124, 0
	v_dual_mov_b32 v123, 0 :: v_dual_mov_b32 v126, 0
	v_and_b32_e32 v1, 3, v1
	v_mov_b32_e32 v121, 0
	v_mov_b32_e32 v119, 0
	s_mov_b32 s7, 0
	s_delay_alu instid0(VALU_DEP_3)
	v_sub_nc_u32_e32 v1, 0, v1
.LBB13_15:                              ; =>This Inner Loop Header: Depth=1
	v_ashrrev_i32_e32 v116, 31, v115
	s_delay_alu instid0(VALU_DEP_2) | instskip(SKIP_2) | instid1(VALU_DEP_2)
	v_add_co_u32 v1, s10, v1, 1
	s_wait_alu 0xfffe
	s_or_b32 s7, s10, s7
	v_lshlrev_b64_e32 v[2:3], 2, v[115:116]
	s_delay_alu instid0(VALU_DEP_1) | instskip(SKIP_1) | instid1(VALU_DEP_2)
	v_add_co_u32 v2, vcc_lo, s8, v2
	s_wait_alu 0xfffd
	v_add_co_ci_u32_e64 v3, null, s9, v3, vcc_lo
	global_load_b32 v34, v[2:3], off
	s_clause 0x7
	global_load_b128 v[2:5], v[113:114], off offset:48
	global_load_b128 v[6:9], v[113:114], off offset:32
	;; [unrolled: 1-line block ×3, first 2 shown]
	global_load_b128 v[14:17], v[113:114], off
	global_load_b128 v[18:21], v[113:114], off offset:112
	global_load_b128 v[22:25], v[113:114], off offset:96
	;; [unrolled: 1-line block ×4, first 2 shown]
	s_wait_loadcnt 0x8
	v_subrev_nc_u32_e32 v34, s12, v34
	s_delay_alu instid0(VALU_DEP_1) | instskip(NEXT) | instid1(VALU_DEP_1)
	v_lshlrev_b32_e32 v34, 2, v34
	v_ashrrev_i32_e32 v35, 31, v34
	s_delay_alu instid0(VALU_DEP_1) | instskip(SKIP_1) | instid1(VALU_DEP_1)
	v_lshlrev_b64_e32 v[34:35], 3, v[34:35]
	s_wait_kmcnt 0x0
	v_add_co_u32 v38, vcc_lo, s4, v34
	s_wait_alu 0xfffd
	s_delay_alu instid0(VALU_DEP_2)
	v_add_co_ci_u32_e64 v39, null, s5, v35, vcc_lo
	v_add_co_u32 v113, vcc_lo, 0x1000, v113
	s_wait_alu 0xfffd
	v_add_co_ci_u32_e64 v114, null, 0, v114, vcc_lo
	s_clause 0x1
	global_load_b128 v[34:37], v[38:39], off
	global_load_b128 v[38:41], v[38:39], off offset:16
	s_wait_loadcnt 0x1
	v_dual_fmac_f32 v118, v15, v34 :: v_dual_add_nc_u32 v115, 32, v115
	v_fmac_f32_e32 v119, v7, v34
	v_fmac_f32_e32 v120, v23, v34
	s_delay_alu instid0(VALU_DEP_3) | instskip(SKIP_1) | instid1(VALU_DEP_4)
	v_dual_fmac_f32 v121, v31, v34 :: v_dual_fmac_f32 v118, v14, v35
	v_fmac_f32_e32 v125, v14, v34
	v_fmac_f32_e32 v119, v6, v35
	s_delay_alu instid0(VALU_DEP_4) | instskip(NEXT) | instid1(VALU_DEP_4)
	v_fmac_f32_e32 v120, v22, v35
	v_dual_fmac_f32 v121, v30, v35 :: v_dual_fmac_f32 v118, v17, v36
	s_delay_alu instid0(VALU_DEP_4) | instskip(NEXT) | instid1(VALU_DEP_4)
	v_fma_f32 v15, -v15, v35, v125
	v_dual_fmac_f32 v126, v6, v34 :: v_dual_fmac_f32 v119, v9, v36
	s_delay_alu instid0(VALU_DEP_3) | instskip(NEXT) | instid1(VALU_DEP_3)
	v_fmac_f32_e32 v118, v16, v37
	v_fmac_f32_e32 v15, v16, v36
	s_delay_alu instid0(VALU_DEP_3) | instskip(SKIP_3) | instid1(VALU_DEP_4)
	v_fma_f32 v7, -v7, v35, v126
	v_fmac_f32_e32 v124, v30, v34
	v_dual_fmac_f32 v120, v25, v36 :: v_dual_fmac_f32 v119, v8, v37
	v_fmac_f32_e32 v121, v33, v36
	v_fmac_f32_e32 v7, v8, v36
	s_delay_alu instid0(VALU_DEP_4)
	v_fma_f32 v6, -v31, v35, v124
	v_fmac_f32_e32 v123, v22, v34
	v_fma_f32 v15, -v17, v37, v15
	v_fmac_f32_e32 v120, v24, v37
	;; [unrolled: 2-line block ×3, first 2 shown]
	v_fma_f32 v14, -v23, v35, v123
	s_wait_loadcnt 0x0
	v_dual_fmac_f32 v121, v32, v37 :: v_dual_fmac_f32 v118, v11, v38
	v_fmac_f32_e32 v15, v10, v38
	v_fma_f32 v6, -v33, v37, v6
	v_dual_fmac_f32 v14, v24, v36 :: v_dual_fmac_f32 v119, v3, v38
	s_delay_alu instid0(VALU_DEP_4) | instskip(SKIP_2) | instid1(VALU_DEP_4)
	v_fmac_f32_e32 v118, v10, v39
	v_fmac_f32_e32 v7, v2, v38
	;; [unrolled: 1-line block ×3, first 2 shown]
	v_fma_f32 v8, -v25, v37, v14
	v_fma_f32 v9, -v11, v39, v15
	v_fmac_f32_e32 v6, v26, v38
	v_fmac_f32_e32 v119, v2, v39
	v_dual_fmac_f32 v121, v27, v38 :: v_dual_fmac_f32 v120, v18, v39
	v_fmac_f32_e32 v118, v13, v40
	v_fma_f32 v3, -v3, v39, v7
	v_dual_fmac_f32 v8, v18, v38 :: v_dual_fmac_f32 v9, v12, v40
	v_fma_f32 v2, -v27, v39, v6
	v_fmac_f32_e32 v121, v26, v39
	s_delay_alu instid0(VALU_DEP_4) | instskip(NEXT) | instid1(VALU_DEP_4)
	v_fmac_f32_e32 v3, v4, v40
	v_fma_f32 v6, -v19, v39, v8
	v_dual_fmac_f32 v119, v5, v40 :: v_dual_fmac_f32 v118, v12, v41
	v_fmac_f32_e32 v2, v28, v40
	v_fmac_f32_e32 v120, v21, v40
	s_delay_alu instid0(VALU_DEP_4) | instskip(NEXT) | instid1(VALU_DEP_4)
	v_fmac_f32_e32 v6, v20, v40
	v_fmac_f32_e32 v119, v4, v41
	;; [unrolled: 1-line block ×3, first 2 shown]
	v_fma_f32 v125, -v13, v41, v9
	v_fma_f32 v126, -v5, v41, v3
	;; [unrolled: 1-line block ×4, first 2 shown]
	v_fmac_f32_e32 v120, v20, v41
	v_fmac_f32_e32 v121, v28, v41
	s_wait_alu 0xfffe
	s_and_not1_b32 exec_lo, exec_lo, s7
	s_cbranch_execnz .LBB13_15
; %bb.16:
	s_or_b32 exec_lo, exec_lo, s7
.LBB13_17:
	s_wait_alu 0xfffe
	s_or_b32 exec_lo, exec_lo, s6
	s_delay_alu instid0(SALU_CYCLE_1)
	s_mov_b32 s6, exec_lo
	v_cmpx_lt_u32_e32 0x5f, v0
	s_cbranch_execz .LBB13_21
; %bb.18:
	s_mov_b32 s7, 0
.LBB13_19:                              ; =>This Inner Loop Header: Depth=1
	v_ashrrev_i32_e32 v116, 31, v115
	s_clause 0x1c
	global_load_b128 v[0:3], v[113:114], off offset:48
	global_load_b128 v[72:75], v[113:114], off offset:32
	;; [unrolled: 1-line block ×3, first 2 shown]
	global_load_b128 v[80:83], v[113:114], off
	global_load_b128 v[12:15], v[113:114], off offset:112
	global_load_b128 v[32:35], v[113:114], off offset:96
	;; [unrolled: 1-line block ×25, first 2 shown]
	v_lshlrev_b64_e32 v[140:141], 2, v[115:116]
	s_delay_alu instid0(VALU_DEP_1) | instskip(SKIP_1) | instid1(VALU_DEP_2)
	v_add_co_u32 v140, vcc_lo, s8, v140
	s_wait_alu 0xfffd
	v_add_co_ci_u32_e64 v141, null, s9, v141, vcc_lo
	s_clause 0x3
	global_load_b32 v110, v[140:141], off
	global_load_b32 v116, v[140:141], off offset:128
	global_load_b32 v148, v[140:141], off offset:256
	;; [unrolled: 1-line block ×3, first 2 shown]
	s_wait_loadcnt 0x3
	v_subrev_nc_u32_e32 v110, s12, v110
	s_wait_loadcnt 0x2
	v_subrev_nc_u32_e32 v116, s12, v116
	s_delay_alu instid0(VALU_DEP_2) | instskip(NEXT) | instid1(VALU_DEP_1)
	v_lshlrev_b32_e32 v140, 2, v110
	v_ashrrev_i32_e32 v141, 31, v140
	s_delay_alu instid0(VALU_DEP_1) | instskip(SKIP_1) | instid1(VALU_DEP_1)
	v_lshlrev_b64_e32 v[140:141], 3, v[140:141]
	s_wait_kmcnt 0x0
	v_add_co_u32 v144, vcc_lo, s4, v140
	s_wait_alu 0xfffd
	s_delay_alu instid0(VALU_DEP_2)
	v_add_co_ci_u32_e64 v145, null, s5, v141, vcc_lo
	s_clause 0x1
	global_load_b128 v[140:143], v[144:145], off
	global_load_b128 v[144:147], v[144:145], off offset:16
	s_wait_loadcnt 0x1
	v_fmac_f32_e32 v118, v81, v140
	v_fmac_f32_e32 v120, v33, v140
	v_fmac_f32_e32 v126, v72, v140
	v_fmac_f32_e32 v119, v73, v140
	v_fmac_f32_e32 v124, v88, v140
	v_fmac_f32_e32 v118, v80, v141
	v_fmac_f32_e32 v125, v80, v140
	v_fma_f32 v73, -v73, v141, v126
	s_delay_alu instid0(VALU_DEP_3) | instskip(NEXT) | instid1(VALU_DEP_3)
	v_dual_fmac_f32 v119, v72, v141 :: v_dual_fmac_f32 v118, v83, v142
	v_fma_f32 v81, -v81, v141, v125
	v_subrev_nc_u32_e32 v125, s12, v149
	s_delay_alu instid0(VALU_DEP_3) | instskip(SKIP_3) | instid1(VALU_DEP_4)
	v_fmac_f32_e32 v119, v75, v142
	v_fmac_f32_e32 v73, v74, v142
	;; [unrolled: 1-line block ×5, first 2 shown]
	s_delay_alu instid0(VALU_DEP_4)
	v_fma_f32 v150, -v75, v143, v73
	s_wait_loadcnt 0x0
	v_fmac_f32_e32 v118, v5, v144
	v_fma_f32 v110, -v83, v143, v81
	s_clause 0x1
	global_load_b128 v[80:83], v[113:114], off offset:12384
	global_load_b128 v[72:75], v[113:114], off offset:12352
	v_fmac_f32_e32 v150, v0, v144
	v_dual_fmac_f32 v118, v4, v145 :: v_dual_fmac_f32 v119, v1, v144
	v_fmac_f32_e32 v123, v32, v140
	v_fmac_f32_e32 v110, v4, v144
	s_delay_alu instid0(VALU_DEP_4) | instskip(NEXT) | instid1(VALU_DEP_4)
	v_fma_f32 v1, -v1, v145, v150
	v_dual_fmac_f32 v118, v7, v146 :: v_dual_fmac_f32 v119, v0, v145
	s_delay_alu instid0(VALU_DEP_4) | instskip(SKIP_2) | instid1(VALU_DEP_4)
	v_fma_f32 v33, -v33, v141, v123
	v_lshlrev_b32_e32 v123, 2, v125
	v_fma_f32 v5, -v5, v145, v110
	v_fmac_f32_e32 v118, v6, v147
	v_fmac_f32_e32 v1, v2, v146
	;; [unrolled: 1-line block ×3, first 2 shown]
	v_dual_fmac_f32 v121, v89, v140 :: v_dual_fmac_f32 v120, v32, v141
	v_fma_f32 v89, -v89, v141, v124
	v_subrev_nc_u32_e32 v124, s12, v148
	s_delay_alu instid0(VALU_DEP_3) | instskip(NEXT) | instid1(VALU_DEP_4)
	v_dual_fmac_f32 v121, v88, v141 :: v_dual_lshlrev_b32 v32, 2, v116
	v_fmac_f32_e32 v120, v35, v142
	s_delay_alu instid0(VALU_DEP_4) | instskip(SKIP_1) | instid1(VALU_DEP_4)
	v_fmac_f32_e32 v89, v90, v142
	v_fma_f32 v148, -v35, v143, v33
	v_ashrrev_i32_e32 v33, 31, v32
	s_delay_alu instid0(VALU_DEP_4) | instskip(SKIP_1) | instid1(VALU_DEP_3)
	v_dual_fmac_f32 v121, v91, v142 :: v_dual_fmac_f32 v120, v34, v143
	v_dual_fmac_f32 v5, v6, v146 :: v_dual_lshlrev_b32 v34, 2, v124
	v_lshlrev_b64_e32 v[32:33], 3, v[32:33]
	s_delay_alu instid0(VALU_DEP_3) | instskip(SKIP_1) | instid1(VALU_DEP_4)
	v_fmac_f32_e32 v121, v90, v143
	v_ashrrev_i32_e32 v124, 31, v123
	v_ashrrev_i32_e32 v35, 31, v34
	v_fma_f32 v110, -v7, v147, v5
	v_dual_fmac_f32 v119, v3, v146 :: v_dual_fmac_f32 v148, v12, v144
	v_add_co_u32 v125, vcc_lo, s4, v32
	s_delay_alu instid0(VALU_DEP_4)
	v_lshlrev_b64_e32 v[34:35], 3, v[34:35]
	s_wait_alu 0xfffd
	v_add_co_ci_u32_e64 v126, null, s5, v33, vcc_lo
	v_lshlrev_b64_e32 v[123:124], 3, v[123:124]
	v_fma_f32 v151, -v91, v143, v89
	global_load_b128 v[88:91], v[113:114], off offset:12368
	v_add_co_u32 v140, vcc_lo, s4, v34
	s_wait_alu 0xfffd
	v_add_co_ci_u32_e64 v141, null, s5, v35, vcc_lo
	s_clause 0x1
	global_load_b128 v[32:35], v[125:126], off
	global_load_b128 v[4:7], v[125:126], off offset:16
	v_add_co_u32 v142, vcc_lo, s4, v123
	s_wait_alu 0xfffd
	v_add_co_ci_u32_e64 v143, null, s5, v124, vcc_lo
	v_fma_f32 v116, -v3, v147, v1
	v_dual_fmac_f32 v119, v2, v147 :: v_dual_fmac_f32 v120, v13, v144
	s_clause 0x1
	global_load_b128 v[0:3], v[140:141], off
	global_load_b128 v[123:126], v[140:141], off offset:16
	v_fmac_f32_e32 v121, v21, v144
	v_fma_f32 v13, -v13, v145, v148
	v_add_co_u32 v113, vcc_lo, 0x4000, v113
	v_fmac_f32_e32 v120, v12, v145
	v_fmac_f32_e32 v151, v20, v144
	s_wait_alu 0xfffd
	v_add_co_ci_u32_e64 v114, null, 0, v114, vcc_lo
	s_delay_alu instid0(VALU_DEP_3) | instskip(NEXT) | instid1(VALU_DEP_3)
	v_fmac_f32_e32 v120, v15, v146
	v_fma_f32 v21, -v21, v145, v151
	s_delay_alu instid0(VALU_DEP_2) | instskip(NEXT) | instid1(VALU_DEP_2)
	v_dual_fmac_f32 v121, v20, v145 :: v_dual_fmac_f32 v120, v14, v147
	v_fmac_f32_e32 v21, v22, v146
	s_delay_alu instid0(VALU_DEP_2) | instskip(SKIP_1) | instid1(VALU_DEP_3)
	v_fmac_f32_e32 v121, v23, v146
	s_wait_loadcnt 0x3
	v_dual_fmac_f32 v120, v53, v32 :: v_dual_add_nc_u32 v115, 0x80, v115
	v_fmac_f32_e32 v110, v28, v32
	v_fma_f32 v140, -v23, v147, v21
	v_dual_fmac_f32 v118, v29, v32 :: v_dual_fmac_f32 v121, v22, v147
	v_fmac_f32_e32 v116, v24, v32
	global_load_b128 v[20:23], v[142:143], off
	v_dual_fmac_f32 v13, v14, v146 :: v_dual_fmac_f32 v140, v60, v32
	v_dual_fmac_f32 v119, v25, v32 :: v_dual_fmac_f32 v118, v28, v33
	;; [unrolled: 1-line block ×3, first 2 shown]
	s_delay_alu instid0(VALU_DEP_3)
	v_fma_f32 v141, -v15, v147, v13
	global_load_b128 v[12:15], v[142:143], off offset:16
	v_fma_f32 v29, -v29, v33, v110
	v_fmac_f32_e32 v119, v24, v33
	v_fma_f32 v24, -v61, v33, v140
	v_dual_fmac_f32 v141, v52, v32 :: v_dual_fmac_f32 v118, v31, v34
	v_fma_f32 v25, -v25, v33, v116
	v_cmp_ge_i32_e32 vcc_lo, v115, v122
	s_delay_alu instid0(VALU_DEP_4) | instskip(NEXT) | instid1(VALU_DEP_4)
	v_fmac_f32_e32 v24, v62, v34
	v_fma_f32 v28, -v53, v33, v141
	v_fmac_f32_e32 v121, v60, v33
	v_dual_fmac_f32 v119, v27, v34 :: v_dual_fmac_f32 v118, v30, v35
	v_fmac_f32_e32 v29, v30, v34
	s_delay_alu instid0(VALU_DEP_4) | instskip(NEXT) | instid1(VALU_DEP_3)
	v_fmac_f32_e32 v28, v54, v34
	v_dual_fmac_f32 v120, v55, v34 :: v_dual_fmac_f32 v119, v26, v35
	v_fmac_f32_e32 v121, v63, v34
	v_fma_f32 v24, -v63, v35, v24
	s_wait_loadcnt 0x4
	v_dual_fmac_f32 v25, v26, v34 :: v_dual_fmac_f32 v118, v17, v4
	v_fma_f32 v29, -v31, v35, v29
	v_fma_f32 v26, -v55, v35, v28
	v_fmac_f32_e32 v120, v54, v35
	v_fmac_f32_e32 v121, v62, v35
	v_dual_fmac_f32 v119, v9, v4 :: v_dual_fmac_f32 v118, v16, v5
	v_fmac_f32_e32 v29, v16, v4
	v_fmac_f32_e32 v24, v44, v4
	v_fma_f32 v25, -v27, v35, v25
	v_fmac_f32_e32 v26, v36, v4
	v_dual_fmac_f32 v120, v37, v4 :: v_dual_fmac_f32 v119, v8, v5
	v_fmac_f32_e32 v121, v45, v4
	s_delay_alu instid0(VALU_DEP_4) | instskip(SKIP_3) | instid1(VALU_DEP_4)
	v_dual_fmac_f32 v25, v8, v4 :: v_dual_fmac_f32 v118, v19, v6
	v_fma_f32 v4, -v17, v5, v29
	v_fma_f32 v8, -v45, v5, v24
	v_fmac_f32_e32 v120, v36, v5
	v_fma_f32 v9, -v9, v5, v25
	s_delay_alu instid0(VALU_DEP_4) | instskip(SKIP_3) | instid1(VALU_DEP_3)
	v_dual_fmac_f32 v121, v44, v5 :: v_dual_fmac_f32 v4, v18, v6
	v_dual_fmac_f32 v119, v11, v6 :: v_dual_fmac_f32 v118, v18, v7
	v_fma_f32 v16, -v37, v5, v26
	v_fmac_f32_e32 v8, v46, v6
	v_dual_fmac_f32 v120, v39, v6 :: v_dual_fmac_f32 v119, v10, v7
	v_fmac_f32_e32 v121, v47, v6
	v_fma_f32 v4, -v19, v7, v4
	v_fmac_f32_e32 v9, v10, v6
	s_delay_alu instid0(VALU_DEP_4)
	v_fmac_f32_e32 v120, v38, v7
	s_wait_loadcnt 0x3
	v_dual_fmac_f32 v118, v65, v0 :: v_dual_fmac_f32 v121, v46, v7
	v_fmac_f32_e32 v4, v64, v0
	v_fma_f32 v5, -v11, v7, v9
	v_fmac_f32_e32 v16, v38, v6
	v_fma_f32 v6, -v47, v7, v8
	v_dual_fmac_f32 v119, v57, v0 :: v_dual_fmac_f32 v118, v64, v1
	s_delay_alu instid0(VALU_DEP_4) | instskip(NEXT) | instid1(VALU_DEP_4)
	v_fmac_f32_e32 v5, v56, v0
	v_fma_f32 v8, -v39, v7, v16
	s_delay_alu instid0(VALU_DEP_3) | instskip(SKIP_2) | instid1(VALU_DEP_4)
	v_dual_fmac_f32 v120, v77, v0 :: v_dual_fmac_f32 v119, v56, v1
	v_fmac_f32_e32 v6, v128, v0
	v_fmac_f32_e32 v121, v129, v0
	;; [unrolled: 1-line block ×3, first 2 shown]
	v_fma_f32 v0, -v65, v1, v4
	v_fma_f32 v4, -v57, v1, v5
	v_fmac_f32_e32 v120, v76, v1
	v_fmac_f32_e32 v121, v128, v1
	;; [unrolled: 1-line block ×3, first 2 shown]
	v_fma_f32 v5, -v129, v1, v6
	v_fmac_f32_e32 v0, v66, v2
	v_fmac_f32_e32 v118, v67, v2
	;; [unrolled: 1-line block ×5, first 2 shown]
	v_fma_f32 v6, -v77, v1, v8
	v_dual_fmac_f32 v121, v131, v2 :: v_dual_fmac_f32 v118, v66, v3
	v_fmac_f32_e32 v120, v79, v2
	v_fma_f32 v1, -v59, v3, v4
	s_wait_loadcnt 0x2
	v_dual_fmac_f32 v6, v78, v2 :: v_dual_fmac_f32 v119, v41, v123
	v_fmac_f32_e32 v121, v130, v3
	v_fma_f32 v0, -v67, v3, v0
	v_fma_f32 v2, -v131, v3, v5
	s_delay_alu instid0(VALU_DEP_4) | instskip(SKIP_4) | instid1(VALU_DEP_4)
	v_fma_f32 v4, -v79, v3, v6
	v_dual_fmac_f32 v120, v78, v3 :: v_dual_fmac_f32 v119, v40, v124
	v_fmac_f32_e32 v121, v97, v123
	v_fmac_f32_e32 v118, v49, v123
	;; [unrolled: 1-line block ×3, first 2 shown]
	v_dual_fmac_f32 v2, v96, v123 :: v_dual_fmac_f32 v119, v43, v125
	s_delay_alu instid0(VALU_DEP_4) | instskip(SKIP_1) | instid1(VALU_DEP_4)
	v_fmac_f32_e32 v121, v96, v124
	v_fmac_f32_e32 v4, v68, v123
	v_fma_f32 v1, -v41, v124, v1
	v_fmac_f32_e32 v0, v48, v123
	s_delay_alu instid0(VALU_DEP_4) | instskip(NEXT) | instid1(VALU_DEP_4)
	v_dual_fmac_f32 v118, v48, v124 :: v_dual_fmac_f32 v121, v99, v125
	v_fma_f32 v3, -v69, v124, v4
	v_fmac_f32_e32 v120, v69, v123
	v_fma_f32 v2, -v97, v124, v2
	v_fmac_f32_e32 v1, v42, v125
	v_fma_f32 v0, -v49, v124, v0
	s_delay_alu instid0(VALU_DEP_4) | instskip(SKIP_3) | instid1(VALU_DEP_4)
	v_dual_fmac_f32 v3, v70, v125 :: v_dual_fmac_f32 v120, v68, v124
	v_dual_fmac_f32 v119, v42, v126 :: v_dual_fmac_f32 v118, v51, v125
	v_fmac_f32_e32 v121, v98, v126
	v_fmac_f32_e32 v2, v98, v125
	;; [unrolled: 1-line block ×3, first 2 shown]
	v_fma_f32 v1, -v43, v126, v1
	v_fmac_f32_e32 v0, v50, v125
	v_fma_f32 v3, -v71, v126, v3
	v_fmac_f32_e32 v118, v50, v126
	s_wait_alu 0xfffe
	s_or_b32 s7, vcc_lo, s7
	s_wait_loadcnt 0x1
	v_fmac_f32_e32 v1, v100, v20
	v_fma_f32 v0, -v51, v126, v0
	v_fmac_f32_e32 v119, v101, v20
	v_fma_f32 v2, -v99, v126, v2
	v_dual_fmac_f32 v121, v73, v20 :: v_dual_fmac_f32 v120, v70, v126
	v_fmac_f32_e32 v3, v80, v20
	v_fmac_f32_e32 v118, v133, v20
	v_fma_f32 v1, -v101, v21, v1
	v_fmac_f32_e32 v0, v132, v20
	v_fmac_f32_e32 v119, v100, v21
	v_fmac_f32_e32 v2, v72, v20
	v_dual_fmac_f32 v121, v72, v21 :: v_dual_fmac_f32 v120, v81, v20
	v_fma_f32 v3, -v81, v21, v3
	v_dual_fmac_f32 v118, v132, v21 :: v_dual_fmac_f32 v1, v102, v22
	v_fma_f32 v0, -v133, v21, v0
	v_fmac_f32_e32 v119, v103, v22
	v_fma_f32 v2, -v73, v21, v2
	v_dual_fmac_f32 v121, v75, v22 :: v_dual_fmac_f32 v120, v80, v21
	v_fmac_f32_e32 v3, v82, v22
	v_fmac_f32_e32 v118, v135, v22
	v_fma_f32 v1, -v103, v23, v1
	v_fmac_f32_e32 v0, v134, v22
	v_fmac_f32_e32 v119, v102, v23
	;; [unrolled: 1-line block ×3, first 2 shown]
	v_dual_fmac_f32 v121, v74, v23 :: v_dual_fmac_f32 v120, v83, v22
	v_fma_f32 v3, -v83, v23, v3
	s_wait_loadcnt 0x0
	v_dual_fmac_f32 v118, v134, v23 :: v_dual_fmac_f32 v1, v84, v12
	v_fma_f32 v0, -v135, v23, v0
	v_fmac_f32_e32 v119, v85, v12
	v_fma_f32 v2, -v75, v23, v2
	v_dual_fmac_f32 v121, v89, v12 :: v_dual_fmac_f32 v120, v82, v23
	v_fmac_f32_e32 v3, v136, v12
	v_fmac_f32_e32 v118, v93, v12
	v_fma_f32 v1, -v85, v13, v1
	v_fmac_f32_e32 v0, v92, v12
	v_fmac_f32_e32 v119, v84, v13
	;; [unrolled: 1-line block ×3, first 2 shown]
	v_dual_fmac_f32 v121, v88, v13 :: v_dual_fmac_f32 v120, v137, v12
	v_fma_f32 v3, -v137, v13, v3
	v_dual_fmac_f32 v118, v92, v13 :: v_dual_fmac_f32 v1, v86, v14
	v_fma_f32 v0, -v93, v13, v0
	v_fmac_f32_e32 v119, v87, v14
	v_fma_f32 v2, -v89, v13, v2
	v_dual_fmac_f32 v121, v91, v14 :: v_dual_fmac_f32 v120, v136, v13
	s_delay_alu instid0(VALU_DEP_4) | instskip(SKIP_1) | instid1(VALU_DEP_3)
	v_fmac_f32_e32 v0, v94, v14
	v_fmac_f32_e32 v3, v138, v14
	v_dual_fmac_f32 v118, v95, v14 :: v_dual_fmac_f32 v121, v90, v15
	v_fmac_f32_e32 v2, v90, v14
	v_dual_fmac_f32 v119, v86, v15 :: v_dual_fmac_f32 v120, v139, v14
	v_fma_f32 v125, -v95, v15, v0
	s_delay_alu instid0(VALU_DEP_4)
	v_fmac_f32_e32 v118, v94, v15
	v_fma_f32 v126, -v87, v15, v1
	v_fma_f32 v124, -v91, v15, v2
	;; [unrolled: 1-line block ×3, first 2 shown]
	v_fmac_f32_e32 v120, v138, v15
	s_wait_alu 0xfffe
	s_and_not1_b32 exec_lo, exec_lo, s7
	s_cbranch_execnz .LBB13_19
; %bb.20:
	s_or_b32 exec_lo, exec_lo, s7
.LBB13_21:
	s_wait_alu 0xfffe
	s_or_b32 exec_lo, exec_lo, s6
.LBB13_22:
	s_wait_alu 0xfffe
	s_or_b32 exec_lo, exec_lo, s3
	s_cbranch_execz .LBB13_24
	s_branch .LBB13_35
.LBB13_23:
                                        ; implicit-def: $vgpr118
                                        ; implicit-def: $vgpr125
                                        ; implicit-def: $vgpr123
                                        ; implicit-def: $vgpr120
                                        ; implicit-def: $vgpr124
                                        ; implicit-def: $vgpr121
                                        ; implicit-def: $vgpr126
                                        ; implicit-def: $vgpr119
.LBB13_24:
	v_dual_mov_b32 v118, 0 :: v_dual_mov_b32 v125, 0
	v_dual_mov_b32 v123, 0 :: v_dual_mov_b32 v120, 0
	;; [unrolled: 1-line block ×4, first 2 shown]
	s_and_saveexec_b32 s3, s2
	s_cbranch_execz .LBB13_34
; %bb.25:
	v_dual_mov_b32 v119, 0 :: v_dual_add_nc_u32 v0, v127, v117
	v_not_b32_e32 v1, v127
	v_dual_mov_b32 v124, 0 :: v_dual_mov_b32 v123, 0
	s_delay_alu instid0(VALU_DEP_3) | instskip(SKIP_3) | instid1(VALU_DEP_3)
	v_subrev_nc_u32_e32 v0, s12, v0
	v_dual_mov_b32 v120, 0 :: v_dual_mov_b32 v125, 0
	v_mov_b32_e32 v118, 0
	s_mov_b32 s2, exec_lo
	v_dual_mov_b32 v121, 0 :: v_dual_add_nc_u32 v0, 32, v0
	s_delay_alu instid0(VALU_DEP_1) | instskip(NEXT) | instid1(VALU_DEP_1)
	v_max_i32_e32 v0, v0, v122
	v_add3_u32 v0, s12, v0, v1
	s_delay_alu instid0(VALU_DEP_1) | instskip(NEXT) | instid1(VALU_DEP_1)
	v_sub_nc_u32_e32 v0, v0, v117
	v_dual_mov_b32 v126, 0 :: v_dual_and_b32 v1, 0x60, v0
	s_delay_alu instid0(VALU_DEP_1)
	v_cmpx_ne_u32_e32 0x60, v1
	s_cbranch_execz .LBB13_29
; %bb.26:
	v_lshrrev_b32_e32 v1, 5, v0
	v_dual_mov_b32 v125, 0 :: v_dual_mov_b32 v120, 0
	v_dual_mov_b32 v123, 0 :: v_dual_mov_b32 v124, 0
	s_delay_alu instid0(VALU_DEP_3) | instskip(SKIP_3) | instid1(VALU_DEP_3)
	v_dual_mov_b32 v118, 0 :: v_dual_add_nc_u32 v1, 1, v1
	v_mov_b32_e32 v121, 0
	v_mov_b32_e32 v119, 0
	s_mov_b32 s6, 0
	v_dual_mov_b32 v126, 0 :: v_dual_and_b32 v1, 3, v1
	s_delay_alu instid0(VALU_DEP_1)
	v_sub_nc_u32_e32 v1, 0, v1
.LBB13_27:                              ; =>This Inner Loop Header: Depth=1
	v_ashrrev_i32_e32 v110, 31, v109
	s_delay_alu instid0(VALU_DEP_2) | instskip(SKIP_2) | instid1(VALU_DEP_2)
	v_add_co_u32 v1, s7, v1, 1
	s_wait_alu 0xfffe
	s_or_b32 s6, s7, s6
	v_lshlrev_b64_e32 v[2:3], 2, v[109:110]
	s_delay_alu instid0(VALU_DEP_1) | instskip(SKIP_1) | instid1(VALU_DEP_2)
	v_add_co_u32 v2, vcc_lo, s8, v2
	s_wait_alu 0xfffd
	v_add_co_ci_u32_e64 v3, null, s9, v3, vcc_lo
	global_load_b32 v14, v[2:3], off
	s_clause 0x2
	global_load_b128 v[2:5], v[111:112], off offset:32
	global_load_b128 v[6:9], v[111:112], off offset:16
	global_load_b128 v[10:13], v[111:112], off
	s_wait_loadcnt 0x3
	v_subrev_nc_u32_e32 v14, s12, v14
	s_delay_alu instid0(VALU_DEP_1) | instskip(NEXT) | instid1(VALU_DEP_1)
	v_lshlrev_b32_e32 v14, 2, v14
	v_ashrrev_i32_e32 v15, 31, v14
	s_delay_alu instid0(VALU_DEP_1) | instskip(SKIP_1) | instid1(VALU_DEP_1)
	v_lshlrev_b64_e32 v[14:15], 3, v[14:15]
	s_wait_kmcnt 0x0
	v_add_co_u32 v18, vcc_lo, s4, v14
	s_wait_alu 0xfffd
	s_delay_alu instid0(VALU_DEP_2)
	v_add_co_ci_u32_e64 v19, null, s5, v15, vcc_lo
	s_clause 0x1
	global_load_b128 v[14:17], v[18:19], off
	global_load_b128 v[18:21], v[18:19], off offset:16
	s_clause 0x4
	global_load_b128 v[22:25], v[111:112], off offset:48
	global_load_b128 v[26:29], v[111:112], off offset:64
	;; [unrolled: 1-line block ×5, first 2 shown]
	v_add_nc_u32_e32 v109, 32, v109
	v_add_co_u32 v111, vcc_lo, 0x1000, v111
	s_wait_alu 0xfffd
	v_add_co_ci_u32_e64 v112, null, 0, v112, vcc_lo
	s_wait_loadcnt 0x6
	v_fmac_f32_e32 v118, v11, v14
	v_fmac_f32_e32 v119, v13, v14
	;; [unrolled: 1-line block ×6, first 2 shown]
	v_dual_fmac_f32 v118, v10, v15 :: v_dual_fmac_f32 v123, v8, v14
	v_dual_fmac_f32 v119, v12, v15 :: v_dual_fmac_f32 v124, v6, v14
	v_fmac_f32_e32 v121, v6, v15
	v_fma_f32 v10, -v13, v15, v126
	v_fmac_f32_e32 v120, v8, v15
	v_fma_f32 v11, -v11, v15, v125
	v_fmac_f32_e32 v118, v3, v16
	v_fma_f32 v6, -v9, v15, v123
	v_fmac_f32_e32 v119, v5, v16
	v_fma_f32 v7, -v7, v15, v124
	v_fmac_f32_e32 v11, v2, v16
	v_fmac_f32_e32 v10, v4, v16
	s_wait_loadcnt 0x4
	v_dual_fmac_f32 v121, v23, v16 :: v_dual_fmac_f32 v118, v2, v17
	v_fmac_f32_e32 v6, v24, v16
	v_dual_fmac_f32 v120, v25, v16 :: v_dual_fmac_f32 v119, v4, v17
	v_fmac_f32_e32 v7, v22, v16
	v_fma_f32 v3, -v3, v17, v11
	v_fma_f32 v2, -v5, v17, v10
	v_fmac_f32_e32 v121, v22, v17
	v_fma_f32 v5, -v25, v17, v6
	v_fmac_f32_e32 v120, v24, v17
	v_fma_f32 v4, -v23, v17, v7
	s_wait_loadcnt 0x3
	v_fmac_f32_e32 v119, v29, v18
	v_fmac_f32_e32 v118, v27, v18
	s_wait_loadcnt 0x2
	v_fmac_f32_e32 v121, v31, v18
	v_fmac_f32_e32 v2, v28, v18
	;; [unrolled: 1-line block ×4, first 2 shown]
	v_dual_fmac_f32 v119, v28, v19 :: v_dual_fmac_f32 v4, v30, v18
	v_dual_fmac_f32 v118, v26, v19 :: v_dual_fmac_f32 v5, v32, v18
	v_fmac_f32_e32 v121, v30, v19
	v_fma_f32 v2, -v29, v19, v2
	v_fmac_f32_e32 v120, v32, v19
	v_fma_f32 v3, -v27, v19, v3
	s_wait_loadcnt 0x1
	v_fmac_f32_e32 v118, v35, v20
	v_fma_f32 v5, -v33, v19, v5
	v_fmac_f32_e32 v119, v37, v20
	v_fma_f32 v4, -v31, v19, v4
	v_fmac_f32_e32 v3, v34, v20
	v_fmac_f32_e32 v2, v36, v20
	s_wait_loadcnt 0x0
	v_dual_fmac_f32 v121, v39, v20 :: v_dual_fmac_f32 v118, v34, v21
	v_dual_fmac_f32 v4, v38, v20 :: v_dual_fmac_f32 v119, v36, v21
	v_fmac_f32_e32 v5, v40, v20
	s_delay_alu instid0(VALU_DEP_3)
	v_dual_fmac_f32 v120, v41, v20 :: v_dual_fmac_f32 v121, v38, v21
	v_fma_f32 v125, -v35, v21, v3
	v_fma_f32 v126, -v37, v21, v2
	;; [unrolled: 1-line block ×4, first 2 shown]
	v_fmac_f32_e32 v120, v40, v21
	s_wait_alu 0xfffe
	s_and_not1_b32 exec_lo, exec_lo, s6
	s_cbranch_execnz .LBB13_27
; %bb.28:
	s_or_b32 exec_lo, exec_lo, s6
.LBB13_29:
	s_wait_alu 0xfffe
	s_or_b32 exec_lo, exec_lo, s2
	s_delay_alu instid0(SALU_CYCLE_1)
	s_mov_b32 s2, exec_lo
	v_cmpx_lt_u32_e32 0x5f, v0
	s_cbranch_execz .LBB13_33
; %bb.30:
	s_mov_b32 s6, 0
.LBB13_31:                              ; =>This Inner Loop Header: Depth=1
	v_ashrrev_i32_e32 v110, 31, v109
	s_clause 0x16
	global_load_b128 v[44:47], v[111:112], off offset:48
	global_load_b128 v[56:59], v[111:112], off offset:32
	;; [unrolled: 1-line block ×3, first 2 shown]
	global_load_b128 v[64:67], v[111:112], off
	global_load_b128 v[8:11], v[111:112], off offset:112
	global_load_b128 v[32:35], v[111:112], off offset:96
	;; [unrolled: 1-line block ×19, first 2 shown]
	v_lshlrev_b64_e32 v[92:93], 2, v[109:110]
	v_add_nc_u32_e32 v109, 0x80, v109
	s_delay_alu instid0(VALU_DEP_2) | instskip(SKIP_1) | instid1(VALU_DEP_3)
	v_add_co_u32 v92, vcc_lo, s8, v92
	s_wait_alu 0xfffd
	v_add_co_ci_u32_e64 v93, null, s9, v93, vcc_lo
	s_clause 0x3
	global_load_b32 v94, v[92:93], off
	global_load_b32 v100, v[92:93], off offset:128
	global_load_b32 v101, v[92:93], off offset:256
	;; [unrolled: 1-line block ×3, first 2 shown]
	s_wait_loadcnt 0x3
	v_subrev_nc_u32_e32 v92, s12, v94
	s_delay_alu instid0(VALU_DEP_1) | instskip(NEXT) | instid1(VALU_DEP_1)
	v_lshlrev_b32_e32 v92, 2, v92
	v_ashrrev_i32_e32 v93, 31, v92
	s_delay_alu instid0(VALU_DEP_1) | instskip(SKIP_1) | instid1(VALU_DEP_1)
	v_lshlrev_b64_e32 v[92:93], 3, v[92:93]
	s_wait_kmcnt 0x0
	v_add_co_u32 v96, vcc_lo, s4, v92
	s_wait_alu 0xfffd
	s_delay_alu instid0(VALU_DEP_2)
	v_add_co_ci_u32_e64 v97, null, s5, v93, vcc_lo
	s_clause 0x1
	global_load_b128 v[92:95], v[96:97], off
	global_load_b128 v[96:99], v[96:97], off offset:16
	s_wait_loadcnt 0x1
	v_fmac_f32_e32 v120, v63, v92
	s_delay_alu instid0(VALU_DEP_1) | instskip(NEXT) | instid1(VALU_DEP_1)
	v_dual_fmac_f32 v125, v64, v92 :: v_dual_fmac_f32 v120, v62, v93
	v_fma_f32 v103, -v65, v93, v125
	s_delay_alu instid0(VALU_DEP_1) | instskip(NEXT) | instid1(VALU_DEP_1)
	v_dual_fmac_f32 v126, v66, v92 :: v_dual_fmac_f32 v103, v56, v94
	v_fma_f32 v110, -v67, v93, v126
	v_fmac_f32_e32 v121, v61, v92
	s_delay_alu instid0(VALU_DEP_3) | instskip(NEXT) | instid1(VALU_DEP_3)
	v_fma_f32 v114, -v57, v95, v103
	v_fmac_f32_e32 v110, v58, v94
	s_delay_alu instid0(VALU_DEP_3) | instskip(SKIP_1) | instid1(VALU_DEP_3)
	v_dual_fmac_f32 v118, v65, v92 :: v_dual_fmac_f32 v121, v60, v93
	v_fmac_f32_e32 v119, v67, v92
	v_fma_f32 v110, -v59, v95, v110
	s_delay_alu instid0(VALU_DEP_3) | instskip(NEXT) | instid1(VALU_DEP_3)
	v_dual_fmac_f32 v118, v64, v93 :: v_dual_fmac_f32 v123, v62, v92
	v_dual_fmac_f32 v119, v66, v93 :: v_dual_fmac_f32 v124, v60, v92
	v_fmac_f32_e32 v121, v45, v94
	s_delay_alu instid0(VALU_DEP_3) | instskip(NEXT) | instid1(VALU_DEP_4)
	v_fmac_f32_e32 v118, v57, v94
	v_fma_f32 v113, -v63, v93, v123
	s_delay_alu instid0(VALU_DEP_4) | instskip(SKIP_4) | instid1(VALU_DEP_4)
	v_fmac_f32_e32 v119, v59, v94
	v_fma_f32 v92, -v61, v93, v124
	v_subrev_nc_u32_e32 v93, s12, v100
	v_fmac_f32_e32 v118, v56, v95
	v_subrev_nc_u32_e32 v100, s12, v101
	v_dual_fmac_f32 v119, v58, v95 :: v_dual_fmac_f32 v92, v44, v94
	v_dual_fmac_f32 v120, v47, v94 :: v_dual_fmac_f32 v121, v44, v95
	v_subrev_nc_u32_e32 v101, s12, v102
	v_dual_fmac_f32 v113, v46, v94 :: v_dual_lshlrev_b32 v44, 2, v93
	s_wait_loadcnt 0x0
	v_fmac_f32_e32 v119, v55, v96
	v_fma_f32 v115, -v45, v95, v92
	v_fmac_f32_e32 v120, v46, v95
	v_lshlrev_b32_e32 v46, 2, v100
	v_dual_fmac_f32 v121, v49, v96 :: v_dual_lshlrev_b32 v92, 2, v101
	v_ashrrev_i32_e32 v45, 31, v44
	v_fma_f32 v113, -v47, v95, v113
	v_fmac_f32_e32 v119, v54, v97
	v_ashrrev_i32_e32 v47, 31, v46
	v_ashrrev_i32_e32 v93, 31, v92
	v_lshlrev_b64_e32 v[44:45], 3, v[44:45]
	s_delay_alu instid0(VALU_DEP_4) | instskip(NEXT) | instid1(VALU_DEP_4)
	v_dual_fmac_f32 v110, v54, v96 :: v_dual_fmac_f32 v119, v35, v98
	v_lshlrev_b64_e32 v[46:47], 3, v[46:47]
	s_delay_alu instid0(VALU_DEP_4)
	v_lshlrev_b64_e32 v[92:93], 3, v[92:93]
	v_dual_fmac_f32 v118, v53, v96 :: v_dual_fmac_f32 v121, v48, v97
	v_add_co_u32 v94, vcc_lo, s4, v44
	s_wait_alu 0xfffd
	v_add_co_ci_u32_e64 v95, null, s5, v45, vcc_lo
	v_add_co_u32 v100, vcc_lo, s4, v46
	s_wait_alu 0xfffd
	v_add_co_ci_u32_e64 v101, null, s5, v47, vcc_lo
	;; [unrolled: 3-line block ×3, first 2 shown]
	v_fma_f32 v93, -v55, v97, v110
	v_fmac_f32_e32 v114, v52, v96
	v_dual_fmac_f32 v118, v52, v97 :: v_dual_fmac_f32 v113, v50, v96
	v_fmac_f32_e32 v115, v48, v96
	v_dual_fmac_f32 v120, v51, v96 :: v_dual_fmac_f32 v119, v34, v99
	v_fmac_f32_e32 v93, v34, v98
	v_fma_f32 v92, -v53, v97, v114
	s_delay_alu instid0(VALU_DEP_4)
	v_fma_f32 v96, -v49, v97, v115
	v_fma_f32 v110, -v51, v97, v113
	v_dual_fmac_f32 v120, v50, v97 :: v_dual_fmac_f32 v121, v9, v98
	v_fma_f32 v113, -v35, v99, v93
	v_fmac_f32_e32 v92, v32, v98
	v_fmac_f32_e32 v118, v33, v98
	;; [unrolled: 1-line block ×3, first 2 shown]
	v_dual_fmac_f32 v121, v8, v99 :: v_dual_fmac_f32 v120, v11, v98
	s_delay_alu instid0(VALU_DEP_4)
	v_fma_f32 v97, -v33, v99, v92
	v_fmac_f32_e32 v110, v10, v98
	s_clause 0x5
	global_load_b128 v[64:67], v[111:112], off offset:8256
	global_load_b128 v[52:55], v[111:112], off offset:12288
	;; [unrolled: 1-line block ×6, first 2 shown]
	v_fmac_f32_e32 v118, v32, v99
	global_load_b128 v[32:35], v[111:112], off offset:12368
	v_fma_f32 v114, -v9, v99, v96
	v_fma_f32 v110, -v11, v99, v110
	v_fmac_f32_e32 v120, v10, v99
	s_clause 0x1
	global_load_b128 v[8:11], v[94:95], off
	global_load_b128 v[92:95], v[94:95], off offset:16
	s_wait_loadcnt 0x1
	v_fmac_f32_e32 v97, v40, v8
	v_fmac_f32_e32 v113, v42, v8
	;; [unrolled: 1-line block ×4, first 2 shown]
	s_delay_alu instid0(VALU_DEP_4) | instskip(SKIP_3) | instid1(VALU_DEP_4)
	v_fma_f32 v115, -v41, v9, v97
	v_fmac_f32_e32 v118, v41, v8
	v_fma_f32 v113, -v43, v9, v113
	v_dual_fmac_f32 v119, v42, v9 :: v_dual_fmac_f32 v114, v36, v8
	v_fmac_f32_e32 v115, v28, v10
	s_delay_alu instid0(VALU_DEP_3)
	v_dual_fmac_f32 v118, v40, v9 :: v_dual_fmac_f32 v113, v30, v10
	s_clause 0x1
	global_load_b128 v[40:43], v[100:101], off
	global_load_b128 v[96:99], v[100:101], off offset:16
	v_dual_fmac_f32 v121, v36, v9 :: v_dual_fmac_f32 v110, v38, v8
	v_fmac_f32_e32 v119, v31, v10
	v_fmac_f32_e32 v120, v39, v8
	v_fma_f32 v8, -v37, v9, v114
	s_delay_alu instid0(VALU_DEP_4)
	v_fmac_f32_e32 v121, v25, v10
	v_fma_f32 v100, -v39, v9, v110
	v_fmac_f32_e32 v119, v30, v11
	v_fmac_f32_e32 v120, v38, v9
	global_load_b128 v[36:39], v[102:103], off
	v_fmac_f32_e32 v118, v29, v10
	v_fma_f32 v101, -v29, v11, v115
	v_fma_f32 v110, -v31, v11, v113
	v_dual_fmac_f32 v100, v26, v10 :: v_dual_fmac_f32 v121, v24, v11
	s_wait_loadcnt 0x3
	v_dual_fmac_f32 v118, v28, v11 :: v_dual_fmac_f32 v119, v19, v92
	global_load_b128 v[28:31], v[102:103], off offset:16
	v_dual_fmac_f32 v8, v24, v10 :: v_dual_fmac_f32 v121, v13, v92
	v_dual_fmac_f32 v120, v27, v10 :: v_dual_fmac_f32 v119, v18, v93
	v_fmac_f32_e32 v101, v16, v92
	s_delay_alu instid0(VALU_DEP_3) | instskip(SKIP_1) | instid1(VALU_DEP_4)
	v_fma_f32 v102, -v25, v11, v8
	v_fma_f32 v100, -v27, v11, v100
	v_dual_fmac_f32 v120, v26, v11 :: v_dual_fmac_f32 v121, v12, v93
	s_clause 0x1
	global_load_b128 v[8:11], v[111:112], off offset:12384
	global_load_b128 v[24:27], v[111:112], off offset:12400
	v_fmac_f32_e32 v102, v12, v92
	v_fmac_f32_e32 v118, v17, v92
	v_dual_fmac_f32 v110, v18, v92 :: v_dual_fmac_f32 v119, v7, v94
	v_fma_f32 v17, -v17, v93, v101
	v_fmac_f32_e32 v121, v1, v94
	v_fma_f32 v13, -v13, v93, v102
	v_fmac_f32_e32 v100, v14, v92
	v_dual_fmac_f32 v120, v15, v92 :: v_dual_fmac_f32 v119, v6, v95
	v_fmac_f32_e32 v17, v4, v94
	v_fmac_f32_e32 v118, v16, v93
	v_fma_f32 v16, -v19, v93, v110
	v_fmac_f32_e32 v13, v0, v94
	v_fma_f32 v12, -v15, v93, v100
	v_dual_fmac_f32 v120, v14, v93 :: v_dual_fmac_f32 v121, v0, v95
	v_add_co_u32 v111, vcc_lo, 0x4000, v111
	s_delay_alu instid0(VALU_DEP_4)
	v_fma_f32 v1, -v1, v95, v13
	v_fmac_f32_e32 v16, v6, v94
	v_fmac_f32_e32 v12, v2, v94
	s_wait_alu 0xfffd
	v_add_co_ci_u32_e64 v112, null, 0, v112, vcc_lo
	v_cmp_ge_i32_e32 vcc_lo, v109, v122
	s_wait_alu 0xfffe
	s_or_b32 s6, vcc_lo, s6
	s_wait_loadcnt 0x5
	v_dual_fmac_f32 v119, v79, v40 :: v_dual_fmac_f32 v118, v5, v94
	v_fma_f32 v5, -v5, v95, v17
	v_dual_fmac_f32 v1, v72, v40 :: v_dual_fmac_f32 v120, v3, v94
	s_delay_alu instid0(VALU_DEP_3) | instskip(SKIP_1) | instid1(VALU_DEP_4)
	v_fmac_f32_e32 v119, v78, v41
	v_fmac_f32_e32 v121, v73, v40
	;; [unrolled: 1-line block ×4, first 2 shown]
	v_fma_f32 v4, -v7, v95, v16
	v_fma_f32 v1, -v73, v41, v1
	;; [unrolled: 1-line block ×3, first 2 shown]
	v_dual_fmac_f32 v120, v2, v95 :: v_dual_fmac_f32 v121, v72, v41
	s_delay_alu instid0(VALU_DEP_3) | instskip(NEXT) | instid1(VALU_DEP_3)
	v_dual_fmac_f32 v4, v78, v40 :: v_dual_fmac_f32 v1, v20, v42
	v_dual_fmac_f32 v0, v74, v40 :: v_dual_fmac_f32 v119, v71, v42
	s_delay_alu instid0(VALU_DEP_3) | instskip(NEXT) | instid1(VALU_DEP_3)
	v_fmac_f32_e32 v120, v75, v40
	v_fma_f32 v3, -v79, v41, v4
	v_fma_f32 v2, -v77, v41, v5
	v_fmac_f32_e32 v121, v21, v42
	v_fma_f32 v0, -v75, v41, v0
	v_fmac_f32_e32 v119, v70, v43
	v_dual_fmac_f32 v3, v70, v42 :: v_dual_fmac_f32 v118, v77, v40
	s_delay_alu instid0(VALU_DEP_4) | instskip(SKIP_1) | instid1(VALU_DEP_3)
	v_dual_fmac_f32 v120, v74, v41 :: v_dual_fmac_f32 v121, v20, v43
	s_wait_loadcnt 0x4
	v_dual_fmac_f32 v2, v68, v42 :: v_dual_fmac_f32 v119, v67, v96
	s_delay_alu instid0(VALU_DEP_3) | instskip(SKIP_2) | instid1(VALU_DEP_4)
	v_fma_f32 v3, -v71, v43, v3
	v_fmac_f32_e32 v118, v76, v41
	v_dual_fmac_f32 v0, v22, v42 :: v_dual_fmac_f32 v121, v89, v96
	v_dual_fmac_f32 v120, v23, v42 :: v_dual_fmac_f32 v119, v66, v97
	v_fma_f32 v1, -v21, v43, v1
	s_delay_alu instid0(VALU_DEP_4)
	v_dual_fmac_f32 v3, v66, v96 :: v_dual_fmac_f32 v118, v69, v42
	v_fma_f32 v2, -v69, v43, v2
	v_fma_f32 v0, -v23, v43, v0
	v_dual_fmac_f32 v120, v22, v43 :: v_dual_fmac_f32 v121, v88, v97
	v_fmac_f32_e32 v1, v88, v96
	v_fma_f32 v3, -v67, v97, v3
	v_fmac_f32_e32 v118, v68, v43
	v_dual_fmac_f32 v2, v64, v96 :: v_dual_fmac_f32 v119, v87, v98
	v_dual_fmac_f32 v0, v90, v96 :: v_dual_fmac_f32 v121, v81, v98
	v_fmac_f32_e32 v120, v91, v96
	v_fma_f32 v1, -v89, v97, v1
	v_dual_fmac_f32 v3, v86, v98 :: v_dual_fmac_f32 v118, v65, v96
	v_fma_f32 v2, -v65, v97, v2
	v_fma_f32 v0, -v91, v97, v0
	s_delay_alu instid0(VALU_DEP_4) | instskip(NEXT) | instid1(VALU_DEP_4)
	v_fmac_f32_e32 v1, v80, v98
	v_fma_f32 v3, -v87, v99, v3
	v_dual_fmac_f32 v118, v64, v97 :: v_dual_fmac_f32 v119, v86, v99
	v_dual_fmac_f32 v120, v90, v97 :: v_dual_fmac_f32 v121, v80, v99
	v_fmac_f32_e32 v2, v84, v98
	v_fmac_f32_e32 v0, v82, v98
	v_fma_f32 v1, -v81, v99, v1
	s_wait_loadcnt 0x3
	v_dual_fmac_f32 v3, v54, v36 :: v_dual_fmac_f32 v118, v85, v98
	v_fmac_f32_e32 v119, v55, v36
	v_fmac_f32_e32 v120, v83, v98
	v_fma_f32 v2, -v85, v99, v2
	v_fmac_f32_e32 v1, v44, v36
	v_fmac_f32_e32 v121, v45, v36
	v_fma_f32 v0, -v83, v99, v0
	v_fma_f32 v3, -v55, v37, v3
	v_dual_fmac_f32 v118, v84, v99 :: v_dual_fmac_f32 v119, v54, v37
	s_delay_alu instid0(VALU_DEP_4)
	v_dual_fmac_f32 v120, v82, v99 :: v_dual_fmac_f32 v121, v44, v37
	v_fmac_f32_e32 v2, v52, v36
	v_fmac_f32_e32 v0, v46, v36
	v_fma_f32 v1, -v45, v37, v1
	v_dual_fmac_f32 v3, v58, v38 :: v_dual_fmac_f32 v118, v53, v36
	v_fmac_f32_e32 v119, v59, v38
	v_fmac_f32_e32 v120, v47, v36
	v_fma_f32 v2, -v53, v37, v2
	v_fmac_f32_e32 v1, v60, v38
	v_fmac_f32_e32 v121, v61, v38
	v_fma_f32 v0, -v47, v37, v0
	v_fma_f32 v3, -v59, v39, v3
	v_dual_fmac_f32 v118, v52, v37 :: v_dual_fmac_f32 v119, v58, v39
	s_delay_alu instid0(VALU_DEP_4)
	v_dual_fmac_f32 v120, v46, v37 :: v_dual_fmac_f32 v121, v60, v39
	v_fmac_f32_e32 v2, v56, v38
	v_fmac_f32_e32 v0, v62, v38
	v_fma_f32 v1, -v61, v39, v1
	s_wait_loadcnt 0x2
	v_dual_fmac_f32 v3, v50, v28 :: v_dual_fmac_f32 v118, v57, v38
	v_fmac_f32_e32 v119, v51, v28
	v_fmac_f32_e32 v120, v63, v38
	v_fma_f32 v2, -v57, v39, v2
	v_fmac_f32_e32 v1, v32, v28
	v_fmac_f32_e32 v121, v33, v28
	v_fma_f32 v0, -v63, v39, v0
	v_fma_f32 v3, -v51, v29, v3
	v_dual_fmac_f32 v118, v56, v39 :: v_dual_fmac_f32 v119, v50, v29
	s_delay_alu instid0(VALU_DEP_4)
	v_dual_fmac_f32 v120, v62, v39 :: v_dual_fmac_f32 v121, v32, v29
	v_fmac_f32_e32 v2, v48, v28
	v_fmac_f32_e32 v0, v34, v28
	v_fma_f32 v1, -v33, v29, v1
	s_wait_loadcnt 0x1
	v_dual_fmac_f32 v3, v10, v30 :: v_dual_fmac_f32 v118, v49, v28
	v_fmac_f32_e32 v119, v11, v30
	v_fmac_f32_e32 v120, v35, v28
	v_fma_f32 v2, -v49, v29, v2
	s_wait_loadcnt 0x0
	v_fmac_f32_e32 v1, v24, v30
	v_dual_fmac_f32 v118, v48, v29 :: v_dual_fmac_f32 v121, v25, v30
	v_fma_f32 v0, -v35, v29, v0
	v_fmac_f32_e32 v119, v10, v31
	v_fmac_f32_e32 v120, v34, v29
	;; [unrolled: 1-line block ×4, first 2 shown]
	v_dual_fmac_f32 v0, v26, v30 :: v_dual_fmac_f32 v121, v24, v31
	s_delay_alu instid0(VALU_DEP_4) | instskip(NEXT) | instid1(VALU_DEP_4)
	v_fmac_f32_e32 v120, v27, v30
	v_fma_f32 v125, -v9, v31, v2
	s_delay_alu instid0(VALU_DEP_4)
	v_fmac_f32_e32 v118, v8, v31
	v_fma_f32 v126, -v11, v31, v3
	v_fma_f32 v124, -v25, v31, v1
	;; [unrolled: 1-line block ×3, first 2 shown]
	v_fmac_f32_e32 v120, v26, v31
	s_wait_alu 0xfffe
	s_and_not1_b32 exec_lo, exec_lo, s6
	s_cbranch_execnz .LBB13_31
; %bb.32:
	s_or_b32 exec_lo, exec_lo, s6
.LBB13_33:
	s_wait_alu 0xfffe
	s_or_b32 exec_lo, exec_lo, s2
.LBB13_34:
	s_wait_alu 0xfffe
	s_or_b32 exec_lo, exec_lo, s3
.LBB13_35:
	v_mbcnt_lo_u32_b32 v0, -1, 0
	s_delay_alu instid0(VALU_DEP_1) | instskip(SKIP_2) | instid1(VALU_DEP_3)
	v_xor_b32_e32 v1, 16, v0
	v_xor_b32_e32 v9, 8, v0
	;; [unrolled: 1-line block ×3, first 2 shown]
	v_cmp_gt_i32_e32 vcc_lo, 32, v1
	s_wait_alu 0xfffd
	v_cndmask_b32_e32 v1, v0, v1, vcc_lo
	v_cmp_gt_i32_e32 vcc_lo, 32, v9
	s_delay_alu instid0(VALU_DEP_2)
	v_lshlrev_b32_e32 v1, 2, v1
	ds_bpermute_b32 v4, v1, v126
	s_wait_dscnt 0x0
	v_add_f32_e32 v4, v126, v4
	ds_bpermute_b32 v2, v1, v125
	ds_bpermute_b32 v6, v1, v124
	;; [unrolled: 1-line block ×3, first 2 shown]
	s_wait_alu 0xfffd
	v_cndmask_b32_e32 v9, v0, v9, vcc_lo
	ds_bpermute_b32 v3, v1, v118
	ds_bpermute_b32 v5, v1, v119
	;; [unrolled: 1-line block ×4, first 2 shown]
	v_cmp_gt_i32_e32 vcc_lo, 32, v17
	s_wait_dscnt 0x6
	s_wait_alu 0xfffd
	v_dual_cndmask_b32 v17, v0, v17 :: v_dual_add_f32 v2, v125, v2
	s_wait_dscnt 0x5
	v_add_f32_e32 v6, v124, v6
	s_wait_dscnt 0x4
	v_dual_add_f32 v8, v123, v8 :: v_dual_lshlrev_b32 v9, 2, v9
	s_wait_dscnt 0x0
	v_add_f32_e32 v1, v120, v1
	ds_bpermute_b32 v10, v9, v2
	ds_bpermute_b32 v12, v9, v4
	;; [unrolled: 1-line block ×3, first 2 shown]
	v_add_f32_e32 v3, v118, v3
	v_add_f32_e32 v5, v119, v5
	;; [unrolled: 1-line block ×3, first 2 shown]
	ds_bpermute_b32 v16, v9, v8
	s_wait_dscnt 0x3
	v_dual_add_f32 v2, v2, v10 :: v_dual_lshlrev_b32 v17, 2, v17
	ds_bpermute_b32 v13, v9, v5
	s_wait_dscnt 0x3
	v_add_f32_e32 v4, v4, v12
	ds_bpermute_b32 v11, v9, v3
	s_wait_dscnt 0x3
	v_add_f32_e32 v6, v6, v14
	ds_bpermute_b32 v15, v9, v7
	ds_bpermute_b32 v9, v9, v1
	s_wait_dscnt 0x0
	v_dual_add_f32 v8, v8, v16 :: v_dual_add_f32 v1, v1, v9
	ds_bpermute_b32 v9, v17, v2
	v_add_f32_e32 v3, v3, v11
	ds_bpermute_b32 v11, v17, v4
	v_add_f32_e32 v5, v5, v13
	;; [unrolled: 2-line block ×3, first 2 shown]
	ds_bpermute_b32 v15, v17, v8
	s_wait_dscnt 0x3
	v_add_f32_e32 v2, v2, v9
	ds_bpermute_b32 v10, v17, v3
	s_wait_dscnt 0x3
	v_add_f32_e32 v4, v4, v11
	;; [unrolled: 3-line block ×4, first 2 shown]
	ds_bpermute_b32 v16, v17, v1
	v_xor_b32_e32 v17, 2, v0
	s_delay_alu instid0(VALU_DEP_1) | instskip(SKIP_4) | instid1(VALU_DEP_2)
	v_cmp_gt_i32_e32 vcc_lo, 32, v17
	s_wait_alu 0xfffd
	v_cndmask_b32_e32 v17, v0, v17, vcc_lo
	s_wait_dscnt 0x3
	v_add_f32_e32 v3, v3, v10
	v_lshlrev_b32_e32 v17, 2, v17
	ds_bpermute_b32 v13, v17, v6
	s_wait_dscnt 0x2
	v_add_f32_e32 v7, v7, v14
	ds_bpermute_b32 v15, v17, v8
	s_wait_dscnt 0x2
	v_add_f32_e32 v9, v1, v16
	ds_bpermute_b32 v1, v17, v2
	v_add_f32_e32 v5, v5, v12
	ds_bpermute_b32 v10, v17, v3
	ds_bpermute_b32 v11, v17, v4
	ds_bpermute_b32 v14, v17, v7
	ds_bpermute_b32 v16, v17, v9
	ds_bpermute_b32 v12, v17, v5
	v_xor_b32_e32 v17, 1, v0
	s_delay_alu instid0(VALU_DEP_1) | instskip(SKIP_4) | instid1(VALU_DEP_2)
	v_cmp_gt_i32_e32 vcc_lo, 32, v17
	s_wait_alu 0xfffd
	v_cndmask_b32_e32 v0, v0, v17, vcc_lo
	v_cmp_eq_u32_e32 vcc_lo, 31, v117
	s_wait_dscnt 0x5
	v_dual_add_f32 v0, v2, v1 :: v_dual_lshlrev_b32 v17, 2, v0
	s_wait_dscnt 0x3
	v_dual_add_f32 v1, v3, v10 :: v_dual_add_f32 v2, v4, v11
	s_wait_dscnt 0x0
	v_dual_add_f32 v3, v5, v12 :: v_dual_add_f32 v4, v6, v13
	v_dual_add_f32 v5, v7, v14 :: v_dual_add_f32 v6, v8, v15
	v_add_f32_e32 v7, v9, v16
	ds_bpermute_b32 v8, v17, v0
	ds_bpermute_b32 v9, v17, v1
	;; [unrolled: 1-line block ×8, first 2 shown]
	s_and_b32 exec_lo, exec_lo, vcc_lo
	s_cbranch_execz .LBB13_8
; %bb.36:
	s_load_b64 s[2:3], s[0:1], 0x50
	s_wait_dscnt 0x7
	v_add_f32_e32 v8, v0, v8
	s_wait_dscnt 0x4
	v_dual_add_f32 v0, v1, v9 :: v_dual_add_f32 v1, v3, v11
	s_wait_dscnt 0x2
	v_dual_add_f32 v9, v2, v10 :: v_dual_add_f32 v2, v5, v13
	;; [unrolled: 2-line block ×3, first 2 shown]
	v_add_f32_e32 v11, v6, v14
	v_mul_f32_e64 v4, v0, -v107
	v_mul_f32_e32 v5, v106, v0
	v_mul_f32_e64 v6, v1, -v107
	v_mul_f32_e32 v7, v106, v1
	;; [unrolled: 2-line block ×4, first 2 shown]
	v_cmp_eq_f32_e32 vcc_lo, 0, v104
	v_cmp_eq_f32_e64 s0, 0, v105
	v_fmac_f32_e32 v4, v106, v8
	v_dual_fmac_f32 v5, v107, v8 :: v_dual_fmac_f32 v6, v106, v9
	v_dual_fmac_f32 v7, v107, v9 :: v_dual_lshlrev_b32 v8, 2, v108
	v_dual_fmac_f32 v0, v106, v10 :: v_dual_fmac_f32 v3, v107, v11
	v_dual_fmac_f32 v1, v107, v10 :: v_dual_fmac_f32 v2, v106, v11
	s_and_b32 s0, vcc_lo, s0
	s_wait_alu 0xfffe
	s_and_saveexec_b32 s1, s0
	s_wait_alu 0xfffe
	s_xor_b32 s0, exec_lo, s1
	s_cbranch_execz .LBB13_38
; %bb.37:
	v_ashrrev_i32_e32 v9, 31, v8
                                        ; implicit-def: $vgpr104_vgpr105
	s_delay_alu instid0(VALU_DEP_1) | instskip(SKIP_1) | instid1(VALU_DEP_1)
	v_lshlrev_b64_e32 v[8:9], 3, v[8:9]
	s_wait_kmcnt 0x0
	v_add_co_u32 v8, vcc_lo, s2, v8
	s_wait_alu 0xfffd
	s_delay_alu instid0(VALU_DEP_2)
	v_add_co_ci_u32_e64 v9, null, s3, v9, vcc_lo
	s_clause 0x1
	global_store_b128 v[8:9], v[4:7], off
	global_store_b128 v[8:9], v[0:3], off offset:16
                                        ; implicit-def: $vgpr4
                                        ; implicit-def: $vgpr8
                                        ; implicit-def: $vgpr0
.LBB13_38:
	s_wait_alu 0xfffe
	s_and_not1_saveexec_b32 s0, s0
	s_cbranch_execz .LBB13_8
; %bb.39:
	v_ashrrev_i32_e32 v9, 31, v8
	s_delay_alu instid0(VALU_DEP_1) | instskip(SKIP_1) | instid1(VALU_DEP_1)
	v_lshlrev_b64_e32 v[8:9], 3, v[8:9]
	s_wait_kmcnt 0x0
	v_add_co_u32 v16, vcc_lo, s2, v8
	s_wait_alu 0xfffd
	s_delay_alu instid0(VALU_DEP_2)
	v_add_co_ci_u32_e64 v17, null, s3, v9, vcc_lo
	s_clause 0x1
	global_load_b128 v[8:11], v[16:17], off
	global_load_b128 v[12:15], v[16:17], off offset:16
	s_wait_loadcnt 0x1
	v_dual_fmac_f32 v4, v104, v8 :: v_dual_fmac_f32 v7, v105, v10
	v_dual_fmac_f32 v5, v105, v8 :: v_dual_fmac_f32 v6, v104, v10
	s_wait_loadcnt 0x0
	v_dual_fmac_f32 v0, v104, v12 :: v_dual_fmac_f32 v3, v105, v14
	v_dual_fmac_f32 v1, v105, v12 :: v_dual_fmac_f32 v2, v104, v14
	v_fma_f32 v4, -v105, v9, v4
	v_fmac_f32_e32 v5, v104, v9
	v_fma_f32 v6, -v105, v11, v6
	v_fmac_f32_e32 v7, v104, v11
	;; [unrolled: 2-line block ×4, first 2 shown]
	s_clause 0x1
	global_store_b128 v[16:17], v[4:7], off
	global_store_b128 v[16:17], v[0:3], off offset:16
	s_nop 0
	s_sendmsg sendmsg(MSG_DEALLOC_VGPRS)
	s_endpgm
	.section	.rodata,"a",@progbits
	.p2align	6, 0x0
	.amdhsa_kernel _ZN9rocsparseL18bsrxmvn_4x4_kernelILj128ELj32E21rocsparse_complex_numIfEiiS2_S2_S2_EEvT3_20rocsparse_direction_NS_24const_host_device_scalarIT1_EES3_PKS3_PKT2_SC_S9_PKT4_PKT5_S7_PT6_21rocsparse_index_base_b
		.amdhsa_group_segment_fixed_size 0
		.amdhsa_private_segment_fixed_size 0
		.amdhsa_kernarg_size 96
		.amdhsa_user_sgpr_count 2
		.amdhsa_user_sgpr_dispatch_ptr 0
		.amdhsa_user_sgpr_queue_ptr 0
		.amdhsa_user_sgpr_kernarg_segment_ptr 1
		.amdhsa_user_sgpr_dispatch_id 0
		.amdhsa_user_sgpr_private_segment_size 0
		.amdhsa_wavefront_size32 1
		.amdhsa_uses_dynamic_stack 0
		.amdhsa_enable_private_segment 0
		.amdhsa_system_sgpr_workgroup_id_x 1
		.amdhsa_system_sgpr_workgroup_id_y 0
		.amdhsa_system_sgpr_workgroup_id_z 0
		.amdhsa_system_sgpr_workgroup_info 0
		.amdhsa_system_vgpr_workitem_id 0
		.amdhsa_next_free_vgpr 152
		.amdhsa_next_free_sgpr 14
		.amdhsa_reserve_vcc 1
		.amdhsa_float_round_mode_32 0
		.amdhsa_float_round_mode_16_64 0
		.amdhsa_float_denorm_mode_32 3
		.amdhsa_float_denorm_mode_16_64 3
		.amdhsa_fp16_overflow 0
		.amdhsa_workgroup_processor_mode 1
		.amdhsa_memory_ordered 1
		.amdhsa_forward_progress 1
		.amdhsa_inst_pref_size 64
		.amdhsa_round_robin_scheduling 0
		.amdhsa_exception_fp_ieee_invalid_op 0
		.amdhsa_exception_fp_denorm_src 0
		.amdhsa_exception_fp_ieee_div_zero 0
		.amdhsa_exception_fp_ieee_overflow 0
		.amdhsa_exception_fp_ieee_underflow 0
		.amdhsa_exception_fp_ieee_inexact 0
		.amdhsa_exception_int_div_zero 0
	.end_amdhsa_kernel
	.section	.text._ZN9rocsparseL18bsrxmvn_4x4_kernelILj128ELj32E21rocsparse_complex_numIfEiiS2_S2_S2_EEvT3_20rocsparse_direction_NS_24const_host_device_scalarIT1_EES3_PKS3_PKT2_SC_S9_PKT4_PKT5_S7_PT6_21rocsparse_index_base_b,"axG",@progbits,_ZN9rocsparseL18bsrxmvn_4x4_kernelILj128ELj32E21rocsparse_complex_numIfEiiS2_S2_S2_EEvT3_20rocsparse_direction_NS_24const_host_device_scalarIT1_EES3_PKS3_PKT2_SC_S9_PKT4_PKT5_S7_PT6_21rocsparse_index_base_b,comdat
.Lfunc_end13:
	.size	_ZN9rocsparseL18bsrxmvn_4x4_kernelILj128ELj32E21rocsparse_complex_numIfEiiS2_S2_S2_EEvT3_20rocsparse_direction_NS_24const_host_device_scalarIT1_EES3_PKS3_PKT2_SC_S9_PKT4_PKT5_S7_PT6_21rocsparse_index_base_b, .Lfunc_end13-_ZN9rocsparseL18bsrxmvn_4x4_kernelILj128ELj32E21rocsparse_complex_numIfEiiS2_S2_S2_EEvT3_20rocsparse_direction_NS_24const_host_device_scalarIT1_EES3_PKS3_PKT2_SC_S9_PKT4_PKT5_S7_PT6_21rocsparse_index_base_b
                                        ; -- End function
	.set _ZN9rocsparseL18bsrxmvn_4x4_kernelILj128ELj32E21rocsparse_complex_numIfEiiS2_S2_S2_EEvT3_20rocsparse_direction_NS_24const_host_device_scalarIT1_EES3_PKS3_PKT2_SC_S9_PKT4_PKT5_S7_PT6_21rocsparse_index_base_b.num_vgpr, 152
	.set _ZN9rocsparseL18bsrxmvn_4x4_kernelILj128ELj32E21rocsparse_complex_numIfEiiS2_S2_S2_EEvT3_20rocsparse_direction_NS_24const_host_device_scalarIT1_EES3_PKS3_PKT2_SC_S9_PKT4_PKT5_S7_PT6_21rocsparse_index_base_b.num_agpr, 0
	.set _ZN9rocsparseL18bsrxmvn_4x4_kernelILj128ELj32E21rocsparse_complex_numIfEiiS2_S2_S2_EEvT3_20rocsparse_direction_NS_24const_host_device_scalarIT1_EES3_PKS3_PKT2_SC_S9_PKT4_PKT5_S7_PT6_21rocsparse_index_base_b.numbered_sgpr, 14
	.set _ZN9rocsparseL18bsrxmvn_4x4_kernelILj128ELj32E21rocsparse_complex_numIfEiiS2_S2_S2_EEvT3_20rocsparse_direction_NS_24const_host_device_scalarIT1_EES3_PKS3_PKT2_SC_S9_PKT4_PKT5_S7_PT6_21rocsparse_index_base_b.num_named_barrier, 0
	.set _ZN9rocsparseL18bsrxmvn_4x4_kernelILj128ELj32E21rocsparse_complex_numIfEiiS2_S2_S2_EEvT3_20rocsparse_direction_NS_24const_host_device_scalarIT1_EES3_PKS3_PKT2_SC_S9_PKT4_PKT5_S7_PT6_21rocsparse_index_base_b.private_seg_size, 0
	.set _ZN9rocsparseL18bsrxmvn_4x4_kernelILj128ELj32E21rocsparse_complex_numIfEiiS2_S2_S2_EEvT3_20rocsparse_direction_NS_24const_host_device_scalarIT1_EES3_PKS3_PKT2_SC_S9_PKT4_PKT5_S7_PT6_21rocsparse_index_base_b.uses_vcc, 1
	.set _ZN9rocsparseL18bsrxmvn_4x4_kernelILj128ELj32E21rocsparse_complex_numIfEiiS2_S2_S2_EEvT3_20rocsparse_direction_NS_24const_host_device_scalarIT1_EES3_PKS3_PKT2_SC_S9_PKT4_PKT5_S7_PT6_21rocsparse_index_base_b.uses_flat_scratch, 0
	.set _ZN9rocsparseL18bsrxmvn_4x4_kernelILj128ELj32E21rocsparse_complex_numIfEiiS2_S2_S2_EEvT3_20rocsparse_direction_NS_24const_host_device_scalarIT1_EES3_PKS3_PKT2_SC_S9_PKT4_PKT5_S7_PT6_21rocsparse_index_base_b.has_dyn_sized_stack, 0
	.set _ZN9rocsparseL18bsrxmvn_4x4_kernelILj128ELj32E21rocsparse_complex_numIfEiiS2_S2_S2_EEvT3_20rocsparse_direction_NS_24const_host_device_scalarIT1_EES3_PKS3_PKT2_SC_S9_PKT4_PKT5_S7_PT6_21rocsparse_index_base_b.has_recursion, 0
	.set _ZN9rocsparseL18bsrxmvn_4x4_kernelILj128ELj32E21rocsparse_complex_numIfEiiS2_S2_S2_EEvT3_20rocsparse_direction_NS_24const_host_device_scalarIT1_EES3_PKS3_PKT2_SC_S9_PKT4_PKT5_S7_PT6_21rocsparse_index_base_b.has_indirect_call, 0
	.section	.AMDGPU.csdata,"",@progbits
; Kernel info:
; codeLenInByte = 8068
; TotalNumSgprs: 16
; NumVgprs: 152
; ScratchSize: 0
; MemoryBound: 0
; FloatMode: 240
; IeeeMode: 1
; LDSByteSize: 0 bytes/workgroup (compile time only)
; SGPRBlocks: 0
; VGPRBlocks: 18
; NumSGPRsForWavesPerEU: 16
; NumVGPRsForWavesPerEU: 152
; Occupancy: 9
; WaveLimiterHint : 1
; COMPUTE_PGM_RSRC2:SCRATCH_EN: 0
; COMPUTE_PGM_RSRC2:USER_SGPR: 2
; COMPUTE_PGM_RSRC2:TRAP_HANDLER: 0
; COMPUTE_PGM_RSRC2:TGID_X_EN: 1
; COMPUTE_PGM_RSRC2:TGID_Y_EN: 0
; COMPUTE_PGM_RSRC2:TGID_Z_EN: 0
; COMPUTE_PGM_RSRC2:TIDIG_COMP_CNT: 0
	.section	.text._ZN9rocsparseL18bsrxmvn_4x4_kernelILj128ELj64E21rocsparse_complex_numIfEiiS2_S2_S2_EEvT3_20rocsparse_direction_NS_24const_host_device_scalarIT1_EES3_PKS3_PKT2_SC_S9_PKT4_PKT5_S7_PT6_21rocsparse_index_base_b,"axG",@progbits,_ZN9rocsparseL18bsrxmvn_4x4_kernelILj128ELj64E21rocsparse_complex_numIfEiiS2_S2_S2_EEvT3_20rocsparse_direction_NS_24const_host_device_scalarIT1_EES3_PKS3_PKT2_SC_S9_PKT4_PKT5_S7_PT6_21rocsparse_index_base_b,comdat
	.globl	_ZN9rocsparseL18bsrxmvn_4x4_kernelILj128ELj64E21rocsparse_complex_numIfEiiS2_S2_S2_EEvT3_20rocsparse_direction_NS_24const_host_device_scalarIT1_EES3_PKS3_PKT2_SC_S9_PKT4_PKT5_S7_PT6_21rocsparse_index_base_b ; -- Begin function _ZN9rocsparseL18bsrxmvn_4x4_kernelILj128ELj64E21rocsparse_complex_numIfEiiS2_S2_S2_EEvT3_20rocsparse_direction_NS_24const_host_device_scalarIT1_EES3_PKS3_PKT2_SC_S9_PKT4_PKT5_S7_PT6_21rocsparse_index_base_b
	.p2align	8
	.type	_ZN9rocsparseL18bsrxmvn_4x4_kernelILj128ELj64E21rocsparse_complex_numIfEiiS2_S2_S2_EEvT3_20rocsparse_direction_NS_24const_host_device_scalarIT1_EES3_PKS3_PKT2_SC_S9_PKT4_PKT5_S7_PT6_21rocsparse_index_base_b,@function
_ZN9rocsparseL18bsrxmvn_4x4_kernelILj128ELj64E21rocsparse_complex_numIfEiiS2_S2_S2_EEvT3_20rocsparse_direction_NS_24const_host_device_scalarIT1_EES3_PKS3_PKT2_SC_S9_PKT4_PKT5_S7_PT6_21rocsparse_index_base_b: ; @_ZN9rocsparseL18bsrxmvn_4x4_kernelILj128ELj64E21rocsparse_complex_numIfEiiS2_S2_S2_EEvT3_20rocsparse_direction_NS_24const_host_device_scalarIT1_EES3_PKS3_PKT2_SC_S9_PKT4_PKT5_S7_PT6_21rocsparse_index_base_b
; %bb.0:
	s_clause 0x2
	s_load_b64 s[12:13], s[0:1], 0x58
	s_load_b64 s[2:3], s[0:1], 0x8
	;; [unrolled: 1-line block ×3, first 2 shown]
	s_add_nc_u64 s[6:7], s[0:1], 8
	s_wait_kmcnt 0x0
	s_bitcmp1_b32 s13, 0
	s_cselect_b32 s2, s6, s2
	s_cselect_b32 s3, s7, s3
	s_delay_alu instid0(SALU_CYCLE_1)
	v_dual_mov_b32 v1, s2 :: v_dual_mov_b32 v2, s3
	s_add_nc_u64 s[2:3], s[0:1], 0x48
	s_wait_alu 0xfffe
	s_cselect_b32 s2, s2, s4
	s_cselect_b32 s3, s3, s5
	flat_load_b64 v[106:107], v[1:2]
	s_wait_alu 0xfffe
	v_dual_mov_b32 v1, s2 :: v_dual_mov_b32 v2, s3
	flat_load_b64 v[104:105], v[1:2]
	s_wait_loadcnt_dscnt 0x101
	v_cmp_eq_f32_e32 vcc_lo, 0, v106
	v_cmp_eq_f32_e64 s2, 0, v107
	s_and_b32 s4, vcc_lo, s2
	s_mov_b32 s2, -1
	s_and_saveexec_b32 s3, s4
	s_cbranch_execz .LBB14_2
; %bb.1:
	s_wait_loadcnt_dscnt 0x0
	v_cmp_neq_f32_e32 vcc_lo, 1.0, v104
	v_cmp_neq_f32_e64 s2, 0, v105
	s_wait_alu 0xfffe
	s_or_b32 s2, vcc_lo, s2
	s_wait_alu 0xfffe
	s_or_not1_b32 s2, s2, exec_lo
.LBB14_2:
	s_wait_alu 0xfffe
	s_or_b32 exec_lo, exec_lo, s3
	s_and_saveexec_b32 s3, s2
	s_cbranch_execz .LBB14_8
; %bb.3:
	s_clause 0x1
	s_load_b64 s[4:5], s[0:1], 0x18
	s_load_b64 s[2:3], s[0:1], 0x0
	v_lshrrev_b32_e32 v1, 6, v0
	s_delay_alu instid0(VALU_DEP_1)
	v_lshl_or_b32 v108, ttmp9, 1, v1
	s_wait_kmcnt 0x0
	s_cmp_lg_u64 s[4:5], 0
	s_cbranch_scc0 .LBB14_9
; %bb.4:
	s_load_b32 s6, s[0:1], 0x10
	s_mov_b32 s7, 0
                                        ; implicit-def: $vgpr1
	s_wait_kmcnt 0x0
	v_cmp_gt_i32_e32 vcc_lo, s6, v108
	s_mov_b32 s6, 0
	s_and_saveexec_b32 s8, vcc_lo
	s_delay_alu instid0(SALU_CYCLE_1)
	s_xor_b32 s8, exec_lo, s8
	s_cbranch_execz .LBB14_6
; %bb.5:
	v_ashrrev_i32_e32 v109, 31, v108
	s_mov_b32 s6, exec_lo
	s_delay_alu instid0(VALU_DEP_1) | instskip(NEXT) | instid1(VALU_DEP_1)
	v_lshlrev_b64_e32 v[1:2], 2, v[108:109]
	v_add_co_u32 v1, vcc_lo, s4, v1
	s_delay_alu instid0(VALU_DEP_1)
	v_add_co_ci_u32_e64 v2, null, s5, v2, vcc_lo
	global_load_b32 v1, v[1:2], off
	s_wait_loadcnt 0x0
	v_subrev_nc_u32_e32 v1, s12, v1
.LBB14_6:
	s_or_b32 exec_lo, exec_lo, s8
	s_delay_alu instid0(SALU_CYCLE_1)
	s_and_b32 vcc_lo, exec_lo, s7
	s_wait_alu 0xfffe
	s_cbranch_vccz .LBB14_10
.LBB14_7:
	v_cmp_gt_i32_e32 vcc_lo, s2, v108
	s_and_not1_b32 s2, s6, exec_lo
	s_and_b32 s4, vcc_lo, exec_lo
	s_wait_alu 0xfffe
	s_or_b32 s6, s2, s4
	s_wait_alu 0xfffe
	s_and_b32 exec_lo, exec_lo, s6
	s_cbranch_execnz .LBB14_11
.LBB14_8:
	s_nop 0
	s_sendmsg sendmsg(MSG_DEALLOC_VGPRS)
	s_endpgm
.LBB14_9:
	s_mov_b32 s6, 0
                                        ; implicit-def: $vgpr1
	s_cbranch_execnz .LBB14_7
.LBB14_10:
	v_mov_b32_e32 v108, v1
	s_and_b32 exec_lo, exec_lo, s6
	s_cbranch_execz .LBB14_8
.LBB14_11:
	s_load_b256 s[4:11], s[0:1], 0x20
	s_delay_alu instid0(VALU_DEP_1) | instskip(SKIP_1) | instid1(VALU_DEP_2)
	v_ashrrev_i32_e32 v109, 31, v108
	v_and_b32_e32 v117, 63, v0
	v_lshlrev_b64_e32 v[1:2], 2, v[108:109]
	s_wait_kmcnt 0x0
	s_delay_alu instid0(VALU_DEP_1) | instskip(SKIP_1) | instid1(VALU_DEP_2)
	v_add_co_u32 v3, vcc_lo, s4, v1
	s_wait_alu 0xfffd
	v_add_co_ci_u32_e64 v4, null, s5, v2, vcc_lo
	v_add_co_u32 v1, vcc_lo, s6, v1
	s_wait_alu 0xfffd
	v_add_co_ci_u32_e64 v2, null, s7, v2, vcc_lo
	global_load_b32 v127, v[3:4], off
	v_add_co_u32 v3, vcc_lo, v3, 4
	s_wait_alu 0xfffd
	v_add_co_ci_u32_e64 v4, null, 0, v4, vcc_lo
	s_cmp_eq_u64 s[6:7], 0
	s_load_b64 s[4:5], s[0:1], 0x40
	s_cselect_b32 vcc_lo, -1, 0
	s_cmp_eq_u32 s3, 1
	s_wait_alu 0xfffe
	v_dual_cndmask_b32 v2, v2, v4 :: v_dual_cndmask_b32 v1, v1, v3
	global_load_b32 v2, v[1:2], off
	s_wait_loadcnt 0x1
	v_subrev_nc_u32_e32 v0, s12, v127
	s_delay_alu instid0(VALU_DEP_1) | instskip(NEXT) | instid1(VALU_DEP_1)
	v_add_nc_u32_e32 v109, v0, v117
	v_ashrrev_i32_e32 v110, 31, v109
	s_wait_loadcnt 0x0
	v_subrev_nc_u32_e32 v122, s12, v2
	s_delay_alu instid0(VALU_DEP_2) | instskip(NEXT) | instid1(VALU_DEP_2)
	v_lshlrev_b64_e32 v[0:1], 7, v[109:110]
	v_cmp_lt_i32_e64 s2, v109, v122
	s_delay_alu instid0(VALU_DEP_2) | instskip(SKIP_1) | instid1(VALU_DEP_3)
	v_add_co_u32 v111, vcc_lo, s10, v0
	s_wait_alu 0xfffd
	v_add_co_ci_u32_e64 v112, null, s11, v1, vcc_lo
	s_cbranch_scc1 .LBB14_23
; %bb.12:
	v_dual_mov_b32 v118, 0 :: v_dual_mov_b32 v125, 0
	v_dual_mov_b32 v123, 0 :: v_dual_mov_b32 v120, 0
	;; [unrolled: 1-line block ×4, first 2 shown]
	s_and_saveexec_b32 s3, s2
	s_cbranch_execz .LBB14_22
; %bb.13:
	v_dual_mov_b32 v119, 0 :: v_dual_add_nc_u32 v0, v127, v117
	v_not_b32_e32 v1, v127
	v_dual_mov_b32 v114, v112 :: v_dual_mov_b32 v115, v109
	s_delay_alu instid0(VALU_DEP_3) | instskip(SKIP_2) | instid1(VALU_DEP_3)
	v_subrev_nc_u32_e32 v0, s12, v0
	v_dual_mov_b32 v124, 0 :: v_dual_mov_b32 v123, 0
	v_dual_mov_b32 v120, 0 :: v_dual_mov_b32 v125, 0
	v_dual_mov_b32 v121, 0 :: v_dual_add_nc_u32 v0, 64, v0
	v_dual_mov_b32 v118, 0 :: v_dual_mov_b32 v113, v111
	s_mov_b32 s6, exec_lo
	s_delay_alu instid0(VALU_DEP_2) | instskip(NEXT) | instid1(VALU_DEP_1)
	v_max_i32_e32 v0, v0, v122
	v_add3_u32 v0, s12, v0, v1
	s_delay_alu instid0(VALU_DEP_1) | instskip(NEXT) | instid1(VALU_DEP_1)
	v_sub_nc_u32_e32 v0, v0, v117
	v_dual_mov_b32 v126, 0 :: v_dual_and_b32 v1, 0xc0, v0
	s_delay_alu instid0(VALU_DEP_1)
	v_cmpx_ne_u32_e32 0xc0, v1
	s_cbranch_execz .LBB14_17
; %bb.14:
	v_lshrrev_b32_e32 v1, 6, v0
	v_dual_mov_b32 v118, 0 :: v_dual_mov_b32 v115, v109
	v_dual_mov_b32 v114, v112 :: v_dual_mov_b32 v113, v111
	s_delay_alu instid0(VALU_DEP_3) | instskip(SKIP_2) | instid1(VALU_DEP_3)
	v_dual_mov_b32 v120, 0 :: v_dual_add_nc_u32 v1, 1, v1
	v_dual_mov_b32 v125, 0 :: v_dual_mov_b32 v124, 0
	v_dual_mov_b32 v123, 0 :: v_dual_mov_b32 v126, 0
	v_and_b32_e32 v1, 3, v1
	v_mov_b32_e32 v121, 0
	v_mov_b32_e32 v119, 0
	s_mov_b32 s7, 0
	s_delay_alu instid0(VALU_DEP_3)
	v_sub_nc_u32_e32 v1, 0, v1
.LBB14_15:                              ; =>This Inner Loop Header: Depth=1
	v_ashrrev_i32_e32 v116, 31, v115
	s_delay_alu instid0(VALU_DEP_2) | instskip(SKIP_2) | instid1(VALU_DEP_2)
	v_add_co_u32 v1, s10, v1, 1
	s_wait_alu 0xfffe
	s_or_b32 s7, s10, s7
	v_lshlrev_b64_e32 v[2:3], 2, v[115:116]
	s_delay_alu instid0(VALU_DEP_1) | instskip(SKIP_1) | instid1(VALU_DEP_2)
	v_add_co_u32 v2, vcc_lo, s8, v2
	s_wait_alu 0xfffd
	v_add_co_ci_u32_e64 v3, null, s9, v3, vcc_lo
	global_load_b32 v34, v[2:3], off
	s_clause 0x7
	global_load_b128 v[2:5], v[113:114], off offset:48
	global_load_b128 v[6:9], v[113:114], off offset:32
	;; [unrolled: 1-line block ×3, first 2 shown]
	global_load_b128 v[14:17], v[113:114], off
	global_load_b128 v[18:21], v[113:114], off offset:112
	global_load_b128 v[22:25], v[113:114], off offset:96
	;; [unrolled: 1-line block ×4, first 2 shown]
	s_wait_loadcnt 0x8
	v_subrev_nc_u32_e32 v34, s12, v34
	s_delay_alu instid0(VALU_DEP_1) | instskip(NEXT) | instid1(VALU_DEP_1)
	v_lshlrev_b32_e32 v34, 2, v34
	v_ashrrev_i32_e32 v35, 31, v34
	s_delay_alu instid0(VALU_DEP_1) | instskip(SKIP_1) | instid1(VALU_DEP_1)
	v_lshlrev_b64_e32 v[34:35], 3, v[34:35]
	s_wait_kmcnt 0x0
	v_add_co_u32 v38, vcc_lo, s4, v34
	s_wait_alu 0xfffd
	s_delay_alu instid0(VALU_DEP_2)
	v_add_co_ci_u32_e64 v39, null, s5, v35, vcc_lo
	v_add_co_u32 v113, vcc_lo, 0x2000, v113
	s_wait_alu 0xfffd
	v_add_co_ci_u32_e64 v114, null, 0, v114, vcc_lo
	s_clause 0x1
	global_load_b128 v[34:37], v[38:39], off
	global_load_b128 v[38:41], v[38:39], off offset:16
	s_wait_loadcnt 0x1
	v_dual_fmac_f32 v118, v15, v34 :: v_dual_add_nc_u32 v115, 64, v115
	v_fmac_f32_e32 v119, v7, v34
	v_fmac_f32_e32 v120, v23, v34
	s_delay_alu instid0(VALU_DEP_3) | instskip(SKIP_1) | instid1(VALU_DEP_4)
	v_dual_fmac_f32 v121, v31, v34 :: v_dual_fmac_f32 v118, v14, v35
	v_fmac_f32_e32 v125, v14, v34
	v_fmac_f32_e32 v119, v6, v35
	s_delay_alu instid0(VALU_DEP_4) | instskip(NEXT) | instid1(VALU_DEP_4)
	v_fmac_f32_e32 v120, v22, v35
	v_dual_fmac_f32 v121, v30, v35 :: v_dual_fmac_f32 v118, v17, v36
	s_delay_alu instid0(VALU_DEP_4) | instskip(NEXT) | instid1(VALU_DEP_4)
	v_fma_f32 v15, -v15, v35, v125
	v_dual_fmac_f32 v126, v6, v34 :: v_dual_fmac_f32 v119, v9, v36
	s_delay_alu instid0(VALU_DEP_3) | instskip(NEXT) | instid1(VALU_DEP_3)
	v_fmac_f32_e32 v118, v16, v37
	v_fmac_f32_e32 v15, v16, v36
	s_delay_alu instid0(VALU_DEP_3) | instskip(SKIP_3) | instid1(VALU_DEP_4)
	v_fma_f32 v7, -v7, v35, v126
	v_fmac_f32_e32 v124, v30, v34
	v_dual_fmac_f32 v120, v25, v36 :: v_dual_fmac_f32 v119, v8, v37
	v_fmac_f32_e32 v121, v33, v36
	v_fmac_f32_e32 v7, v8, v36
	s_delay_alu instid0(VALU_DEP_4)
	v_fma_f32 v6, -v31, v35, v124
	v_fmac_f32_e32 v123, v22, v34
	v_fma_f32 v15, -v17, v37, v15
	v_fmac_f32_e32 v120, v24, v37
	;; [unrolled: 2-line block ×3, first 2 shown]
	v_fma_f32 v14, -v23, v35, v123
	s_wait_loadcnt 0x0
	v_dual_fmac_f32 v121, v32, v37 :: v_dual_fmac_f32 v118, v11, v38
	v_fmac_f32_e32 v15, v10, v38
	v_fma_f32 v6, -v33, v37, v6
	v_dual_fmac_f32 v14, v24, v36 :: v_dual_fmac_f32 v119, v3, v38
	s_delay_alu instid0(VALU_DEP_4) | instskip(SKIP_2) | instid1(VALU_DEP_4)
	v_fmac_f32_e32 v118, v10, v39
	v_fmac_f32_e32 v7, v2, v38
	;; [unrolled: 1-line block ×3, first 2 shown]
	v_fma_f32 v8, -v25, v37, v14
	v_fma_f32 v9, -v11, v39, v15
	v_fmac_f32_e32 v6, v26, v38
	v_fmac_f32_e32 v119, v2, v39
	v_dual_fmac_f32 v121, v27, v38 :: v_dual_fmac_f32 v120, v18, v39
	v_fmac_f32_e32 v118, v13, v40
	v_fma_f32 v3, -v3, v39, v7
	v_dual_fmac_f32 v8, v18, v38 :: v_dual_fmac_f32 v9, v12, v40
	v_fma_f32 v2, -v27, v39, v6
	v_fmac_f32_e32 v121, v26, v39
	s_delay_alu instid0(VALU_DEP_4) | instskip(NEXT) | instid1(VALU_DEP_4)
	v_fmac_f32_e32 v3, v4, v40
	v_fma_f32 v6, -v19, v39, v8
	v_dual_fmac_f32 v119, v5, v40 :: v_dual_fmac_f32 v118, v12, v41
	v_fmac_f32_e32 v2, v28, v40
	v_fmac_f32_e32 v120, v21, v40
	s_delay_alu instid0(VALU_DEP_4) | instskip(NEXT) | instid1(VALU_DEP_4)
	v_fmac_f32_e32 v6, v20, v40
	v_fmac_f32_e32 v119, v4, v41
	;; [unrolled: 1-line block ×3, first 2 shown]
	v_fma_f32 v125, -v13, v41, v9
	v_fma_f32 v126, -v5, v41, v3
	;; [unrolled: 1-line block ×4, first 2 shown]
	v_fmac_f32_e32 v120, v20, v41
	v_fmac_f32_e32 v121, v28, v41
	s_wait_alu 0xfffe
	s_and_not1_b32 exec_lo, exec_lo, s7
	s_cbranch_execnz .LBB14_15
; %bb.16:
	s_or_b32 exec_lo, exec_lo, s7
.LBB14_17:
	s_wait_alu 0xfffe
	s_or_b32 exec_lo, exec_lo, s6
	s_delay_alu instid0(SALU_CYCLE_1)
	s_mov_b32 s6, exec_lo
	v_cmpx_lt_u32_e32 0xbf, v0
	s_cbranch_execz .LBB14_21
; %bb.18:
	s_mov_b32 s7, 0
.LBB14_19:                              ; =>This Inner Loop Header: Depth=1
	v_ashrrev_i32_e32 v116, 31, v115
	s_clause 0x1c
	global_load_b128 v[0:3], v[113:114], off offset:48
	global_load_b128 v[72:75], v[113:114], off offset:32
	;; [unrolled: 1-line block ×3, first 2 shown]
	global_load_b128 v[80:83], v[113:114], off
	global_load_b128 v[12:15], v[113:114], off offset:112
	global_load_b128 v[32:35], v[113:114], off offset:96
	;; [unrolled: 1-line block ×25, first 2 shown]
	v_lshlrev_b64_e32 v[140:141], 2, v[115:116]
	s_delay_alu instid0(VALU_DEP_1) | instskip(SKIP_1) | instid1(VALU_DEP_2)
	v_add_co_u32 v140, vcc_lo, s8, v140
	s_wait_alu 0xfffd
	v_add_co_ci_u32_e64 v141, null, s9, v141, vcc_lo
	s_clause 0x3
	global_load_b32 v110, v[140:141], off
	global_load_b32 v116, v[140:141], off offset:256
	global_load_b32 v148, v[140:141], off offset:512
	;; [unrolled: 1-line block ×3, first 2 shown]
	s_wait_loadcnt 0x3
	v_subrev_nc_u32_e32 v110, s12, v110
	s_wait_loadcnt 0x2
	v_subrev_nc_u32_e32 v116, s12, v116
	s_delay_alu instid0(VALU_DEP_2) | instskip(NEXT) | instid1(VALU_DEP_1)
	v_lshlrev_b32_e32 v140, 2, v110
	v_ashrrev_i32_e32 v141, 31, v140
	s_delay_alu instid0(VALU_DEP_1) | instskip(SKIP_1) | instid1(VALU_DEP_1)
	v_lshlrev_b64_e32 v[140:141], 3, v[140:141]
	s_wait_kmcnt 0x0
	v_add_co_u32 v144, vcc_lo, s4, v140
	s_wait_alu 0xfffd
	s_delay_alu instid0(VALU_DEP_2)
	v_add_co_ci_u32_e64 v145, null, s5, v141, vcc_lo
	s_clause 0x1
	global_load_b128 v[140:143], v[144:145], off
	global_load_b128 v[144:147], v[144:145], off offset:16
	s_wait_loadcnt 0x1
	v_fmac_f32_e32 v118, v81, v140
	v_fmac_f32_e32 v120, v33, v140
	;; [unrolled: 1-line block ×7, first 2 shown]
	v_fma_f32 v73, -v73, v141, v126
	s_delay_alu instid0(VALU_DEP_3) | instskip(NEXT) | instid1(VALU_DEP_3)
	v_dual_fmac_f32 v119, v72, v141 :: v_dual_fmac_f32 v118, v83, v142
	v_fma_f32 v81, -v81, v141, v125
	v_subrev_nc_u32_e32 v125, s12, v149
	s_delay_alu instid0(VALU_DEP_3) | instskip(SKIP_3) | instid1(VALU_DEP_4)
	v_fmac_f32_e32 v119, v75, v142
	v_fmac_f32_e32 v73, v74, v142
	;; [unrolled: 1-line block ×5, first 2 shown]
	s_delay_alu instid0(VALU_DEP_4)
	v_fma_f32 v150, -v75, v143, v73
	s_wait_loadcnt 0x0
	v_fmac_f32_e32 v118, v5, v144
	v_fma_f32 v110, -v83, v143, v81
	s_clause 0x1
	global_load_b128 v[80:83], v[113:114], off offset:24672
	global_load_b128 v[72:75], v[113:114], off offset:24640
	v_fmac_f32_e32 v150, v0, v144
	v_dual_fmac_f32 v118, v4, v145 :: v_dual_fmac_f32 v119, v1, v144
	v_fmac_f32_e32 v123, v32, v140
	v_fmac_f32_e32 v110, v4, v144
	s_delay_alu instid0(VALU_DEP_4) | instskip(NEXT) | instid1(VALU_DEP_4)
	v_fma_f32 v1, -v1, v145, v150
	v_dual_fmac_f32 v118, v7, v146 :: v_dual_fmac_f32 v119, v0, v145
	s_delay_alu instid0(VALU_DEP_4) | instskip(SKIP_2) | instid1(VALU_DEP_4)
	v_fma_f32 v33, -v33, v141, v123
	v_lshlrev_b32_e32 v123, 2, v125
	v_fma_f32 v5, -v5, v145, v110
	v_fmac_f32_e32 v118, v6, v147
	v_fmac_f32_e32 v1, v2, v146
	;; [unrolled: 1-line block ×3, first 2 shown]
	v_dual_fmac_f32 v121, v89, v140 :: v_dual_fmac_f32 v120, v32, v141
	v_fma_f32 v89, -v89, v141, v124
	v_subrev_nc_u32_e32 v124, s12, v148
	s_delay_alu instid0(VALU_DEP_3) | instskip(NEXT) | instid1(VALU_DEP_4)
	v_dual_fmac_f32 v121, v88, v141 :: v_dual_lshlrev_b32 v32, 2, v116
	v_fmac_f32_e32 v120, v35, v142
	s_delay_alu instid0(VALU_DEP_4) | instskip(SKIP_1) | instid1(VALU_DEP_4)
	v_fmac_f32_e32 v89, v90, v142
	v_fma_f32 v148, -v35, v143, v33
	v_ashrrev_i32_e32 v33, 31, v32
	s_delay_alu instid0(VALU_DEP_4) | instskip(SKIP_1) | instid1(VALU_DEP_3)
	v_dual_fmac_f32 v121, v91, v142 :: v_dual_fmac_f32 v120, v34, v143
	v_dual_fmac_f32 v5, v6, v146 :: v_dual_lshlrev_b32 v34, 2, v124
	v_lshlrev_b64_e32 v[32:33], 3, v[32:33]
	s_delay_alu instid0(VALU_DEP_3) | instskip(SKIP_1) | instid1(VALU_DEP_4)
	v_fmac_f32_e32 v121, v90, v143
	v_ashrrev_i32_e32 v124, 31, v123
	v_ashrrev_i32_e32 v35, 31, v34
	v_fma_f32 v110, -v7, v147, v5
	v_dual_fmac_f32 v119, v3, v146 :: v_dual_fmac_f32 v148, v12, v144
	v_add_co_u32 v125, vcc_lo, s4, v32
	s_delay_alu instid0(VALU_DEP_4)
	v_lshlrev_b64_e32 v[34:35], 3, v[34:35]
	s_wait_alu 0xfffd
	v_add_co_ci_u32_e64 v126, null, s5, v33, vcc_lo
	v_lshlrev_b64_e32 v[123:124], 3, v[123:124]
	v_fma_f32 v151, -v91, v143, v89
	global_load_b128 v[88:91], v[113:114], off offset:24656
	v_add_co_u32 v140, vcc_lo, s4, v34
	s_wait_alu 0xfffd
	v_add_co_ci_u32_e64 v141, null, s5, v35, vcc_lo
	s_clause 0x1
	global_load_b128 v[32:35], v[125:126], off
	global_load_b128 v[4:7], v[125:126], off offset:16
	v_add_co_u32 v142, vcc_lo, s4, v123
	s_wait_alu 0xfffd
	v_add_co_ci_u32_e64 v143, null, s5, v124, vcc_lo
	v_fma_f32 v116, -v3, v147, v1
	v_dual_fmac_f32 v119, v2, v147 :: v_dual_fmac_f32 v120, v13, v144
	s_clause 0x1
	global_load_b128 v[0:3], v[140:141], off
	global_load_b128 v[123:126], v[140:141], off offset:16
	v_fmac_f32_e32 v121, v21, v144
	v_fma_f32 v13, -v13, v145, v148
	v_add_co_u32 v113, vcc_lo, 0x8000, v113
	v_fmac_f32_e32 v120, v12, v145
	v_fmac_f32_e32 v151, v20, v144
	s_wait_alu 0xfffd
	v_add_co_ci_u32_e64 v114, null, 0, v114, vcc_lo
	s_delay_alu instid0(VALU_DEP_3) | instskip(NEXT) | instid1(VALU_DEP_3)
	v_fmac_f32_e32 v120, v15, v146
	v_fma_f32 v21, -v21, v145, v151
	s_delay_alu instid0(VALU_DEP_2) | instskip(NEXT) | instid1(VALU_DEP_2)
	v_dual_fmac_f32 v121, v20, v145 :: v_dual_fmac_f32 v120, v14, v147
	v_fmac_f32_e32 v21, v22, v146
	s_delay_alu instid0(VALU_DEP_2) | instskip(SKIP_1) | instid1(VALU_DEP_3)
	v_fmac_f32_e32 v121, v23, v146
	s_wait_loadcnt 0x3
	v_dual_fmac_f32 v120, v53, v32 :: v_dual_add_nc_u32 v115, 0x100, v115
	v_fmac_f32_e32 v110, v28, v32
	v_fma_f32 v140, -v23, v147, v21
	v_dual_fmac_f32 v118, v29, v32 :: v_dual_fmac_f32 v121, v22, v147
	v_fmac_f32_e32 v116, v24, v32
	global_load_b128 v[20:23], v[142:143], off
	v_dual_fmac_f32 v13, v14, v146 :: v_dual_fmac_f32 v140, v60, v32
	v_dual_fmac_f32 v119, v25, v32 :: v_dual_fmac_f32 v118, v28, v33
	v_dual_fmac_f32 v121, v61, v32 :: v_dual_fmac_f32 v120, v52, v33
	s_delay_alu instid0(VALU_DEP_3)
	v_fma_f32 v141, -v15, v147, v13
	global_load_b128 v[12:15], v[142:143], off offset:16
	v_fma_f32 v29, -v29, v33, v110
	v_fmac_f32_e32 v119, v24, v33
	v_fma_f32 v24, -v61, v33, v140
	v_dual_fmac_f32 v141, v52, v32 :: v_dual_fmac_f32 v118, v31, v34
	v_fma_f32 v25, -v25, v33, v116
	v_cmp_ge_i32_e32 vcc_lo, v115, v122
	s_delay_alu instid0(VALU_DEP_4) | instskip(NEXT) | instid1(VALU_DEP_4)
	v_fmac_f32_e32 v24, v62, v34
	v_fma_f32 v28, -v53, v33, v141
	v_fmac_f32_e32 v121, v60, v33
	v_dual_fmac_f32 v119, v27, v34 :: v_dual_fmac_f32 v118, v30, v35
	v_fmac_f32_e32 v29, v30, v34
	s_delay_alu instid0(VALU_DEP_4) | instskip(NEXT) | instid1(VALU_DEP_3)
	v_fmac_f32_e32 v28, v54, v34
	v_dual_fmac_f32 v120, v55, v34 :: v_dual_fmac_f32 v119, v26, v35
	v_fmac_f32_e32 v121, v63, v34
	v_fma_f32 v24, -v63, v35, v24
	s_wait_loadcnt 0x4
	v_dual_fmac_f32 v25, v26, v34 :: v_dual_fmac_f32 v118, v17, v4
	v_fma_f32 v29, -v31, v35, v29
	v_fma_f32 v26, -v55, v35, v28
	v_fmac_f32_e32 v120, v54, v35
	v_fmac_f32_e32 v121, v62, v35
	v_dual_fmac_f32 v119, v9, v4 :: v_dual_fmac_f32 v118, v16, v5
	v_fmac_f32_e32 v29, v16, v4
	v_fmac_f32_e32 v24, v44, v4
	v_fma_f32 v25, -v27, v35, v25
	v_fmac_f32_e32 v26, v36, v4
	v_dual_fmac_f32 v120, v37, v4 :: v_dual_fmac_f32 v119, v8, v5
	v_fmac_f32_e32 v121, v45, v4
	s_delay_alu instid0(VALU_DEP_4) | instskip(SKIP_3) | instid1(VALU_DEP_4)
	v_dual_fmac_f32 v25, v8, v4 :: v_dual_fmac_f32 v118, v19, v6
	v_fma_f32 v4, -v17, v5, v29
	v_fma_f32 v8, -v45, v5, v24
	v_fmac_f32_e32 v120, v36, v5
	v_fma_f32 v9, -v9, v5, v25
	s_delay_alu instid0(VALU_DEP_4) | instskip(SKIP_3) | instid1(VALU_DEP_3)
	v_dual_fmac_f32 v121, v44, v5 :: v_dual_fmac_f32 v4, v18, v6
	v_dual_fmac_f32 v119, v11, v6 :: v_dual_fmac_f32 v118, v18, v7
	v_fma_f32 v16, -v37, v5, v26
	v_fmac_f32_e32 v8, v46, v6
	v_dual_fmac_f32 v120, v39, v6 :: v_dual_fmac_f32 v119, v10, v7
	v_fmac_f32_e32 v121, v47, v6
	v_fma_f32 v4, -v19, v7, v4
	v_fmac_f32_e32 v9, v10, v6
	s_delay_alu instid0(VALU_DEP_4)
	v_fmac_f32_e32 v120, v38, v7
	s_wait_loadcnt 0x3
	v_dual_fmac_f32 v118, v65, v0 :: v_dual_fmac_f32 v121, v46, v7
	v_fmac_f32_e32 v4, v64, v0
	v_fma_f32 v5, -v11, v7, v9
	v_fmac_f32_e32 v16, v38, v6
	v_fma_f32 v6, -v47, v7, v8
	v_dual_fmac_f32 v119, v57, v0 :: v_dual_fmac_f32 v118, v64, v1
	s_delay_alu instid0(VALU_DEP_4) | instskip(NEXT) | instid1(VALU_DEP_4)
	v_fmac_f32_e32 v5, v56, v0
	v_fma_f32 v8, -v39, v7, v16
	s_delay_alu instid0(VALU_DEP_3) | instskip(SKIP_2) | instid1(VALU_DEP_4)
	v_dual_fmac_f32 v120, v77, v0 :: v_dual_fmac_f32 v119, v56, v1
	v_fmac_f32_e32 v6, v128, v0
	v_fmac_f32_e32 v121, v129, v0
	;; [unrolled: 1-line block ×3, first 2 shown]
	v_fma_f32 v0, -v65, v1, v4
	v_fma_f32 v4, -v57, v1, v5
	v_fmac_f32_e32 v120, v76, v1
	v_fmac_f32_e32 v121, v128, v1
	;; [unrolled: 1-line block ×3, first 2 shown]
	v_fma_f32 v5, -v129, v1, v6
	v_fmac_f32_e32 v0, v66, v2
	v_fmac_f32_e32 v118, v67, v2
	;; [unrolled: 1-line block ×5, first 2 shown]
	v_fma_f32 v6, -v77, v1, v8
	v_dual_fmac_f32 v121, v131, v2 :: v_dual_fmac_f32 v118, v66, v3
	v_fmac_f32_e32 v120, v79, v2
	v_fma_f32 v1, -v59, v3, v4
	s_wait_loadcnt 0x2
	v_dual_fmac_f32 v6, v78, v2 :: v_dual_fmac_f32 v119, v41, v123
	v_fmac_f32_e32 v121, v130, v3
	v_fma_f32 v0, -v67, v3, v0
	v_fma_f32 v2, -v131, v3, v5
	s_delay_alu instid0(VALU_DEP_4) | instskip(SKIP_4) | instid1(VALU_DEP_4)
	v_fma_f32 v4, -v79, v3, v6
	v_dual_fmac_f32 v120, v78, v3 :: v_dual_fmac_f32 v119, v40, v124
	v_fmac_f32_e32 v121, v97, v123
	v_fmac_f32_e32 v118, v49, v123
	;; [unrolled: 1-line block ×3, first 2 shown]
	v_dual_fmac_f32 v2, v96, v123 :: v_dual_fmac_f32 v119, v43, v125
	s_delay_alu instid0(VALU_DEP_4) | instskip(SKIP_1) | instid1(VALU_DEP_4)
	v_fmac_f32_e32 v121, v96, v124
	v_fmac_f32_e32 v4, v68, v123
	v_fma_f32 v1, -v41, v124, v1
	v_fmac_f32_e32 v0, v48, v123
	s_delay_alu instid0(VALU_DEP_4) | instskip(NEXT) | instid1(VALU_DEP_4)
	v_dual_fmac_f32 v118, v48, v124 :: v_dual_fmac_f32 v121, v99, v125
	v_fma_f32 v3, -v69, v124, v4
	v_fmac_f32_e32 v120, v69, v123
	v_fma_f32 v2, -v97, v124, v2
	v_fmac_f32_e32 v1, v42, v125
	v_fma_f32 v0, -v49, v124, v0
	s_delay_alu instid0(VALU_DEP_4) | instskip(SKIP_3) | instid1(VALU_DEP_4)
	v_dual_fmac_f32 v3, v70, v125 :: v_dual_fmac_f32 v120, v68, v124
	v_dual_fmac_f32 v119, v42, v126 :: v_dual_fmac_f32 v118, v51, v125
	v_fmac_f32_e32 v121, v98, v126
	v_fmac_f32_e32 v2, v98, v125
	;; [unrolled: 1-line block ×3, first 2 shown]
	v_fma_f32 v1, -v43, v126, v1
	v_fmac_f32_e32 v0, v50, v125
	v_fma_f32 v3, -v71, v126, v3
	v_fmac_f32_e32 v118, v50, v126
	s_wait_alu 0xfffe
	s_or_b32 s7, vcc_lo, s7
	s_wait_loadcnt 0x1
	v_fmac_f32_e32 v1, v100, v20
	v_fma_f32 v0, -v51, v126, v0
	v_fmac_f32_e32 v119, v101, v20
	v_fma_f32 v2, -v99, v126, v2
	v_dual_fmac_f32 v121, v73, v20 :: v_dual_fmac_f32 v120, v70, v126
	v_fmac_f32_e32 v3, v80, v20
	v_fmac_f32_e32 v118, v133, v20
	v_fma_f32 v1, -v101, v21, v1
	v_fmac_f32_e32 v0, v132, v20
	v_fmac_f32_e32 v119, v100, v21
	;; [unrolled: 1-line block ×3, first 2 shown]
	v_dual_fmac_f32 v121, v72, v21 :: v_dual_fmac_f32 v120, v81, v20
	v_fma_f32 v3, -v81, v21, v3
	v_dual_fmac_f32 v118, v132, v21 :: v_dual_fmac_f32 v1, v102, v22
	v_fma_f32 v0, -v133, v21, v0
	v_fmac_f32_e32 v119, v103, v22
	v_fma_f32 v2, -v73, v21, v2
	v_dual_fmac_f32 v121, v75, v22 :: v_dual_fmac_f32 v120, v80, v21
	v_fmac_f32_e32 v3, v82, v22
	v_fmac_f32_e32 v118, v135, v22
	v_fma_f32 v1, -v103, v23, v1
	v_fmac_f32_e32 v0, v134, v22
	v_fmac_f32_e32 v119, v102, v23
	;; [unrolled: 1-line block ×3, first 2 shown]
	v_dual_fmac_f32 v121, v74, v23 :: v_dual_fmac_f32 v120, v83, v22
	v_fma_f32 v3, -v83, v23, v3
	s_wait_loadcnt 0x0
	v_dual_fmac_f32 v118, v134, v23 :: v_dual_fmac_f32 v1, v84, v12
	v_fma_f32 v0, -v135, v23, v0
	v_fmac_f32_e32 v119, v85, v12
	v_fma_f32 v2, -v75, v23, v2
	v_dual_fmac_f32 v121, v89, v12 :: v_dual_fmac_f32 v120, v82, v23
	v_fmac_f32_e32 v3, v136, v12
	v_fmac_f32_e32 v118, v93, v12
	v_fma_f32 v1, -v85, v13, v1
	v_fmac_f32_e32 v0, v92, v12
	v_fmac_f32_e32 v119, v84, v13
	v_fmac_f32_e32 v2, v88, v12
	v_dual_fmac_f32 v121, v88, v13 :: v_dual_fmac_f32 v120, v137, v12
	v_fma_f32 v3, -v137, v13, v3
	v_dual_fmac_f32 v118, v92, v13 :: v_dual_fmac_f32 v1, v86, v14
	v_fma_f32 v0, -v93, v13, v0
	v_fmac_f32_e32 v119, v87, v14
	v_fma_f32 v2, -v89, v13, v2
	v_dual_fmac_f32 v121, v91, v14 :: v_dual_fmac_f32 v120, v136, v13
	s_delay_alu instid0(VALU_DEP_4) | instskip(SKIP_1) | instid1(VALU_DEP_3)
	v_fmac_f32_e32 v0, v94, v14
	v_fmac_f32_e32 v3, v138, v14
	v_dual_fmac_f32 v118, v95, v14 :: v_dual_fmac_f32 v121, v90, v15
	v_fmac_f32_e32 v2, v90, v14
	v_dual_fmac_f32 v119, v86, v15 :: v_dual_fmac_f32 v120, v139, v14
	v_fma_f32 v125, -v95, v15, v0
	s_delay_alu instid0(VALU_DEP_4)
	v_fmac_f32_e32 v118, v94, v15
	v_fma_f32 v126, -v87, v15, v1
	v_fma_f32 v124, -v91, v15, v2
	;; [unrolled: 1-line block ×3, first 2 shown]
	v_fmac_f32_e32 v120, v138, v15
	s_wait_alu 0xfffe
	s_and_not1_b32 exec_lo, exec_lo, s7
	s_cbranch_execnz .LBB14_19
; %bb.20:
	s_or_b32 exec_lo, exec_lo, s7
.LBB14_21:
	s_wait_alu 0xfffe
	s_or_b32 exec_lo, exec_lo, s6
.LBB14_22:
	s_wait_alu 0xfffe
	s_or_b32 exec_lo, exec_lo, s3
	s_cbranch_execz .LBB14_24
	s_branch .LBB14_35
.LBB14_23:
                                        ; implicit-def: $vgpr118
                                        ; implicit-def: $vgpr125
                                        ; implicit-def: $vgpr123
                                        ; implicit-def: $vgpr120
                                        ; implicit-def: $vgpr124
                                        ; implicit-def: $vgpr121
                                        ; implicit-def: $vgpr126
                                        ; implicit-def: $vgpr119
.LBB14_24:
	v_dual_mov_b32 v118, 0 :: v_dual_mov_b32 v125, 0
	v_dual_mov_b32 v123, 0 :: v_dual_mov_b32 v120, 0
	;; [unrolled: 1-line block ×4, first 2 shown]
	s_and_saveexec_b32 s3, s2
	s_cbranch_execz .LBB14_34
; %bb.25:
	v_dual_mov_b32 v119, 0 :: v_dual_add_nc_u32 v0, v127, v117
	v_not_b32_e32 v1, v127
	v_dual_mov_b32 v124, 0 :: v_dual_mov_b32 v123, 0
	s_delay_alu instid0(VALU_DEP_3) | instskip(SKIP_3) | instid1(VALU_DEP_3)
	v_subrev_nc_u32_e32 v0, s12, v0
	v_dual_mov_b32 v120, 0 :: v_dual_mov_b32 v125, 0
	v_mov_b32_e32 v118, 0
	s_mov_b32 s2, exec_lo
	v_dual_mov_b32 v121, 0 :: v_dual_add_nc_u32 v0, 64, v0
	s_delay_alu instid0(VALU_DEP_1) | instskip(NEXT) | instid1(VALU_DEP_1)
	v_max_i32_e32 v0, v0, v122
	v_add3_u32 v0, s12, v0, v1
	s_delay_alu instid0(VALU_DEP_1) | instskip(NEXT) | instid1(VALU_DEP_1)
	v_sub_nc_u32_e32 v0, v0, v117
	v_dual_mov_b32 v126, 0 :: v_dual_and_b32 v1, 0xc0, v0
	s_delay_alu instid0(VALU_DEP_1)
	v_cmpx_ne_u32_e32 0xc0, v1
	s_cbranch_execz .LBB14_29
; %bb.26:
	v_lshrrev_b32_e32 v1, 6, v0
	v_dual_mov_b32 v125, 0 :: v_dual_mov_b32 v120, 0
	v_dual_mov_b32 v123, 0 :: v_dual_mov_b32 v124, 0
	s_delay_alu instid0(VALU_DEP_3) | instskip(SKIP_3) | instid1(VALU_DEP_3)
	v_dual_mov_b32 v118, 0 :: v_dual_add_nc_u32 v1, 1, v1
	v_mov_b32_e32 v121, 0
	v_mov_b32_e32 v119, 0
	s_mov_b32 s6, 0
	v_dual_mov_b32 v126, 0 :: v_dual_and_b32 v1, 3, v1
	s_delay_alu instid0(VALU_DEP_1)
	v_sub_nc_u32_e32 v1, 0, v1
.LBB14_27:                              ; =>This Inner Loop Header: Depth=1
	v_ashrrev_i32_e32 v110, 31, v109
	s_delay_alu instid0(VALU_DEP_2) | instskip(SKIP_2) | instid1(VALU_DEP_2)
	v_add_co_u32 v1, s7, v1, 1
	s_wait_alu 0xfffe
	s_or_b32 s6, s7, s6
	v_lshlrev_b64_e32 v[2:3], 2, v[109:110]
	s_delay_alu instid0(VALU_DEP_1) | instskip(SKIP_1) | instid1(VALU_DEP_2)
	v_add_co_u32 v2, vcc_lo, s8, v2
	s_wait_alu 0xfffd
	v_add_co_ci_u32_e64 v3, null, s9, v3, vcc_lo
	global_load_b32 v14, v[2:3], off
	s_clause 0x2
	global_load_b128 v[2:5], v[111:112], off offset:32
	global_load_b128 v[6:9], v[111:112], off offset:16
	global_load_b128 v[10:13], v[111:112], off
	s_wait_loadcnt 0x3
	v_subrev_nc_u32_e32 v14, s12, v14
	s_delay_alu instid0(VALU_DEP_1) | instskip(NEXT) | instid1(VALU_DEP_1)
	v_lshlrev_b32_e32 v14, 2, v14
	v_ashrrev_i32_e32 v15, 31, v14
	s_delay_alu instid0(VALU_DEP_1) | instskip(SKIP_1) | instid1(VALU_DEP_1)
	v_lshlrev_b64_e32 v[14:15], 3, v[14:15]
	s_wait_kmcnt 0x0
	v_add_co_u32 v18, vcc_lo, s4, v14
	s_wait_alu 0xfffd
	s_delay_alu instid0(VALU_DEP_2)
	v_add_co_ci_u32_e64 v19, null, s5, v15, vcc_lo
	s_clause 0x1
	global_load_b128 v[14:17], v[18:19], off
	global_load_b128 v[18:21], v[18:19], off offset:16
	s_clause 0x4
	global_load_b128 v[22:25], v[111:112], off offset:48
	global_load_b128 v[26:29], v[111:112], off offset:64
	;; [unrolled: 1-line block ×5, first 2 shown]
	v_add_nc_u32_e32 v109, 64, v109
	v_add_co_u32 v111, vcc_lo, 0x2000, v111
	s_wait_alu 0xfffd
	v_add_co_ci_u32_e64 v112, null, 0, v112, vcc_lo
	s_wait_loadcnt 0x6
	v_fmac_f32_e32 v118, v11, v14
	v_fmac_f32_e32 v119, v13, v14
	;; [unrolled: 1-line block ×6, first 2 shown]
	v_dual_fmac_f32 v118, v10, v15 :: v_dual_fmac_f32 v123, v8, v14
	v_dual_fmac_f32 v119, v12, v15 :: v_dual_fmac_f32 v124, v6, v14
	v_fmac_f32_e32 v121, v6, v15
	v_fma_f32 v10, -v13, v15, v126
	v_fmac_f32_e32 v120, v8, v15
	v_fma_f32 v11, -v11, v15, v125
	;; [unrolled: 2-line block ×4, first 2 shown]
	v_fmac_f32_e32 v11, v2, v16
	v_fmac_f32_e32 v10, v4, v16
	s_wait_loadcnt 0x4
	v_dual_fmac_f32 v121, v23, v16 :: v_dual_fmac_f32 v118, v2, v17
	v_fmac_f32_e32 v6, v24, v16
	v_dual_fmac_f32 v120, v25, v16 :: v_dual_fmac_f32 v119, v4, v17
	v_fmac_f32_e32 v7, v22, v16
	v_fma_f32 v3, -v3, v17, v11
	v_fma_f32 v2, -v5, v17, v10
	v_fmac_f32_e32 v121, v22, v17
	v_fma_f32 v5, -v25, v17, v6
	v_fmac_f32_e32 v120, v24, v17
	v_fma_f32 v4, -v23, v17, v7
	s_wait_loadcnt 0x3
	v_fmac_f32_e32 v119, v29, v18
	v_fmac_f32_e32 v118, v27, v18
	s_wait_loadcnt 0x2
	v_fmac_f32_e32 v121, v31, v18
	v_fmac_f32_e32 v2, v28, v18
	v_fmac_f32_e32 v120, v33, v18
	v_fmac_f32_e32 v3, v26, v18
	v_dual_fmac_f32 v119, v28, v19 :: v_dual_fmac_f32 v4, v30, v18
	v_dual_fmac_f32 v118, v26, v19 :: v_dual_fmac_f32 v5, v32, v18
	v_fmac_f32_e32 v121, v30, v19
	v_fma_f32 v2, -v29, v19, v2
	v_fmac_f32_e32 v120, v32, v19
	v_fma_f32 v3, -v27, v19, v3
	s_wait_loadcnt 0x1
	v_fmac_f32_e32 v118, v35, v20
	v_fma_f32 v5, -v33, v19, v5
	v_fmac_f32_e32 v119, v37, v20
	v_fma_f32 v4, -v31, v19, v4
	v_fmac_f32_e32 v3, v34, v20
	v_fmac_f32_e32 v2, v36, v20
	s_wait_loadcnt 0x0
	v_dual_fmac_f32 v121, v39, v20 :: v_dual_fmac_f32 v118, v34, v21
	v_dual_fmac_f32 v4, v38, v20 :: v_dual_fmac_f32 v119, v36, v21
	v_fmac_f32_e32 v5, v40, v20
	s_delay_alu instid0(VALU_DEP_3)
	v_dual_fmac_f32 v120, v41, v20 :: v_dual_fmac_f32 v121, v38, v21
	v_fma_f32 v125, -v35, v21, v3
	v_fma_f32 v126, -v37, v21, v2
	;; [unrolled: 1-line block ×4, first 2 shown]
	v_fmac_f32_e32 v120, v40, v21
	s_wait_alu 0xfffe
	s_and_not1_b32 exec_lo, exec_lo, s6
	s_cbranch_execnz .LBB14_27
; %bb.28:
	s_or_b32 exec_lo, exec_lo, s6
.LBB14_29:
	s_wait_alu 0xfffe
	s_or_b32 exec_lo, exec_lo, s2
	s_delay_alu instid0(SALU_CYCLE_1)
	s_mov_b32 s2, exec_lo
	v_cmpx_lt_u32_e32 0xbf, v0
	s_cbranch_execz .LBB14_33
; %bb.30:
	s_mov_b32 s6, 0
.LBB14_31:                              ; =>This Inner Loop Header: Depth=1
	v_ashrrev_i32_e32 v110, 31, v109
	s_clause 0x16
	global_load_b128 v[44:47], v[111:112], off offset:48
	global_load_b128 v[56:59], v[111:112], off offset:32
	;; [unrolled: 1-line block ×3, first 2 shown]
	global_load_b128 v[64:67], v[111:112], off
	global_load_b128 v[8:11], v[111:112], off offset:112
	global_load_b128 v[32:35], v[111:112], off offset:96
	;; [unrolled: 1-line block ×19, first 2 shown]
	v_lshlrev_b64_e32 v[92:93], 2, v[109:110]
	v_add_nc_u32_e32 v109, 0x100, v109
	s_delay_alu instid0(VALU_DEP_2) | instskip(SKIP_1) | instid1(VALU_DEP_3)
	v_add_co_u32 v92, vcc_lo, s8, v92
	s_wait_alu 0xfffd
	v_add_co_ci_u32_e64 v93, null, s9, v93, vcc_lo
	s_clause 0x3
	global_load_b32 v94, v[92:93], off
	global_load_b32 v100, v[92:93], off offset:256
	global_load_b32 v101, v[92:93], off offset:512
	;; [unrolled: 1-line block ×3, first 2 shown]
	s_wait_loadcnt 0x3
	v_subrev_nc_u32_e32 v92, s12, v94
	s_delay_alu instid0(VALU_DEP_1) | instskip(NEXT) | instid1(VALU_DEP_1)
	v_lshlrev_b32_e32 v92, 2, v92
	v_ashrrev_i32_e32 v93, 31, v92
	s_delay_alu instid0(VALU_DEP_1) | instskip(SKIP_1) | instid1(VALU_DEP_1)
	v_lshlrev_b64_e32 v[92:93], 3, v[92:93]
	s_wait_kmcnt 0x0
	v_add_co_u32 v96, vcc_lo, s4, v92
	s_wait_alu 0xfffd
	s_delay_alu instid0(VALU_DEP_2)
	v_add_co_ci_u32_e64 v97, null, s5, v93, vcc_lo
	s_clause 0x1
	global_load_b128 v[92:95], v[96:97], off
	global_load_b128 v[96:99], v[96:97], off offset:16
	s_wait_loadcnt 0x1
	v_fmac_f32_e32 v120, v63, v92
	s_delay_alu instid0(VALU_DEP_1) | instskip(NEXT) | instid1(VALU_DEP_1)
	v_dual_fmac_f32 v125, v64, v92 :: v_dual_fmac_f32 v120, v62, v93
	v_fma_f32 v103, -v65, v93, v125
	s_delay_alu instid0(VALU_DEP_1) | instskip(NEXT) | instid1(VALU_DEP_1)
	v_dual_fmac_f32 v126, v66, v92 :: v_dual_fmac_f32 v103, v56, v94
	v_fma_f32 v110, -v67, v93, v126
	v_fmac_f32_e32 v121, v61, v92
	s_delay_alu instid0(VALU_DEP_3) | instskip(NEXT) | instid1(VALU_DEP_3)
	v_fma_f32 v114, -v57, v95, v103
	v_fmac_f32_e32 v110, v58, v94
	s_delay_alu instid0(VALU_DEP_3) | instskip(SKIP_1) | instid1(VALU_DEP_3)
	v_dual_fmac_f32 v118, v65, v92 :: v_dual_fmac_f32 v121, v60, v93
	v_fmac_f32_e32 v119, v67, v92
	v_fma_f32 v110, -v59, v95, v110
	s_delay_alu instid0(VALU_DEP_3) | instskip(NEXT) | instid1(VALU_DEP_3)
	v_dual_fmac_f32 v118, v64, v93 :: v_dual_fmac_f32 v123, v62, v92
	v_dual_fmac_f32 v119, v66, v93 :: v_dual_fmac_f32 v124, v60, v92
	v_fmac_f32_e32 v121, v45, v94
	s_delay_alu instid0(VALU_DEP_3) | instskip(NEXT) | instid1(VALU_DEP_4)
	v_fmac_f32_e32 v118, v57, v94
	v_fma_f32 v113, -v63, v93, v123
	s_delay_alu instid0(VALU_DEP_4) | instskip(SKIP_4) | instid1(VALU_DEP_4)
	v_fmac_f32_e32 v119, v59, v94
	v_fma_f32 v92, -v61, v93, v124
	v_subrev_nc_u32_e32 v93, s12, v100
	v_fmac_f32_e32 v118, v56, v95
	v_subrev_nc_u32_e32 v100, s12, v101
	v_dual_fmac_f32 v119, v58, v95 :: v_dual_fmac_f32 v92, v44, v94
	v_dual_fmac_f32 v120, v47, v94 :: v_dual_fmac_f32 v121, v44, v95
	v_subrev_nc_u32_e32 v101, s12, v102
	v_dual_fmac_f32 v113, v46, v94 :: v_dual_lshlrev_b32 v44, 2, v93
	s_wait_loadcnt 0x0
	v_fmac_f32_e32 v119, v55, v96
	v_fma_f32 v115, -v45, v95, v92
	v_fmac_f32_e32 v120, v46, v95
	v_lshlrev_b32_e32 v46, 2, v100
	v_dual_fmac_f32 v121, v49, v96 :: v_dual_lshlrev_b32 v92, 2, v101
	v_ashrrev_i32_e32 v45, 31, v44
	v_fma_f32 v113, -v47, v95, v113
	v_fmac_f32_e32 v119, v54, v97
	v_ashrrev_i32_e32 v47, 31, v46
	v_ashrrev_i32_e32 v93, 31, v92
	v_lshlrev_b64_e32 v[44:45], 3, v[44:45]
	s_delay_alu instid0(VALU_DEP_4) | instskip(NEXT) | instid1(VALU_DEP_4)
	v_dual_fmac_f32 v110, v54, v96 :: v_dual_fmac_f32 v119, v35, v98
	v_lshlrev_b64_e32 v[46:47], 3, v[46:47]
	s_delay_alu instid0(VALU_DEP_4)
	v_lshlrev_b64_e32 v[92:93], 3, v[92:93]
	v_dual_fmac_f32 v118, v53, v96 :: v_dual_fmac_f32 v121, v48, v97
	v_add_co_u32 v94, vcc_lo, s4, v44
	s_wait_alu 0xfffd
	v_add_co_ci_u32_e64 v95, null, s5, v45, vcc_lo
	v_add_co_u32 v100, vcc_lo, s4, v46
	s_wait_alu 0xfffd
	v_add_co_ci_u32_e64 v101, null, s5, v47, vcc_lo
	;; [unrolled: 3-line block ×3, first 2 shown]
	v_fma_f32 v93, -v55, v97, v110
	v_fmac_f32_e32 v114, v52, v96
	v_dual_fmac_f32 v118, v52, v97 :: v_dual_fmac_f32 v113, v50, v96
	v_fmac_f32_e32 v115, v48, v96
	v_dual_fmac_f32 v120, v51, v96 :: v_dual_fmac_f32 v119, v34, v99
	v_fmac_f32_e32 v93, v34, v98
	v_fma_f32 v92, -v53, v97, v114
	s_delay_alu instid0(VALU_DEP_4)
	v_fma_f32 v96, -v49, v97, v115
	v_fma_f32 v110, -v51, v97, v113
	v_dual_fmac_f32 v120, v50, v97 :: v_dual_fmac_f32 v121, v9, v98
	v_fma_f32 v113, -v35, v99, v93
	v_fmac_f32_e32 v92, v32, v98
	v_fmac_f32_e32 v118, v33, v98
	;; [unrolled: 1-line block ×3, first 2 shown]
	v_dual_fmac_f32 v121, v8, v99 :: v_dual_fmac_f32 v120, v11, v98
	s_delay_alu instid0(VALU_DEP_4)
	v_fma_f32 v97, -v33, v99, v92
	v_fmac_f32_e32 v110, v10, v98
	s_clause 0x5
	global_load_b128 v[64:67], v[111:112], off offset:16448
	global_load_b128 v[52:55], v[111:112], off offset:24576
	;; [unrolled: 1-line block ×6, first 2 shown]
	v_fmac_f32_e32 v118, v32, v99
	global_load_b128 v[32:35], v[111:112], off offset:24656
	v_fma_f32 v114, -v9, v99, v96
	v_fma_f32 v110, -v11, v99, v110
	v_fmac_f32_e32 v120, v10, v99
	s_clause 0x1
	global_load_b128 v[8:11], v[94:95], off
	global_load_b128 v[92:95], v[94:95], off offset:16
	s_wait_loadcnt 0x1
	v_fmac_f32_e32 v97, v40, v8
	v_fmac_f32_e32 v113, v42, v8
	;; [unrolled: 1-line block ×4, first 2 shown]
	s_delay_alu instid0(VALU_DEP_4) | instskip(SKIP_3) | instid1(VALU_DEP_4)
	v_fma_f32 v115, -v41, v9, v97
	v_fmac_f32_e32 v118, v41, v8
	v_fma_f32 v113, -v43, v9, v113
	v_dual_fmac_f32 v119, v42, v9 :: v_dual_fmac_f32 v114, v36, v8
	v_fmac_f32_e32 v115, v28, v10
	s_delay_alu instid0(VALU_DEP_3)
	v_dual_fmac_f32 v118, v40, v9 :: v_dual_fmac_f32 v113, v30, v10
	s_clause 0x1
	global_load_b128 v[40:43], v[100:101], off
	global_load_b128 v[96:99], v[100:101], off offset:16
	v_dual_fmac_f32 v121, v36, v9 :: v_dual_fmac_f32 v110, v38, v8
	v_fmac_f32_e32 v119, v31, v10
	v_fmac_f32_e32 v120, v39, v8
	v_fma_f32 v8, -v37, v9, v114
	s_delay_alu instid0(VALU_DEP_4)
	v_fmac_f32_e32 v121, v25, v10
	v_fma_f32 v100, -v39, v9, v110
	v_fmac_f32_e32 v119, v30, v11
	v_fmac_f32_e32 v120, v38, v9
	global_load_b128 v[36:39], v[102:103], off
	v_fmac_f32_e32 v118, v29, v10
	v_fma_f32 v101, -v29, v11, v115
	v_fma_f32 v110, -v31, v11, v113
	v_dual_fmac_f32 v100, v26, v10 :: v_dual_fmac_f32 v121, v24, v11
	s_wait_loadcnt 0x3
	v_dual_fmac_f32 v118, v28, v11 :: v_dual_fmac_f32 v119, v19, v92
	global_load_b128 v[28:31], v[102:103], off offset:16
	v_dual_fmac_f32 v8, v24, v10 :: v_dual_fmac_f32 v121, v13, v92
	v_dual_fmac_f32 v120, v27, v10 :: v_dual_fmac_f32 v119, v18, v93
	v_fmac_f32_e32 v101, v16, v92
	s_delay_alu instid0(VALU_DEP_3) | instskip(SKIP_1) | instid1(VALU_DEP_4)
	v_fma_f32 v102, -v25, v11, v8
	v_fma_f32 v100, -v27, v11, v100
	v_dual_fmac_f32 v120, v26, v11 :: v_dual_fmac_f32 v121, v12, v93
	s_clause 0x1
	global_load_b128 v[8:11], v[111:112], off offset:24672
	global_load_b128 v[24:27], v[111:112], off offset:24688
	v_fmac_f32_e32 v102, v12, v92
	v_fmac_f32_e32 v118, v17, v92
	v_dual_fmac_f32 v110, v18, v92 :: v_dual_fmac_f32 v119, v7, v94
	v_fma_f32 v17, -v17, v93, v101
	v_fmac_f32_e32 v121, v1, v94
	v_fma_f32 v13, -v13, v93, v102
	v_fmac_f32_e32 v100, v14, v92
	v_dual_fmac_f32 v120, v15, v92 :: v_dual_fmac_f32 v119, v6, v95
	v_fmac_f32_e32 v17, v4, v94
	v_fmac_f32_e32 v118, v16, v93
	v_fma_f32 v16, -v19, v93, v110
	v_fmac_f32_e32 v13, v0, v94
	v_fma_f32 v12, -v15, v93, v100
	v_dual_fmac_f32 v120, v14, v93 :: v_dual_fmac_f32 v121, v0, v95
	v_add_co_u32 v111, vcc_lo, 0x8000, v111
	s_delay_alu instid0(VALU_DEP_4)
	v_fma_f32 v1, -v1, v95, v13
	v_fmac_f32_e32 v16, v6, v94
	v_fmac_f32_e32 v12, v2, v94
	s_wait_alu 0xfffd
	v_add_co_ci_u32_e64 v112, null, 0, v112, vcc_lo
	v_cmp_ge_i32_e32 vcc_lo, v109, v122
	s_wait_alu 0xfffe
	s_or_b32 s6, vcc_lo, s6
	s_wait_loadcnt 0x5
	v_dual_fmac_f32 v119, v79, v40 :: v_dual_fmac_f32 v118, v5, v94
	v_fma_f32 v5, -v5, v95, v17
	v_dual_fmac_f32 v1, v72, v40 :: v_dual_fmac_f32 v120, v3, v94
	s_delay_alu instid0(VALU_DEP_3) | instskip(SKIP_1) | instid1(VALU_DEP_4)
	v_fmac_f32_e32 v119, v78, v41
	v_fmac_f32_e32 v121, v73, v40
	;; [unrolled: 1-line block ×4, first 2 shown]
	v_fma_f32 v4, -v7, v95, v16
	v_fma_f32 v1, -v73, v41, v1
	;; [unrolled: 1-line block ×3, first 2 shown]
	v_dual_fmac_f32 v120, v2, v95 :: v_dual_fmac_f32 v121, v72, v41
	s_delay_alu instid0(VALU_DEP_3) | instskip(NEXT) | instid1(VALU_DEP_3)
	v_dual_fmac_f32 v4, v78, v40 :: v_dual_fmac_f32 v1, v20, v42
	v_dual_fmac_f32 v0, v74, v40 :: v_dual_fmac_f32 v119, v71, v42
	s_delay_alu instid0(VALU_DEP_3) | instskip(NEXT) | instid1(VALU_DEP_3)
	v_fmac_f32_e32 v120, v75, v40
	v_fma_f32 v3, -v79, v41, v4
	v_fma_f32 v2, -v77, v41, v5
	v_fmac_f32_e32 v121, v21, v42
	v_fma_f32 v0, -v75, v41, v0
	v_fmac_f32_e32 v119, v70, v43
	v_dual_fmac_f32 v3, v70, v42 :: v_dual_fmac_f32 v118, v77, v40
	s_delay_alu instid0(VALU_DEP_4) | instskip(SKIP_1) | instid1(VALU_DEP_3)
	v_dual_fmac_f32 v120, v74, v41 :: v_dual_fmac_f32 v121, v20, v43
	s_wait_loadcnt 0x4
	v_dual_fmac_f32 v2, v68, v42 :: v_dual_fmac_f32 v119, v67, v96
	s_delay_alu instid0(VALU_DEP_3) | instskip(SKIP_2) | instid1(VALU_DEP_4)
	v_fma_f32 v3, -v71, v43, v3
	v_fmac_f32_e32 v118, v76, v41
	v_dual_fmac_f32 v0, v22, v42 :: v_dual_fmac_f32 v121, v89, v96
	v_dual_fmac_f32 v120, v23, v42 :: v_dual_fmac_f32 v119, v66, v97
	v_fma_f32 v1, -v21, v43, v1
	s_delay_alu instid0(VALU_DEP_4)
	v_dual_fmac_f32 v3, v66, v96 :: v_dual_fmac_f32 v118, v69, v42
	v_fma_f32 v2, -v69, v43, v2
	v_fma_f32 v0, -v23, v43, v0
	v_dual_fmac_f32 v120, v22, v43 :: v_dual_fmac_f32 v121, v88, v97
	v_fmac_f32_e32 v1, v88, v96
	v_fma_f32 v3, -v67, v97, v3
	v_fmac_f32_e32 v118, v68, v43
	v_dual_fmac_f32 v2, v64, v96 :: v_dual_fmac_f32 v119, v87, v98
	v_dual_fmac_f32 v0, v90, v96 :: v_dual_fmac_f32 v121, v81, v98
	v_fmac_f32_e32 v120, v91, v96
	v_fma_f32 v1, -v89, v97, v1
	v_dual_fmac_f32 v3, v86, v98 :: v_dual_fmac_f32 v118, v65, v96
	v_fma_f32 v2, -v65, v97, v2
	v_fma_f32 v0, -v91, v97, v0
	s_delay_alu instid0(VALU_DEP_4) | instskip(NEXT) | instid1(VALU_DEP_4)
	v_fmac_f32_e32 v1, v80, v98
	v_fma_f32 v3, -v87, v99, v3
	v_dual_fmac_f32 v118, v64, v97 :: v_dual_fmac_f32 v119, v86, v99
	v_dual_fmac_f32 v120, v90, v97 :: v_dual_fmac_f32 v121, v80, v99
	v_fmac_f32_e32 v2, v84, v98
	v_fmac_f32_e32 v0, v82, v98
	v_fma_f32 v1, -v81, v99, v1
	s_wait_loadcnt 0x3
	v_dual_fmac_f32 v3, v54, v36 :: v_dual_fmac_f32 v118, v85, v98
	v_fmac_f32_e32 v119, v55, v36
	v_fmac_f32_e32 v120, v83, v98
	v_fma_f32 v2, -v85, v99, v2
	v_fmac_f32_e32 v1, v44, v36
	v_fmac_f32_e32 v121, v45, v36
	v_fma_f32 v0, -v83, v99, v0
	v_fma_f32 v3, -v55, v37, v3
	v_dual_fmac_f32 v118, v84, v99 :: v_dual_fmac_f32 v119, v54, v37
	s_delay_alu instid0(VALU_DEP_4)
	v_dual_fmac_f32 v120, v82, v99 :: v_dual_fmac_f32 v121, v44, v37
	v_fmac_f32_e32 v2, v52, v36
	v_fmac_f32_e32 v0, v46, v36
	v_fma_f32 v1, -v45, v37, v1
	v_dual_fmac_f32 v3, v58, v38 :: v_dual_fmac_f32 v118, v53, v36
	v_fmac_f32_e32 v119, v59, v38
	v_fmac_f32_e32 v120, v47, v36
	v_fma_f32 v2, -v53, v37, v2
	v_fmac_f32_e32 v1, v60, v38
	v_fmac_f32_e32 v121, v61, v38
	v_fma_f32 v0, -v47, v37, v0
	v_fma_f32 v3, -v59, v39, v3
	v_dual_fmac_f32 v118, v52, v37 :: v_dual_fmac_f32 v119, v58, v39
	s_delay_alu instid0(VALU_DEP_4)
	v_dual_fmac_f32 v120, v46, v37 :: v_dual_fmac_f32 v121, v60, v39
	v_fmac_f32_e32 v2, v56, v38
	v_fmac_f32_e32 v0, v62, v38
	v_fma_f32 v1, -v61, v39, v1
	s_wait_loadcnt 0x2
	v_dual_fmac_f32 v3, v50, v28 :: v_dual_fmac_f32 v118, v57, v38
	v_fmac_f32_e32 v119, v51, v28
	v_fmac_f32_e32 v120, v63, v38
	v_fma_f32 v2, -v57, v39, v2
	v_fmac_f32_e32 v1, v32, v28
	v_fmac_f32_e32 v121, v33, v28
	v_fma_f32 v0, -v63, v39, v0
	v_fma_f32 v3, -v51, v29, v3
	v_dual_fmac_f32 v118, v56, v39 :: v_dual_fmac_f32 v119, v50, v29
	s_delay_alu instid0(VALU_DEP_4)
	v_dual_fmac_f32 v120, v62, v39 :: v_dual_fmac_f32 v121, v32, v29
	v_fmac_f32_e32 v2, v48, v28
	v_fmac_f32_e32 v0, v34, v28
	v_fma_f32 v1, -v33, v29, v1
	s_wait_loadcnt 0x1
	v_dual_fmac_f32 v3, v10, v30 :: v_dual_fmac_f32 v118, v49, v28
	v_fmac_f32_e32 v119, v11, v30
	v_fmac_f32_e32 v120, v35, v28
	v_fma_f32 v2, -v49, v29, v2
	s_wait_loadcnt 0x0
	v_fmac_f32_e32 v1, v24, v30
	v_dual_fmac_f32 v118, v48, v29 :: v_dual_fmac_f32 v121, v25, v30
	v_fma_f32 v0, -v35, v29, v0
	v_fmac_f32_e32 v119, v10, v31
	v_fmac_f32_e32 v120, v34, v29
	;; [unrolled: 1-line block ×4, first 2 shown]
	v_dual_fmac_f32 v0, v26, v30 :: v_dual_fmac_f32 v121, v24, v31
	s_delay_alu instid0(VALU_DEP_4) | instskip(NEXT) | instid1(VALU_DEP_4)
	v_fmac_f32_e32 v120, v27, v30
	v_fma_f32 v125, -v9, v31, v2
	s_delay_alu instid0(VALU_DEP_4)
	v_fmac_f32_e32 v118, v8, v31
	v_fma_f32 v126, -v11, v31, v3
	v_fma_f32 v124, -v25, v31, v1
	;; [unrolled: 1-line block ×3, first 2 shown]
	v_fmac_f32_e32 v120, v26, v31
	s_wait_alu 0xfffe
	s_and_not1_b32 exec_lo, exec_lo, s6
	s_cbranch_execnz .LBB14_31
; %bb.32:
	s_or_b32 exec_lo, exec_lo, s6
.LBB14_33:
	s_wait_alu 0xfffe
	s_or_b32 exec_lo, exec_lo, s2
.LBB14_34:
	s_wait_alu 0xfffe
	s_or_b32 exec_lo, exec_lo, s3
.LBB14_35:
	v_mbcnt_lo_u32_b32 v0, -1, 0
	s_delay_alu instid0(VALU_DEP_1) | instskip(SKIP_2) | instid1(VALU_DEP_3)
	v_or_b32_e32 v1, 32, v0
	v_xor_b32_e32 v9, 16, v0
	v_xor_b32_e32 v17, 8, v0
	v_cmp_gt_i32_e32 vcc_lo, 32, v1
	s_wait_alu 0xfffd
	v_cndmask_b32_e32 v1, v0, v1, vcc_lo
	v_cmp_gt_i32_e32 vcc_lo, 32, v9
	s_delay_alu instid0(VALU_DEP_2)
	v_lshlrev_b32_e32 v1, 2, v1
	ds_bpermute_b32 v4, v1, v126
	s_wait_dscnt 0x0
	v_add_f32_e32 v4, v126, v4
	ds_bpermute_b32 v2, v1, v125
	ds_bpermute_b32 v6, v1, v124
	;; [unrolled: 1-line block ×3, first 2 shown]
	s_wait_alu 0xfffd
	v_cndmask_b32_e32 v9, v0, v9, vcc_lo
	ds_bpermute_b32 v3, v1, v118
	ds_bpermute_b32 v5, v1, v119
	;; [unrolled: 1-line block ×4, first 2 shown]
	v_cmp_gt_i32_e32 vcc_lo, 32, v17
	s_wait_dscnt 0x6
	s_wait_alu 0xfffd
	v_dual_cndmask_b32 v17, v0, v17 :: v_dual_add_f32 v2, v125, v2
	s_wait_dscnt 0x5
	v_add_f32_e32 v6, v124, v6
	s_wait_dscnt 0x4
	v_dual_add_f32 v8, v123, v8 :: v_dual_lshlrev_b32 v9, 2, v9
	s_wait_dscnt 0x0
	v_add_f32_e32 v1, v120, v1
	ds_bpermute_b32 v10, v9, v2
	ds_bpermute_b32 v12, v9, v4
	;; [unrolled: 1-line block ×3, first 2 shown]
	v_add_f32_e32 v3, v118, v3
	v_add_f32_e32 v5, v119, v5
	;; [unrolled: 1-line block ×3, first 2 shown]
	ds_bpermute_b32 v16, v9, v8
	s_wait_dscnt 0x3
	v_dual_add_f32 v2, v2, v10 :: v_dual_lshlrev_b32 v17, 2, v17
	ds_bpermute_b32 v13, v9, v5
	s_wait_dscnt 0x3
	v_add_f32_e32 v4, v4, v12
	ds_bpermute_b32 v11, v9, v3
	s_wait_dscnt 0x3
	v_add_f32_e32 v6, v6, v14
	ds_bpermute_b32 v15, v9, v7
	ds_bpermute_b32 v9, v9, v1
	s_wait_dscnt 0x0
	v_dual_add_f32 v8, v8, v16 :: v_dual_add_f32 v1, v1, v9
	ds_bpermute_b32 v9, v17, v2
	v_add_f32_e32 v3, v3, v11
	ds_bpermute_b32 v11, v17, v4
	v_add_f32_e32 v5, v5, v13
	;; [unrolled: 2-line block ×3, first 2 shown]
	ds_bpermute_b32 v15, v17, v8
	s_wait_dscnt 0x3
	v_add_f32_e32 v2, v2, v9
	ds_bpermute_b32 v10, v17, v3
	s_wait_dscnt 0x3
	v_add_f32_e32 v4, v4, v11
	;; [unrolled: 3-line block ×4, first 2 shown]
	ds_bpermute_b32 v16, v17, v1
	v_xor_b32_e32 v17, 4, v0
	s_delay_alu instid0(VALU_DEP_1) | instskip(SKIP_2) | instid1(VALU_DEP_1)
	v_cmp_gt_i32_e32 vcc_lo, 32, v17
	s_wait_alu 0xfffd
	v_cndmask_b32_e32 v17, v0, v17, vcc_lo
	v_lshlrev_b32_e32 v17, 2, v17
	s_wait_dscnt 0x0
	v_add_f32_e32 v1, v1, v16
	ds_bpermute_b32 v11, v17, v4
	s_wait_dscnt 0x0
	v_add_f32_e32 v4, v4, v11
	ds_bpermute_b32 v9, v17, v2
	ds_bpermute_b32 v13, v17, v6
	;; [unrolled: 1-line block ×3, first 2 shown]
	v_add_f32_e32 v3, v3, v10
	v_add_f32_e32 v5, v5, v12
	v_add_f32_e32 v7, v7, v14
	ds_bpermute_b32 v16, v17, v1
	s_wait_dscnt 0x3
	v_add_f32_e32 v2, v2, v9
	ds_bpermute_b32 v10, v17, v3
	s_wait_dscnt 0x3
	v_add_f32_e32 v6, v6, v13
	;; [unrolled: 3-line block ×3, first 2 shown]
	ds_bpermute_b32 v14, v17, v7
	v_xor_b32_e32 v17, 2, v0
	s_wait_dscnt 0x3
	v_add_f32_e32 v9, v1, v16
	s_delay_alu instid0(VALU_DEP_2) | instskip(SKIP_2) | instid1(VALU_DEP_1)
	v_cmp_gt_i32_e32 vcc_lo, 32, v17
	s_wait_alu 0xfffd
	v_cndmask_b32_e32 v17, v0, v17, vcc_lo
	v_lshlrev_b32_e32 v17, 2, v17
	ds_bpermute_b32 v1, v17, v2
	s_wait_dscnt 0x3
	v_add_f32_e32 v3, v3, v10
	ds_bpermute_b32 v13, v17, v6
	s_wait_dscnt 0x3
	v_add_f32_e32 v5, v5, v12
	;; [unrolled: 3-line block ×3, first 2 shown]
	ds_bpermute_b32 v10, v17, v3
	ds_bpermute_b32 v11, v17, v4
	;; [unrolled: 1-line block ×5, first 2 shown]
	v_xor_b32_e32 v17, 1, v0
	s_delay_alu instid0(VALU_DEP_1) | instskip(SKIP_4) | instid1(VALU_DEP_2)
	v_cmp_gt_i32_e32 vcc_lo, 32, v17
	s_wait_alu 0xfffd
	v_cndmask_b32_e32 v0, v0, v17, vcc_lo
	v_cmp_eq_u32_e32 vcc_lo, 63, v117
	s_wait_dscnt 0x7
	v_dual_add_f32 v0, v2, v1 :: v_dual_lshlrev_b32 v17, 2, v0
	s_wait_dscnt 0x3
	v_dual_add_f32 v1, v3, v10 :: v_dual_add_f32 v2, v4, v11
	s_wait_dscnt 0x2
	v_dual_add_f32 v4, v6, v13 :: v_dual_add_f32 v3, v5, v12
	;; [unrolled: 2-line block ×3, first 2 shown]
	v_add_f32_e32 v7, v9, v16
	ds_bpermute_b32 v8, v17, v0
	ds_bpermute_b32 v9, v17, v1
	;; [unrolled: 1-line block ×8, first 2 shown]
	s_and_b32 exec_lo, exec_lo, vcc_lo
	s_cbranch_execz .LBB14_8
; %bb.36:
	s_load_b64 s[2:3], s[0:1], 0x50
	s_wait_dscnt 0x7
	v_add_f32_e32 v8, v0, v8
	s_wait_dscnt 0x4
	v_dual_add_f32 v0, v1, v9 :: v_dual_add_f32 v1, v3, v11
	s_wait_dscnt 0x2
	v_dual_add_f32 v9, v2, v10 :: v_dual_add_f32 v2, v5, v13
	;; [unrolled: 2-line block ×3, first 2 shown]
	v_add_f32_e32 v11, v6, v14
	v_mul_f32_e64 v4, v0, -v107
	v_mul_f32_e32 v5, v106, v0
	v_mul_f32_e64 v6, v1, -v107
	v_mul_f32_e32 v7, v106, v1
	;; [unrolled: 2-line block ×4, first 2 shown]
	v_cmp_eq_f32_e32 vcc_lo, 0, v104
	v_cmp_eq_f32_e64 s0, 0, v105
	v_fmac_f32_e32 v4, v106, v8
	v_dual_fmac_f32 v5, v107, v8 :: v_dual_fmac_f32 v6, v106, v9
	v_dual_fmac_f32 v7, v107, v9 :: v_dual_lshlrev_b32 v8, 2, v108
	v_dual_fmac_f32 v0, v106, v10 :: v_dual_fmac_f32 v3, v107, v11
	v_dual_fmac_f32 v1, v107, v10 :: v_dual_fmac_f32 v2, v106, v11
	s_and_b32 s0, vcc_lo, s0
	s_wait_alu 0xfffe
	s_and_saveexec_b32 s1, s0
	s_wait_alu 0xfffe
	s_xor_b32 s0, exec_lo, s1
	s_cbranch_execz .LBB14_38
; %bb.37:
	v_ashrrev_i32_e32 v9, 31, v8
                                        ; implicit-def: $vgpr104_vgpr105
	s_delay_alu instid0(VALU_DEP_1) | instskip(SKIP_1) | instid1(VALU_DEP_1)
	v_lshlrev_b64_e32 v[8:9], 3, v[8:9]
	s_wait_kmcnt 0x0
	v_add_co_u32 v8, vcc_lo, s2, v8
	s_wait_alu 0xfffd
	s_delay_alu instid0(VALU_DEP_2)
	v_add_co_ci_u32_e64 v9, null, s3, v9, vcc_lo
	s_clause 0x1
	global_store_b128 v[8:9], v[4:7], off
	global_store_b128 v[8:9], v[0:3], off offset:16
                                        ; implicit-def: $vgpr4
                                        ; implicit-def: $vgpr8
                                        ; implicit-def: $vgpr0
.LBB14_38:
	s_wait_alu 0xfffe
	s_and_not1_saveexec_b32 s0, s0
	s_cbranch_execz .LBB14_8
; %bb.39:
	v_ashrrev_i32_e32 v9, 31, v8
	s_delay_alu instid0(VALU_DEP_1) | instskip(SKIP_1) | instid1(VALU_DEP_1)
	v_lshlrev_b64_e32 v[8:9], 3, v[8:9]
	s_wait_kmcnt 0x0
	v_add_co_u32 v16, vcc_lo, s2, v8
	s_wait_alu 0xfffd
	s_delay_alu instid0(VALU_DEP_2)
	v_add_co_ci_u32_e64 v17, null, s3, v9, vcc_lo
	s_clause 0x1
	global_load_b128 v[8:11], v[16:17], off
	global_load_b128 v[12:15], v[16:17], off offset:16
	s_wait_loadcnt 0x1
	v_dual_fmac_f32 v4, v104, v8 :: v_dual_fmac_f32 v7, v105, v10
	v_dual_fmac_f32 v5, v105, v8 :: v_dual_fmac_f32 v6, v104, v10
	s_wait_loadcnt 0x0
	v_dual_fmac_f32 v0, v104, v12 :: v_dual_fmac_f32 v3, v105, v14
	v_dual_fmac_f32 v1, v105, v12 :: v_dual_fmac_f32 v2, v104, v14
	v_fma_f32 v4, -v105, v9, v4
	v_fmac_f32_e32 v5, v104, v9
	v_fma_f32 v6, -v105, v11, v6
	v_fmac_f32_e32 v7, v104, v11
	;; [unrolled: 2-line block ×4, first 2 shown]
	s_clause 0x1
	global_store_b128 v[16:17], v[4:7], off
	global_store_b128 v[16:17], v[0:3], off offset:16
	s_nop 0
	s_sendmsg sendmsg(MSG_DEALLOC_VGPRS)
	s_endpgm
	.section	.rodata,"a",@progbits
	.p2align	6, 0x0
	.amdhsa_kernel _ZN9rocsparseL18bsrxmvn_4x4_kernelILj128ELj64E21rocsparse_complex_numIfEiiS2_S2_S2_EEvT3_20rocsparse_direction_NS_24const_host_device_scalarIT1_EES3_PKS3_PKT2_SC_S9_PKT4_PKT5_S7_PT6_21rocsparse_index_base_b
		.amdhsa_group_segment_fixed_size 0
		.amdhsa_private_segment_fixed_size 0
		.amdhsa_kernarg_size 96
		.amdhsa_user_sgpr_count 2
		.amdhsa_user_sgpr_dispatch_ptr 0
		.amdhsa_user_sgpr_queue_ptr 0
		.amdhsa_user_sgpr_kernarg_segment_ptr 1
		.amdhsa_user_sgpr_dispatch_id 0
		.amdhsa_user_sgpr_private_segment_size 0
		.amdhsa_wavefront_size32 1
		.amdhsa_uses_dynamic_stack 0
		.amdhsa_enable_private_segment 0
		.amdhsa_system_sgpr_workgroup_id_x 1
		.amdhsa_system_sgpr_workgroup_id_y 0
		.amdhsa_system_sgpr_workgroup_id_z 0
		.amdhsa_system_sgpr_workgroup_info 0
		.amdhsa_system_vgpr_workitem_id 0
		.amdhsa_next_free_vgpr 152
		.amdhsa_next_free_sgpr 14
		.amdhsa_reserve_vcc 1
		.amdhsa_float_round_mode_32 0
		.amdhsa_float_round_mode_16_64 0
		.amdhsa_float_denorm_mode_32 3
		.amdhsa_float_denorm_mode_16_64 3
		.amdhsa_fp16_overflow 0
		.amdhsa_workgroup_processor_mode 1
		.amdhsa_memory_ordered 1
		.amdhsa_forward_progress 1
		.amdhsa_inst_pref_size 65
		.amdhsa_round_robin_scheduling 0
		.amdhsa_exception_fp_ieee_invalid_op 0
		.amdhsa_exception_fp_denorm_src 0
		.amdhsa_exception_fp_ieee_div_zero 0
		.amdhsa_exception_fp_ieee_overflow 0
		.amdhsa_exception_fp_ieee_underflow 0
		.amdhsa_exception_fp_ieee_inexact 0
		.amdhsa_exception_int_div_zero 0
	.end_amdhsa_kernel
	.section	.text._ZN9rocsparseL18bsrxmvn_4x4_kernelILj128ELj64E21rocsparse_complex_numIfEiiS2_S2_S2_EEvT3_20rocsparse_direction_NS_24const_host_device_scalarIT1_EES3_PKS3_PKT2_SC_S9_PKT4_PKT5_S7_PT6_21rocsparse_index_base_b,"axG",@progbits,_ZN9rocsparseL18bsrxmvn_4x4_kernelILj128ELj64E21rocsparse_complex_numIfEiiS2_S2_S2_EEvT3_20rocsparse_direction_NS_24const_host_device_scalarIT1_EES3_PKS3_PKT2_SC_S9_PKT4_PKT5_S7_PT6_21rocsparse_index_base_b,comdat
.Lfunc_end14:
	.size	_ZN9rocsparseL18bsrxmvn_4x4_kernelILj128ELj64E21rocsparse_complex_numIfEiiS2_S2_S2_EEvT3_20rocsparse_direction_NS_24const_host_device_scalarIT1_EES3_PKS3_PKT2_SC_S9_PKT4_PKT5_S7_PT6_21rocsparse_index_base_b, .Lfunc_end14-_ZN9rocsparseL18bsrxmvn_4x4_kernelILj128ELj64E21rocsparse_complex_numIfEiiS2_S2_S2_EEvT3_20rocsparse_direction_NS_24const_host_device_scalarIT1_EES3_PKS3_PKT2_SC_S9_PKT4_PKT5_S7_PT6_21rocsparse_index_base_b
                                        ; -- End function
	.set _ZN9rocsparseL18bsrxmvn_4x4_kernelILj128ELj64E21rocsparse_complex_numIfEiiS2_S2_S2_EEvT3_20rocsparse_direction_NS_24const_host_device_scalarIT1_EES3_PKS3_PKT2_SC_S9_PKT4_PKT5_S7_PT6_21rocsparse_index_base_b.num_vgpr, 152
	.set _ZN9rocsparseL18bsrxmvn_4x4_kernelILj128ELj64E21rocsparse_complex_numIfEiiS2_S2_S2_EEvT3_20rocsparse_direction_NS_24const_host_device_scalarIT1_EES3_PKS3_PKT2_SC_S9_PKT4_PKT5_S7_PT6_21rocsparse_index_base_b.num_agpr, 0
	.set _ZN9rocsparseL18bsrxmvn_4x4_kernelILj128ELj64E21rocsparse_complex_numIfEiiS2_S2_S2_EEvT3_20rocsparse_direction_NS_24const_host_device_scalarIT1_EES3_PKS3_PKT2_SC_S9_PKT4_PKT5_S7_PT6_21rocsparse_index_base_b.numbered_sgpr, 14
	.set _ZN9rocsparseL18bsrxmvn_4x4_kernelILj128ELj64E21rocsparse_complex_numIfEiiS2_S2_S2_EEvT3_20rocsparse_direction_NS_24const_host_device_scalarIT1_EES3_PKS3_PKT2_SC_S9_PKT4_PKT5_S7_PT6_21rocsparse_index_base_b.num_named_barrier, 0
	.set _ZN9rocsparseL18bsrxmvn_4x4_kernelILj128ELj64E21rocsparse_complex_numIfEiiS2_S2_S2_EEvT3_20rocsparse_direction_NS_24const_host_device_scalarIT1_EES3_PKS3_PKT2_SC_S9_PKT4_PKT5_S7_PT6_21rocsparse_index_base_b.private_seg_size, 0
	.set _ZN9rocsparseL18bsrxmvn_4x4_kernelILj128ELj64E21rocsparse_complex_numIfEiiS2_S2_S2_EEvT3_20rocsparse_direction_NS_24const_host_device_scalarIT1_EES3_PKS3_PKT2_SC_S9_PKT4_PKT5_S7_PT6_21rocsparse_index_base_b.uses_vcc, 1
	.set _ZN9rocsparseL18bsrxmvn_4x4_kernelILj128ELj64E21rocsparse_complex_numIfEiiS2_S2_S2_EEvT3_20rocsparse_direction_NS_24const_host_device_scalarIT1_EES3_PKS3_PKT2_SC_S9_PKT4_PKT5_S7_PT6_21rocsparse_index_base_b.uses_flat_scratch, 0
	.set _ZN9rocsparseL18bsrxmvn_4x4_kernelILj128ELj64E21rocsparse_complex_numIfEiiS2_S2_S2_EEvT3_20rocsparse_direction_NS_24const_host_device_scalarIT1_EES3_PKS3_PKT2_SC_S9_PKT4_PKT5_S7_PT6_21rocsparse_index_base_b.has_dyn_sized_stack, 0
	.set _ZN9rocsparseL18bsrxmvn_4x4_kernelILj128ELj64E21rocsparse_complex_numIfEiiS2_S2_S2_EEvT3_20rocsparse_direction_NS_24const_host_device_scalarIT1_EES3_PKS3_PKT2_SC_S9_PKT4_PKT5_S7_PT6_21rocsparse_index_base_b.has_recursion, 0
	.set _ZN9rocsparseL18bsrxmvn_4x4_kernelILj128ELj64E21rocsparse_complex_numIfEiiS2_S2_S2_EEvT3_20rocsparse_direction_NS_24const_host_device_scalarIT1_EES3_PKS3_PKT2_SC_S9_PKT4_PKT5_S7_PT6_21rocsparse_index_base_b.has_indirect_call, 0
	.section	.AMDGPU.csdata,"",@progbits
; Kernel info:
; codeLenInByte = 8216
; TotalNumSgprs: 16
; NumVgprs: 152
; ScratchSize: 0
; MemoryBound: 0
; FloatMode: 240
; IeeeMode: 1
; LDSByteSize: 0 bytes/workgroup (compile time only)
; SGPRBlocks: 0
; VGPRBlocks: 18
; NumSGPRsForWavesPerEU: 16
; NumVGPRsForWavesPerEU: 152
; Occupancy: 9
; WaveLimiterHint : 1
; COMPUTE_PGM_RSRC2:SCRATCH_EN: 0
; COMPUTE_PGM_RSRC2:USER_SGPR: 2
; COMPUTE_PGM_RSRC2:TRAP_HANDLER: 0
; COMPUTE_PGM_RSRC2:TGID_X_EN: 1
; COMPUTE_PGM_RSRC2:TGID_Y_EN: 0
; COMPUTE_PGM_RSRC2:TGID_Z_EN: 0
; COMPUTE_PGM_RSRC2:TIDIG_COMP_CNT: 0
	.section	.text._ZN9rocsparseL18bsrxmvn_4x4_kernelILj128ELj4E21rocsparse_complex_numIdEiiS2_S2_S2_EEvT3_20rocsparse_direction_NS_24const_host_device_scalarIT1_EES3_PKS3_PKT2_SC_S9_PKT4_PKT5_S7_PT6_21rocsparse_index_base_b,"axG",@progbits,_ZN9rocsparseL18bsrxmvn_4x4_kernelILj128ELj4E21rocsparse_complex_numIdEiiS2_S2_S2_EEvT3_20rocsparse_direction_NS_24const_host_device_scalarIT1_EES3_PKS3_PKT2_SC_S9_PKT4_PKT5_S7_PT6_21rocsparse_index_base_b,comdat
	.globl	_ZN9rocsparseL18bsrxmvn_4x4_kernelILj128ELj4E21rocsparse_complex_numIdEiiS2_S2_S2_EEvT3_20rocsparse_direction_NS_24const_host_device_scalarIT1_EES3_PKS3_PKT2_SC_S9_PKT4_PKT5_S7_PT6_21rocsparse_index_base_b ; -- Begin function _ZN9rocsparseL18bsrxmvn_4x4_kernelILj128ELj4E21rocsparse_complex_numIdEiiS2_S2_S2_EEvT3_20rocsparse_direction_NS_24const_host_device_scalarIT1_EES3_PKS3_PKT2_SC_S9_PKT4_PKT5_S7_PT6_21rocsparse_index_base_b
	.p2align	8
	.type	_ZN9rocsparseL18bsrxmvn_4x4_kernelILj128ELj4E21rocsparse_complex_numIdEiiS2_S2_S2_EEvT3_20rocsparse_direction_NS_24const_host_device_scalarIT1_EES3_PKS3_PKT2_SC_S9_PKT4_PKT5_S7_PT6_21rocsparse_index_base_b,@function
_ZN9rocsparseL18bsrxmvn_4x4_kernelILj128ELj4E21rocsparse_complex_numIdEiiS2_S2_S2_EEvT3_20rocsparse_direction_NS_24const_host_device_scalarIT1_EES3_PKS3_PKT2_SC_S9_PKT4_PKT5_S7_PT6_21rocsparse_index_base_b: ; @_ZN9rocsparseL18bsrxmvn_4x4_kernelILj128ELj4E21rocsparse_complex_numIdEiiS2_S2_S2_EEvT3_20rocsparse_direction_NS_24const_host_device_scalarIT1_EES3_PKS3_PKT2_SC_S9_PKT4_PKT5_S7_PT6_21rocsparse_index_base_b
; %bb.0:
	s_clause 0x1
	s_load_b64 s[12:13], s[0:1], 0x68
	s_load_b64 s[2:3], s[0:1], 0x8
	s_add_nc_u64 s[4:5], s[0:1], 8
	s_load_b64 s[6:7], s[0:1], 0x50
	s_wait_kmcnt 0x0
	s_bitcmp1_b32 s13, 0
	s_cselect_b32 s2, s4, s2
	s_cselect_b32 s3, s5, s3
	s_delay_alu instid0(SALU_CYCLE_1)
	v_dual_mov_b32 v1, s2 :: v_dual_mov_b32 v2, s3
	s_add_nc_u64 s[2:3], s[0:1], 0x50
	s_wait_alu 0xfffe
	s_cselect_b32 s2, s2, s6
	s_cselect_b32 s3, s3, s7
	flat_load_b128 v[5:8], v[1:2]
	s_wait_alu 0xfffe
	v_dual_mov_b32 v1, s2 :: v_dual_mov_b32 v2, s3
	flat_load_b128 v[1:4], v[1:2]
	s_wait_loadcnt_dscnt 0x101
	v_cmp_eq_f64_e32 vcc_lo, 0, v[5:6]
	v_cmp_eq_f64_e64 s2, 0, v[7:8]
	s_and_b32 s4, vcc_lo, s2
	s_mov_b32 s2, -1
	s_and_saveexec_b32 s3, s4
	s_cbranch_execz .LBB15_2
; %bb.1:
	s_wait_loadcnt_dscnt 0x0
	v_cmp_neq_f64_e32 vcc_lo, 1.0, v[1:2]
	v_cmp_neq_f64_e64 s2, 0, v[3:4]
	s_wait_alu 0xfffe
	s_or_b32 s2, vcc_lo, s2
	s_wait_alu 0xfffe
	s_or_not1_b32 s2, s2, exec_lo
.LBB15_2:
	s_wait_alu 0xfffe
	s_or_b32 exec_lo, exec_lo, s3
	s_and_saveexec_b32 s3, s2
	s_cbranch_execz .LBB15_8
; %bb.3:
	s_clause 0x1
	s_load_b64 s[4:5], s[0:1], 0x20
	s_load_b64 s[2:3], s[0:1], 0x0
	v_lshrrev_b32_e32 v9, 2, v0
	s_delay_alu instid0(VALU_DEP_1)
	v_lshl_or_b32 v25, ttmp9, 5, v9
	s_wait_kmcnt 0x0
	s_cmp_lg_u64 s[4:5], 0
	s_cbranch_scc0 .LBB15_9
; %bb.4:
	s_load_b32 s6, s[0:1], 0x18
	s_mov_b32 s7, 0
                                        ; implicit-def: $vgpr9
	s_wait_kmcnt 0x0
	v_cmp_gt_i32_e32 vcc_lo, s6, v25
	s_mov_b32 s6, 0
	s_and_saveexec_b32 s8, vcc_lo
	s_delay_alu instid0(SALU_CYCLE_1)
	s_xor_b32 s8, exec_lo, s8
	s_cbranch_execz .LBB15_6
; %bb.5:
	v_ashrrev_i32_e32 v26, 31, v25
	s_mov_b32 s6, exec_lo
	s_delay_alu instid0(VALU_DEP_1) | instskip(NEXT) | instid1(VALU_DEP_1)
	v_lshlrev_b64_e32 v[9:10], 2, v[25:26]
	v_add_co_u32 v9, vcc_lo, s4, v9
	s_delay_alu instid0(VALU_DEP_1)
	v_add_co_ci_u32_e64 v10, null, s5, v10, vcc_lo
	global_load_b32 v9, v[9:10], off
	s_wait_loadcnt 0x0
	v_subrev_nc_u32_e32 v9, s12, v9
.LBB15_6:
	s_or_b32 exec_lo, exec_lo, s8
	s_delay_alu instid0(SALU_CYCLE_1)
	s_and_b32 vcc_lo, exec_lo, s7
	s_wait_alu 0xfffe
	s_cbranch_vccz .LBB15_10
.LBB15_7:
	v_cmp_gt_i32_e32 vcc_lo, s2, v25
	s_and_not1_b32 s2, s6, exec_lo
	s_and_b32 s4, vcc_lo, exec_lo
	s_wait_alu 0xfffe
	s_or_b32 s6, s2, s4
	s_wait_alu 0xfffe
	s_and_b32 exec_lo, exec_lo, s6
	s_cbranch_execnz .LBB15_11
.LBB15_8:
	s_nop 0
	s_sendmsg sendmsg(MSG_DEALLOC_VGPRS)
	s_endpgm
.LBB15_9:
	s_mov_b32 s6, 0
                                        ; implicit-def: $vgpr9
	s_cbranch_execnz .LBB15_7
.LBB15_10:
	v_mov_b32_e32 v25, v9
	s_and_b32 exec_lo, exec_lo, s6
	s_cbranch_execz .LBB15_8
.LBB15_11:
	s_load_b256 s[4:11], s[0:1], 0x28
	s_delay_alu instid0(VALU_DEP_1) | instskip(SKIP_1) | instid1(VALU_DEP_2)
	v_ashrrev_i32_e32 v26, 31, v25
	v_and_b32_e32 v0, 3, v0
	v_lshlrev_b64_e32 v[9:10], 2, v[25:26]
	s_wait_kmcnt 0x0
	s_delay_alu instid0(VALU_DEP_1) | instskip(SKIP_1) | instid1(VALU_DEP_2)
	v_add_co_u32 v11, vcc_lo, s4, v9
	s_wait_alu 0xfffd
	v_add_co_ci_u32_e64 v12, null, s5, v10, vcc_lo
	v_add_co_u32 v9, vcc_lo, s6, v9
	s_wait_alu 0xfffd
	v_add_co_ci_u32_e64 v10, null, s7, v10, vcc_lo
	global_load_b32 v51, v[11:12], off
	v_add_co_u32 v11, vcc_lo, v11, 4
	s_wait_alu 0xfffd
	v_add_co_ci_u32_e64 v12, null, 0, v12, vcc_lo
	s_cmp_eq_u64 s[6:7], 0
	s_load_b64 s[4:5], s[0:1], 0x48
	s_cselect_b32 vcc_lo, -1, 0
	s_cmp_eq_u32 s3, 1
	s_wait_alu 0xfffe
	v_dual_cndmask_b32 v10, v10, v12 :: v_dual_cndmask_b32 v9, v9, v11
	global_load_b32 v11, v[9:10], off
	s_wait_loadcnt 0x1
	v_subrev_nc_u32_e32 v9, s12, v51
	s_delay_alu instid0(VALU_DEP_1) | instskip(NEXT) | instid1(VALU_DEP_1)
	v_add_nc_u32_e32 v26, v9, v0
	v_ashrrev_i32_e32 v27, 31, v26
	s_wait_loadcnt 0x0
	v_subrev_nc_u32_e32 v50, s12, v11
	s_delay_alu instid0(VALU_DEP_2) | instskip(NEXT) | instid1(VALU_DEP_2)
	v_lshlrev_b64_e32 v[9:10], 8, v[26:27]
	v_cmp_lt_i32_e64 s2, v26, v50
	s_delay_alu instid0(VALU_DEP_2) | instskip(SKIP_1) | instid1(VALU_DEP_3)
	v_add_co_u32 v28, vcc_lo, s10, v9
	s_wait_alu 0xfffd
	v_add_co_ci_u32_e64 v29, null, s11, v10, vcc_lo
	s_cbranch_scc1 .LBB15_23
; %bb.12:
	v_mov_b32_e32 v34, 0
	v_mov_b32_e32 v32, 0
	;; [unrolled: 1-line block ×3, first 2 shown]
	v_dual_mov_b32 v44, 0 :: v_dual_mov_b32 v35, 0
	v_dual_mov_b32 v38, 0 :: v_dual_mov_b32 v33, 0
	;; [unrolled: 1-line block ×5, first 2 shown]
	v_mov_b32_e32 v31, 0
	v_mov_b32_e32 v43, 0
	;; [unrolled: 1-line block ×3, first 2 shown]
	s_and_saveexec_b32 s6, s2
	s_cbranch_execz .LBB15_22
; %bb.13:
	v_dual_mov_b32 v36, 0 :: v_dual_add_nc_u32 v9, v51, v0
	v_not_b32_e32 v10, v51
	v_dual_mov_b32 v37, 0 :: v_dual_mov_b32 v42, 0
	s_delay_alu instid0(VALU_DEP_3) | instskip(SKIP_2) | instid1(VALU_DEP_3)
	v_subrev_nc_u32_e32 v9, s12, v9
	v_dual_mov_b32 v43, 0 :: v_dual_mov_b32 v30, 0
	v_dual_mov_b32 v31, 0 :: v_dual_mov_b32 v32, 0
	v_dual_mov_b32 v44, 0 :: v_dual_add_nc_u32 v9, 4, v9
	v_dual_mov_b32 v33, 0 :: v_dual_mov_b32 v38, 0
	v_dual_mov_b32 v45, 0 :: v_dual_mov_b32 v40, 0
	s_delay_alu instid0(VALU_DEP_3) | instskip(SKIP_2) | instid1(VALU_DEP_3)
	v_max_i32_e32 v9, v9, v50
	v_dual_mov_b32 v39, 0 :: v_dual_mov_b32 v34, 0
	v_dual_mov_b32 v49, v29 :: v_dual_mov_b32 v46, v26
	v_add3_u32 v9, s12, v9, v10
	v_dual_mov_b32 v35, 0 :: v_dual_mov_b32 v48, v28
	s_mov_b32 s3, exec_lo
	s_delay_alu instid0(VALU_DEP_2) | instskip(NEXT) | instid1(VALU_DEP_1)
	v_sub_nc_u32_e32 v9, v9, v0
	v_dual_mov_b32 v41, 0 :: v_dual_and_b32 v10, 12, v9
	s_delay_alu instid0(VALU_DEP_1)
	v_cmpx_ne_u32_e32 12, v10
	s_cbranch_execz .LBB15_17
; %bb.14:
	v_lshrrev_b32_e32 v10, 2, v9
	v_mov_b32_e32 v34, 0
	v_dual_mov_b32 v35, 0 :: v_dual_mov_b32 v38, 0
	v_mov_b32_e32 v32, 0
	s_delay_alu instid0(VALU_DEP_4) | instskip(SKIP_3) | instid1(VALU_DEP_4)
	v_add_nc_u32_e32 v10, 1, v10
	v_mov_b32_e32 v30, 0
	v_mov_b32_e32 v40, 0
	v_dual_mov_b32 v42, 0 :: v_dual_mov_b32 v49, v29
	v_and_b32_e32 v10, 3, v10
	v_mov_b32_e32 v44, 0
	v_mov_b32_e32 v36, 0
	v_dual_mov_b32 v46, v26 :: v_dual_mov_b32 v33, 0
	v_mov_b32_e32 v39, 0
	v_mov_b32_e32 v31, 0
	v_mov_b32_e32 v41, 0
	v_mov_b32_e32 v43, 0
	v_mov_b32_e32 v45, 0
	v_mov_b32_e32 v37, 0
	v_sub_nc_u32_e32 v10, 0, v10
	v_mov_b32_e32 v48, v28
	s_mov_b32 s7, 0
.LBB15_15:                              ; =>This Inner Loop Header: Depth=1
	v_ashrrev_i32_e32 v47, 31, v46
	s_delay_alu instid0(VALU_DEP_3) | instskip(SKIP_2) | instid1(VALU_DEP_2)
	v_add_co_u32 v10, s10, v10, 1
	s_wait_alu 0xfffe
	s_or_b32 s7, s10, s7
	v_lshlrev_b64_e32 v[11:12], 2, v[46:47]
	v_add_nc_u32_e32 v46, 4, v46
	s_delay_alu instid0(VALU_DEP_2) | instskip(SKIP_1) | instid1(VALU_DEP_3)
	v_add_co_u32 v11, vcc_lo, s8, v11
	s_wait_alu 0xfffd
	v_add_co_ci_u32_e64 v12, null, s9, v12, vcc_lo
	global_load_b32 v23, v[11:12], off
	s_clause 0x7
	global_load_b128 v[11:14], v[48:49], off offset:16
	global_load_b128 v[15:18], v[48:49], off
	global_load_b128 v[19:22], v[48:49], off offset:80
	global_load_b128 v[52:55], v[48:49], off offset:64
	;; [unrolled: 1-line block ×6, first 2 shown]
	s_wait_loadcnt 0x8
	v_subrev_nc_u32_e32 v23, s12, v23
	s_delay_alu instid0(VALU_DEP_1) | instskip(NEXT) | instid1(VALU_DEP_1)
	v_lshlrev_b32_e32 v23, 2, v23
	v_ashrrev_i32_e32 v24, 31, v23
	s_delay_alu instid0(VALU_DEP_1) | instskip(SKIP_1) | instid1(VALU_DEP_1)
	v_lshlrev_b64_e32 v[23:24], 4, v[23:24]
	s_wait_kmcnt 0x0
	v_add_co_u32 v23, vcc_lo, s4, v23
	s_wait_alu 0xfffd
	s_delay_alu instid0(VALU_DEP_2)
	v_add_co_ci_u32_e64 v24, null, s5, v24, vcc_lo
	s_clause 0x1
	global_load_b128 v[72:75], v[23:24], off
	global_load_b128 v[76:79], v[23:24], off offset:16
	s_clause 0x7
	global_load_b128 v[80:83], v[48:49], off offset:48
	global_load_b128 v[84:87], v[48:49], off offset:32
	;; [unrolled: 1-line block ×8, first 2 shown]
	s_clause 0x1
	global_load_b128 v[112:115], v[23:24], off offset:32
	global_load_b128 v[116:119], v[23:24], off offset:48
	v_add_co_u32 v48, vcc_lo, 0x400, v48
	s_wait_alu 0xfffd
	v_add_co_ci_u32_e64 v49, null, 0, v49, vcc_lo
	s_wait_loadcnt 0xb
	v_fma_f64 v[23:24], v[15:16], v[72:73], v[38:39]
	v_fma_f64 v[34:35], v[17:18], v[72:73], v[34:35]
	v_fma_f64 v[38:39], v[52:53], v[72:73], v[44:45]
	v_fma_f64 v[36:37], v[54:55], v[72:73], v[36:37]
	v_fma_f64 v[40:41], v[60:61], v[72:73], v[40:41]
	v_fma_f64 v[42:43], v[62:63], v[72:73], v[42:43]
	v_fma_f64 v[32:33], v[68:69], v[72:73], v[32:33]
	v_fma_f64 v[30:31], v[70:71], v[72:73], v[30:31]
	v_fma_f64 v[17:18], -v[17:18], v[74:75], v[23:24]
	v_fma_f64 v[15:16], v[15:16], v[74:75], v[34:35]
	v_fma_f64 v[23:24], -v[54:55], v[74:75], v[38:39]
	v_fma_f64 v[34:35], v[52:53], v[74:75], v[36:37]
	v_fma_f64 v[36:37], -v[62:63], v[74:75], v[40:41]
	v_fma_f64 v[38:39], v[60:61], v[74:75], v[42:43]
	v_fma_f64 v[32:33], -v[70:71], v[74:75], v[32:33]
	v_fma_f64 v[30:31], v[68:69], v[74:75], v[30:31]
	s_wait_loadcnt 0xa
	v_fma_f64 v[17:18], v[11:12], v[76:77], v[17:18]
	v_fma_f64 v[15:16], v[13:14], v[76:77], v[15:16]
	v_fma_f64 v[23:24], v[19:20], v[76:77], v[23:24]
	v_fma_f64 v[34:35], v[21:22], v[76:77], v[34:35]
	v_fma_f64 v[36:37], v[56:57], v[76:77], v[36:37]
	v_fma_f64 v[38:39], v[58:59], v[76:77], v[38:39]
	v_fma_f64 v[32:33], v[64:65], v[76:77], v[32:33]
	v_fma_f64 v[30:31], v[66:67], v[76:77], v[30:31]
	v_fma_f64 v[13:14], -v[13:14], v[78:79], v[17:18]
	v_fma_f64 v[11:12], v[11:12], v[78:79], v[15:16]
	v_fma_f64 v[15:16], -v[21:22], v[78:79], v[23:24]
	v_fma_f64 v[17:18], v[19:20], v[78:79], v[34:35]
	v_fma_f64 v[19:20], -v[58:59], v[78:79], v[36:37]
	v_fma_f64 v[21:22], v[56:57], v[78:79], v[38:39]
	v_fma_f64 v[23:24], -v[66:67], v[78:79], v[32:33]
	v_fma_f64 v[30:31], v[64:65], v[78:79], v[30:31]
	s_wait_loadcnt 0x1
	v_fma_f64 v[13:14], v[84:85], v[112:113], v[13:14]
	v_fma_f64 v[11:12], v[86:87], v[112:113], v[11:12]
	v_fma_f64 v[15:16], v[92:93], v[112:113], v[15:16]
	v_fma_f64 v[17:18], v[94:95], v[112:113], v[17:18]
	v_fma_f64 v[19:20], v[100:101], v[112:113], v[19:20]
	v_fma_f64 v[21:22], v[102:103], v[112:113], v[21:22]
	v_fma_f64 v[23:24], v[108:109], v[112:113], v[23:24]
	v_fma_f64 v[30:31], v[110:111], v[112:113], v[30:31]
	v_fma_f64 v[13:14], -v[86:87], v[114:115], v[13:14]
	v_fma_f64 v[11:12], v[84:85], v[114:115], v[11:12]
	v_fma_f64 v[15:16], -v[94:95], v[114:115], v[15:16]
	v_fma_f64 v[17:18], v[92:93], v[114:115], v[17:18]
	v_fma_f64 v[19:20], -v[102:103], v[114:115], v[19:20]
	v_fma_f64 v[21:22], v[100:101], v[114:115], v[21:22]
	v_fma_f64 v[23:24], -v[110:111], v[114:115], v[23:24]
	v_fma_f64 v[30:31], v[108:109], v[114:115], v[30:31]
	s_wait_loadcnt 0x0
	v_fma_f64 v[13:14], v[80:81], v[116:117], v[13:14]
	v_fma_f64 v[11:12], v[82:83], v[116:117], v[11:12]
	v_fma_f64 v[15:16], v[88:89], v[116:117], v[15:16]
	v_fma_f64 v[17:18], v[90:91], v[116:117], v[17:18]
	v_fma_f64 v[19:20], v[96:97], v[116:117], v[19:20]
	v_fma_f64 v[21:22], v[98:99], v[116:117], v[21:22]
	v_fma_f64 v[23:24], v[104:105], v[116:117], v[23:24]
	v_fma_f64 v[30:31], v[106:107], v[116:117], v[30:31]
	v_fma_f64 v[38:39], -v[82:83], v[118:119], v[13:14]
	v_fma_f64 v[34:35], v[80:81], v[118:119], v[11:12]
	v_fma_f64 v[44:45], -v[90:91], v[118:119], v[15:16]
	v_fma_f64 v[36:37], v[88:89], v[118:119], v[17:18]
	v_fma_f64 v[40:41], -v[98:99], v[118:119], v[19:20]
	v_fma_f64 v[42:43], v[96:97], v[118:119], v[21:22]
	v_fma_f64 v[32:33], -v[106:107], v[118:119], v[23:24]
	v_fma_f64 v[30:31], v[104:105], v[118:119], v[30:31]
	s_wait_alu 0xfffe
	s_and_not1_b32 exec_lo, exec_lo, s7
	s_cbranch_execnz .LBB15_15
; %bb.16:
	s_or_b32 exec_lo, exec_lo, s7
.LBB15_17:
	s_wait_alu 0xfffe
	s_or_b32 exec_lo, exec_lo, s3
	s_delay_alu instid0(SALU_CYCLE_1)
	s_mov_b32 s7, exec_lo
	v_cmpx_lt_u32_e32 11, v9
	s_cbranch_execz .LBB15_21
; %bb.18:
	s_mov_b32 s10, 0
.LBB15_19:                              ; =>This Inner Loop Header: Depth=1
	v_ashrrev_i32_e32 v47, 31, v46
	s_delay_alu instid0(VALU_DEP_1) | instskip(SKIP_1) | instid1(VALU_DEP_2)
	v_lshlrev_b64_e32 v[9:10], 2, v[46:47]
	v_add_nc_u32_e32 v46, 16, v46
	v_add_co_u32 v52, vcc_lo, s8, v9
	s_wait_alu 0xfffd
	s_delay_alu instid0(VALU_DEP_3)
	v_add_co_ci_u32_e64 v53, null, s9, v10, vcc_lo
	global_load_b32 v27, v[52:53], off
	s_clause 0x3
	global_load_b128 v[21:24], v[48:49], off
	global_load_b128 v[17:20], v[48:49], off offset:64
	global_load_b128 v[13:16], v[48:49], off offset:128
	;; [unrolled: 1-line block ×3, first 2 shown]
	s_clause 0x2
	global_load_b32 v47, v[52:53], off offset:16
	global_load_b32 v150, v[52:53], off offset:32
	;; [unrolled: 1-line block ×3, first 2 shown]
	s_wait_loadcnt 0x7
	v_subrev_nc_u32_e32 v27, s12, v27
	s_delay_alu instid0(VALU_DEP_1) | instskip(SKIP_2) | instid1(VALU_DEP_2)
	v_lshlrev_b32_e32 v52, 2, v27
	s_wait_loadcnt 0x2
	v_subrev_nc_u32_e32 v27, s12, v47
	v_ashrrev_i32_e32 v53, 31, v52
	s_delay_alu instid0(VALU_DEP_2) | instskip(SKIP_2) | instid1(VALU_DEP_3)
	v_lshlrev_b32_e32 v132, 2, v27
	s_wait_loadcnt 0x1
	v_subrev_nc_u32_e32 v27, s12, v150
	v_lshlrev_b64_e32 v[52:53], 4, v[52:53]
	s_delay_alu instid0(VALU_DEP_3) | instskip(NEXT) | instid1(VALU_DEP_3)
	v_ashrrev_i32_e32 v133, 31, v132
	v_lshlrev_b32_e32 v150, 2, v27
	s_wait_loadcnt 0x0
	v_subrev_nc_u32_e32 v27, s12, v152
	s_delay_alu instid0(VALU_DEP_3)
	v_lshlrev_b64_e32 v[132:133], 4, v[132:133]
	s_wait_kmcnt 0x0
	v_add_co_u32 v112, vcc_lo, s4, v52
	s_wait_alu 0xfffd
	v_add_co_ci_u32_e64 v113, null, s5, v53, vcc_lo
	v_ashrrev_i32_e32 v151, 31, v150
	v_add_co_u32 v136, vcc_lo, s4, v132
	global_load_b128 v[52:55], v[112:113], off
	s_clause 0x3
	global_load_b128 v[56:59], v[48:49], off offset:16
	global_load_b128 v[60:63], v[48:49], off offset:80
	global_load_b128 v[64:67], v[48:49], off offset:144
	global_load_b128 v[68:71], v[48:49], off offset:208
	global_load_b128 v[72:75], v[112:113], off offset:16
	s_clause 0x3
	global_load_b128 v[76:79], v[48:49], off offset:32
	global_load_b128 v[80:83], v[48:49], off offset:96
	global_load_b128 v[84:87], v[48:49], off offset:160
	global_load_b128 v[88:91], v[48:49], off offset:224
	global_load_b128 v[92:95], v[112:113], off offset:32
	;; [unrolled: 6-line block ×3, first 2 shown]
	s_clause 0x3
	global_load_b128 v[116:119], v[48:49], off offset:1024
	global_load_b128 v[120:123], v[48:49], off offset:1088
	;; [unrolled: 1-line block ×4, first 2 shown]
	s_wait_alu 0xfffd
	v_add_co_ci_u32_e64 v137, null, s5, v133, vcc_lo
	global_load_b128 v[132:135], v[136:137], off
	s_wait_loadcnt 0x14
	v_fma_f64 v[38:39], v[21:22], v[52:53], v[38:39]
	v_fma_f64 v[34:35], v[23:24], v[52:53], v[34:35]
	v_fma_f64 v[44:45], v[17:18], v[52:53], v[44:45]
	v_fma_f64 v[36:37], v[19:20], v[52:53], v[36:37]
	v_fma_f64 v[40:41], v[13:14], v[52:53], v[40:41]
	v_fma_f64 v[42:43], v[15:16], v[52:53], v[42:43]
	v_fma_f64 v[32:33], v[9:10], v[52:53], v[32:33]
	v_fma_f64 v[30:31], v[11:12], v[52:53], v[30:31]
	v_fma_f64 v[38:39], -v[23:24], v[54:55], v[38:39]
	v_fma_f64 v[34:35], v[21:22], v[54:55], v[34:35]
	v_fma_f64 v[44:45], -v[19:20], v[54:55], v[44:45]
	v_fma_f64 v[36:37], v[17:18], v[54:55], v[36:37]
	v_fma_f64 v[40:41], -v[15:16], v[54:55], v[40:41]
	v_fma_f64 v[42:43], v[13:14], v[54:55], v[42:43]
	v_fma_f64 v[52:53], -v[11:12], v[54:55], v[32:33]
	v_fma_f64 v[54:55], v[9:10], v[54:55], v[30:31]
	s_clause 0x3
	global_load_b128 v[9:12], v[48:49], off offset:1040
	global_load_b128 v[13:16], v[48:49], off offset:1104
	global_load_b128 v[17:20], v[48:49], off offset:1168
	global_load_b128 v[21:24], v[48:49], off offset:1232
	global_load_b128 v[30:33], v[136:137], off offset:16
	s_wait_loadcnt 0x14
	v_fma_f64 v[38:39], v[56:57], v[72:73], v[38:39]
	v_fma_f64 v[34:35], v[58:59], v[72:73], v[34:35]
	v_fma_f64 v[44:45], v[60:61], v[72:73], v[44:45]
	v_fma_f64 v[36:37], v[62:63], v[72:73], v[36:37]
	v_fma_f64 v[40:41], v[64:65], v[72:73], v[40:41]
	v_fma_f64 v[42:43], v[66:67], v[72:73], v[42:43]
	v_fma_f64 v[52:53], v[68:69], v[72:73], v[52:53]
	v_fma_f64 v[54:55], v[70:71], v[72:73], v[54:55]
	v_fma_f64 v[72:73], -v[58:59], v[74:75], v[38:39]
	v_fma_f64 v[138:139], v[56:57], v[74:75], v[34:35]
	v_fma_f64 v[62:63], -v[62:63], v[74:75], v[44:45]
	v_fma_f64 v[60:61], v[60:61], v[74:75], v[36:37]
	v_fma_f64 v[66:67], -v[66:67], v[74:75], v[40:41]
	v_fma_f64 v[64:65], v[64:65], v[74:75], v[42:43]
	v_fma_f64 v[70:71], -v[70:71], v[74:75], v[52:53]
	v_fma_f64 v[68:69], v[68:69], v[74:75], v[54:55]
	s_clause 0x3
	global_load_b128 v[34:37], v[48:49], off offset:1056
	global_load_b128 v[38:41], v[48:49], off offset:1120
	global_load_b128 v[42:45], v[48:49], off offset:1184
	global_load_b128 v[52:55], v[48:49], off offset:1248
	global_load_b128 v[56:59], v[136:137], off offset:32
	;; [unrolled: 23-line block ×3, first 2 shown]
	s_wait_loadcnt 0x14
	v_fma_f64 v[136:137], v[96:97], v[112:113], v[92:93]
	v_fma_f64 v[138:139], v[98:99], v[112:113], v[138:139]
	;; [unrolled: 1-line block ×8, first 2 shown]
	s_clause 0x3
	global_load_b128 v[80:83], v[48:49], off offset:2048
	global_load_b128 v[84:87], v[48:49], off offset:2112
	;; [unrolled: 1-line block ×4, first 2 shown]
	v_fma_f64 v[136:137], -v[98:99], v[114:115], v[136:137]
	v_fma_f64 v[138:139], v[96:97], v[114:115], v[138:139]
	v_fma_f64 v[102:103], -v[102:103], v[114:115], v[140:141]
	v_fma_f64 v[100:101], v[100:101], v[114:115], v[142:143]
	;; [unrolled: 2-line block ×4, first 2 shown]
	v_lshlrev_b64_e32 v[96:97], 4, v[150:151]
	v_lshlrev_b32_e32 v150, 2, v27
	s_delay_alu instid0(VALU_DEP_2) | instskip(SKIP_1) | instid1(VALU_DEP_3)
	v_add_co_u32 v140, vcc_lo, s4, v96
	s_wait_alu 0xfffd
	v_add_co_ci_u32_e64 v141, null, s5, v97, vcc_lo
	s_delay_alu instid0(VALU_DEP_3)
	v_ashrrev_i32_e32 v151, 31, v150
	global_load_b128 v[96:99], v[140:141], off
	s_wait_loadcnt 0x14
	v_fma_f64 v[112:113], v[116:117], v[132:133], v[136:137]
	v_fma_f64 v[114:115], v[118:119], v[132:133], v[138:139]
	v_fma_f64 v[102:103], v[120:121], v[132:133], v[102:103]
	v_fma_f64 v[100:101], v[122:123], v[132:133], v[100:101]
	v_fma_f64 v[106:107], v[124:125], v[132:133], v[106:107]
	v_fma_f64 v[104:105], v[126:127], v[132:133], v[104:105]
	v_fma_f64 v[110:111], v[128:129], v[132:133], v[110:111]
	v_fma_f64 v[108:109], v[130:131], v[132:133], v[108:109]
	v_fma_f64 v[132:133], -v[118:119], v[134:135], v[112:113]
	v_fma_f64 v[136:137], v[116:117], v[134:135], v[114:115]
	v_fma_f64 v[122:123], -v[122:123], v[134:135], v[102:103]
	v_fma_f64 v[120:121], v[120:121], v[134:135], v[100:101]
	v_fma_f64 v[126:127], -v[126:127], v[134:135], v[106:107]
	v_fma_f64 v[124:125], v[124:125], v[134:135], v[104:105]
	v_fma_f64 v[130:131], -v[130:131], v[134:135], v[110:111]
	v_fma_f64 v[128:129], v[128:129], v[134:135], v[108:109]
	s_clause 0x3
	global_load_b128 v[100:103], v[48:49], off offset:2064
	global_load_b128 v[104:107], v[48:49], off offset:2128
	global_load_b128 v[108:111], v[48:49], off offset:2192
	global_load_b128 v[112:115], v[48:49], off offset:2256
	global_load_b128 v[116:119], v[140:141], off offset:16
	s_wait_loadcnt 0x14
	v_fma_f64 v[132:133], v[9:10], v[30:31], v[132:133]
	v_fma_f64 v[134:135], v[11:12], v[30:31], v[136:137]
	v_fma_f64 v[122:123], v[13:14], v[30:31], v[122:123]
	v_fma_f64 v[120:121], v[15:16], v[30:31], v[120:121]
	v_fma_f64 v[126:127], v[17:18], v[30:31], v[126:127]
	v_fma_f64 v[124:125], v[19:20], v[30:31], v[124:125]
	v_fma_f64 v[130:131], v[21:22], v[30:31], v[130:131]
	v_fma_f64 v[30:31], v[23:24], v[30:31], v[128:129]
	v_fma_f64 v[128:129], -v[11:12], v[32:33], v[132:133]
	v_fma_f64 v[132:133], v[9:10], v[32:33], v[134:135]
	v_fma_f64 v[122:123], -v[15:16], v[32:33], v[122:123]
	v_fma_f64 v[120:121], v[13:14], v[32:33], v[120:121]
	v_fma_f64 v[126:127], -v[19:20], v[32:33], v[126:127]
	v_fma_f64 v[124:125], v[17:18], v[32:33], v[124:125]
	v_fma_f64 v[130:131], -v[23:24], v[32:33], v[130:131]
	v_fma_f64 v[134:135], v[21:22], v[32:33], v[30:31]
	s_clause 0x3
	global_load_b128 v[9:12], v[48:49], off offset:2080
	global_load_b128 v[13:16], v[48:49], off offset:2144
	global_load_b128 v[17:20], v[48:49], off offset:2208
	global_load_b128 v[21:24], v[48:49], off offset:2272
	global_load_b128 v[30:33], v[140:141], off offset:32
	;; [unrolled: 23-line block ×3, first 2 shown]
	s_wait_loadcnt 0x14
	v_fma_f64 v[136:137], v[60:61], v[76:77], v[128:129]
	v_fma_f64 v[138:139], v[62:63], v[76:77], v[132:133]
	;; [unrolled: 1-line block ×8, first 2 shown]
	s_clause 0x3
	global_load_b128 v[120:123], v[48:49], off offset:3072
	global_load_b128 v[124:127], v[48:49], off offset:3136
	;; [unrolled: 1-line block ×4, first 2 shown]
	v_fma_f64 v[136:137], -v[62:63], v[78:79], v[136:137]
	v_fma_f64 v[138:139], v[60:61], v[78:79], v[138:139]
	v_fma_f64 v[66:67], -v[66:67], v[78:79], v[140:141]
	v_fma_f64 v[64:65], v[64:65], v[78:79], v[142:143]
	;; [unrolled: 2-line block ×4, first 2 shown]
	v_lshlrev_b64_e32 v[60:61], 4, v[150:151]
	s_delay_alu instid0(VALU_DEP_1) | instskip(SKIP_1) | instid1(VALU_DEP_2)
	v_add_co_u32 v140, vcc_lo, s4, v60
	s_wait_alu 0xfffd
	v_add_co_ci_u32_e64 v141, null, s5, v61, vcc_lo
	v_cmp_ge_i32_e32 vcc_lo, v46, v50
	global_load_b128 v[60:63], v[140:141], off
	s_wait_alu 0xfffe
	s_or_b32 s10, vcc_lo, s10
	s_wait_loadcnt 0x14
	v_fma_f64 v[76:77], v[80:81], v[96:97], v[136:137]
	v_fma_f64 v[78:79], v[82:83], v[96:97], v[138:139]
	v_fma_f64 v[66:67], v[84:85], v[96:97], v[66:67]
	v_fma_f64 v[64:65], v[86:87], v[96:97], v[64:65]
	v_fma_f64 v[70:71], v[88:89], v[96:97], v[70:71]
	v_fma_f64 v[68:69], v[90:91], v[96:97], v[68:69]
	v_fma_f64 v[74:75], v[92:93], v[96:97], v[74:75]
	v_fma_f64 v[72:73], v[94:95], v[96:97], v[72:73]
	v_fma_f64 v[96:97], -v[82:83], v[98:99], v[76:77]
	v_fma_f64 v[136:137], v[80:81], v[98:99], v[78:79]
	v_fma_f64 v[86:87], -v[86:87], v[98:99], v[66:67]
	v_fma_f64 v[84:85], v[84:85], v[98:99], v[64:65]
	v_fma_f64 v[90:91], -v[90:91], v[98:99], v[70:71]
	v_fma_f64 v[88:89], v[88:89], v[98:99], v[68:69]
	v_fma_f64 v[94:95], -v[94:95], v[98:99], v[74:75]
	v_fma_f64 v[92:93], v[92:93], v[98:99], v[72:73]
	s_clause 0x3
	global_load_b128 v[64:67], v[48:49], off offset:3088
	global_load_b128 v[68:71], v[48:49], off offset:3152
	global_load_b128 v[72:75], v[48:49], off offset:3216
	global_load_b128 v[76:79], v[48:49], off offset:3280
	global_load_b128 v[80:83], v[140:141], off offset:16
	s_wait_loadcnt 0x14
	v_fma_f64 v[96:97], v[100:101], v[116:117], v[96:97]
	v_fma_f64 v[98:99], v[102:103], v[116:117], v[136:137]
	v_fma_f64 v[86:87], v[104:105], v[116:117], v[86:87]
	v_fma_f64 v[84:85], v[106:107], v[116:117], v[84:85]
	v_fma_f64 v[90:91], v[108:109], v[116:117], v[90:91]
	v_fma_f64 v[88:89], v[110:111], v[116:117], v[88:89]
	v_fma_f64 v[94:95], v[112:113], v[116:117], v[94:95]
	v_fma_f64 v[92:93], v[114:115], v[116:117], v[92:93]
	v_fma_f64 v[116:117], -v[102:103], v[118:119], v[96:97]
	v_fma_f64 v[136:137], v[100:101], v[118:119], v[98:99]
	v_fma_f64 v[106:107], -v[106:107], v[118:119], v[86:87]
	v_fma_f64 v[104:105], v[104:105], v[118:119], v[84:85]
	v_fma_f64 v[110:111], -v[110:111], v[118:119], v[90:91]
	v_fma_f64 v[108:109], v[108:109], v[118:119], v[88:89]
	v_fma_f64 v[114:115], -v[114:115], v[118:119], v[94:95]
	v_fma_f64 v[112:113], v[112:113], v[118:119], v[92:93]
	s_clause 0x3
	global_load_b128 v[84:87], v[48:49], off offset:3104
	global_load_b128 v[88:91], v[48:49], off offset:3168
	global_load_b128 v[92:95], v[48:49], off offset:3232
	global_load_b128 v[96:99], v[48:49], off offset:3296
	global_load_b128 v[100:103], v[140:141], off offset:32
	;; [unrolled: 23-line block ×3, first 2 shown]
	v_add_co_u32 v48, s3, 0x1000, v48
	s_wait_alu 0xf1ff
	v_add_co_ci_u32_e64 v49, null, 0, v49, s3
	s_wait_loadcnt 0x14
	v_fma_f64 v[32:33], v[34:35], v[56:57], v[112:113]
	v_fma_f64 v[112:113], v[36:37], v[56:57], v[116:117]
	v_fma_f64 v[116:117], v[38:39], v[56:57], v[118:119]
	v_fma_f64 v[118:119], v[40:41], v[56:57], v[136:137]
	v_fma_f64 v[110:111], v[42:43], v[56:57], v[110:111]
	v_fma_f64 v[108:109], v[44:45], v[56:57], v[108:109]
	v_fma_f64 v[114:115], v[52:53], v[56:57], v[114:115]
	v_fma_f64 v[30:31], v[54:55], v[56:57], v[30:31]
	v_fma_f64 v[32:33], -v[36:37], v[58:59], v[32:33]
	v_fma_f64 v[34:35], v[34:35], v[58:59], v[112:113]
	v_fma_f64 v[36:37], -v[40:41], v[58:59], v[116:117]
	v_fma_f64 v[38:39], v[38:39], v[58:59], v[118:119]
	v_fma_f64 v[40:41], -v[44:45], v[58:59], v[110:111]
	v_fma_f64 v[42:43], v[42:43], v[58:59], v[108:109]
	v_fma_f64 v[44:45], -v[54:55], v[58:59], v[114:115]
	v_fma_f64 v[30:31], v[52:53], v[58:59], v[30:31]
	s_wait_loadcnt 0xf
	v_fma_f64 v[32:33], v[120:121], v[60:61], v[32:33]
	v_fma_f64 v[34:35], v[122:123], v[60:61], v[34:35]
	v_fma_f64 v[36:37], v[124:125], v[60:61], v[36:37]
	v_fma_f64 v[38:39], v[126:127], v[60:61], v[38:39]
	v_fma_f64 v[40:41], v[128:129], v[60:61], v[40:41]
	v_fma_f64 v[42:43], v[130:131], v[60:61], v[42:43]
	v_fma_f64 v[44:45], v[132:133], v[60:61], v[44:45]
	v_fma_f64 v[30:31], v[134:135], v[60:61], v[30:31]
	v_fma_f64 v[32:33], -v[122:123], v[62:63], v[32:33]
	v_fma_f64 v[34:35], v[120:121], v[62:63], v[34:35]
	v_fma_f64 v[36:37], -v[126:127], v[62:63], v[36:37]
	v_fma_f64 v[38:39], v[124:125], v[62:63], v[38:39]
	v_fma_f64 v[40:41], -v[130:131], v[62:63], v[40:41]
	v_fma_f64 v[42:43], v[128:129], v[62:63], v[42:43]
	v_fma_f64 v[44:45], -v[134:135], v[62:63], v[44:45]
	v_fma_f64 v[30:31], v[132:133], v[62:63], v[30:31]
	;; [unrolled: 17-line block ×5, first 2 shown]
	s_wait_alu 0xfffe
	s_and_not1_b32 exec_lo, exec_lo, s10
	s_cbranch_execnz .LBB15_19
; %bb.20:
	s_or_b32 exec_lo, exec_lo, s10
.LBB15_21:
	s_wait_alu 0xfffe
	s_or_b32 exec_lo, exec_lo, s7
.LBB15_22:
	s_wait_alu 0xfffe
	s_or_b32 exec_lo, exec_lo, s6
	s_cbranch_execz .LBB15_24
	s_branch .LBB15_35
.LBB15_23:
                                        ; implicit-def: $vgpr34_vgpr35
                                        ; implicit-def: $vgpr38_vgpr39
                                        ; implicit-def: $vgpr32_vgpr33
                                        ; implicit-def: $vgpr30_vgpr31
                                        ; implicit-def: $vgpr40_vgpr41
                                        ; implicit-def: $vgpr42_vgpr43
                                        ; implicit-def: $vgpr44_vgpr45
                                        ; implicit-def: $vgpr36_vgpr37
.LBB15_24:
	v_mov_b32_e32 v34, 0
	v_mov_b32_e32 v32, 0
	;; [unrolled: 1-line block ×3, first 2 shown]
	v_dual_mov_b32 v44, 0 :: v_dual_mov_b32 v35, 0
	v_dual_mov_b32 v38, 0 :: v_dual_mov_b32 v33, 0
	;; [unrolled: 1-line block ×5, first 2 shown]
	v_mov_b32_e32 v31, 0
	v_mov_b32_e32 v43, 0
	;; [unrolled: 1-line block ×3, first 2 shown]
	s_and_saveexec_b32 s3, s2
	s_cbranch_execz .LBB15_34
; %bb.25:
	v_dual_mov_b32 v36, 0 :: v_dual_add_nc_u32 v9, v51, v0
	v_not_b32_e32 v10, v51
	v_dual_mov_b32 v37, 0 :: v_dual_mov_b32 v42, 0
	s_delay_alu instid0(VALU_DEP_3) | instskip(SKIP_2) | instid1(VALU_DEP_3)
	v_subrev_nc_u32_e32 v9, s12, v9
	v_dual_mov_b32 v43, 0 :: v_dual_mov_b32 v40, 0
	v_dual_mov_b32 v41, 0 :: v_dual_mov_b32 v30, 0
	v_dual_mov_b32 v44, 0 :: v_dual_add_nc_u32 v9, 4, v9
	v_dual_mov_b32 v31, 0 :: v_dual_mov_b32 v32, 0
	v_dual_mov_b32 v33, 0 :: v_dual_mov_b32 v38, 0
	s_delay_alu instid0(VALU_DEP_3) | instskip(SKIP_3) | instid1(VALU_DEP_3)
	v_max_i32_e32 v9, v9, v50
	v_dual_mov_b32 v39, 0 :: v_dual_mov_b32 v34, 0
	v_mov_b32_e32 v35, 0
	s_mov_b32 s2, exec_lo
	v_add3_u32 v9, s12, v9, v10
	s_delay_alu instid0(VALU_DEP_1) | instskip(NEXT) | instid1(VALU_DEP_1)
	v_sub_nc_u32_e32 v9, v9, v0
	v_dual_mov_b32 v45, 0 :: v_dual_and_b32 v10, 12, v9
	s_delay_alu instid0(VALU_DEP_1)
	v_cmpx_ne_u32_e32 12, v10
	s_cbranch_execz .LBB15_29
; %bb.26:
	v_lshrrev_b32_e32 v10, 2, v9
	v_mov_b32_e32 v34, 0
	v_mov_b32_e32 v38, 0
	;; [unrolled: 1-line block ×4, first 2 shown]
	v_dual_mov_b32 v35, 0 :: v_dual_add_nc_u32 v10, 1, v10
	v_mov_b32_e32 v40, 0
	v_mov_b32_e32 v42, 0
	;; [unrolled: 1-line block ×3, first 2 shown]
	s_delay_alu instid0(VALU_DEP_4)
	v_dual_mov_b32 v41, 0 :: v_dual_and_b32 v10, 3, v10
	v_dual_mov_b32 v36, 0 :: v_dual_mov_b32 v39, 0
	v_mov_b32_e32 v33, 0
	v_mov_b32_e32 v31, 0
	v_mov_b32_e32 v43, 0
	v_mov_b32_e32 v45, 0
	v_mov_b32_e32 v37, 0
	v_sub_nc_u32_e32 v10, 0, v10
	s_mov_b32 s6, 0
.LBB15_27:                              ; =>This Inner Loop Header: Depth=1
	v_ashrrev_i32_e32 v27, 31, v26
	s_delay_alu instid0(VALU_DEP_2) | instskip(SKIP_2) | instid1(VALU_DEP_2)
	v_add_co_u32 v10, s7, v10, 1
	s_wait_alu 0xfffe
	s_or_b32 s6, s7, s6
	v_lshlrev_b64_e32 v[11:12], 2, v[26:27]
	v_add_nc_u32_e32 v26, 4, v26
	s_delay_alu instid0(VALU_DEP_2) | instskip(SKIP_1) | instid1(VALU_DEP_3)
	v_add_co_u32 v11, vcc_lo, s8, v11
	s_wait_alu 0xfffd
	v_add_co_ci_u32_e64 v12, null, s9, v12, vcc_lo
	global_load_b32 v23, v[11:12], off
	s_clause 0x3
	global_load_b128 v[11:14], v[28:29], off offset:48
	global_load_b128 v[15:18], v[28:29], off offset:32
	;; [unrolled: 1-line block ×3, first 2 shown]
	global_load_b128 v[46:49], v[28:29], off
	s_wait_loadcnt 0x4
	v_subrev_nc_u32_e32 v23, s12, v23
	s_delay_alu instid0(VALU_DEP_1) | instskip(NEXT) | instid1(VALU_DEP_1)
	v_lshlrev_b32_e32 v23, 2, v23
	v_ashrrev_i32_e32 v24, 31, v23
	s_delay_alu instid0(VALU_DEP_1) | instskip(SKIP_1) | instid1(VALU_DEP_1)
	v_lshlrev_b64_e32 v[23:24], 4, v[23:24]
	s_wait_kmcnt 0x0
	v_add_co_u32 v23, vcc_lo, s4, v23
	s_wait_alu 0xfffd
	s_delay_alu instid0(VALU_DEP_2)
	v_add_co_ci_u32_e64 v24, null, s5, v24, vcc_lo
	s_clause 0x1
	global_load_b128 v[51:54], v[23:24], off
	global_load_b128 v[55:58], v[23:24], off offset:16
	s_clause 0x7
	global_load_b128 v[59:62], v[28:29], off offset:64
	global_load_b128 v[63:66], v[28:29], off offset:80
	;; [unrolled: 1-line block ×8, first 2 shown]
	s_clause 0x1
	global_load_b128 v[91:94], v[23:24], off offset:32
	global_load_b128 v[95:98], v[23:24], off offset:48
	s_clause 0x3
	global_load_b128 v[99:102], v[28:29], off offset:192
	global_load_b128 v[103:106], v[28:29], off offset:208
	;; [unrolled: 1-line block ×4, first 2 shown]
	v_add_co_u32 v28, vcc_lo, 0x400, v28
	s_wait_alu 0xfffd
	v_add_co_ci_u32_e64 v29, null, 0, v29, vcc_lo
	s_wait_loadcnt 0xf
	v_fma_f64 v[23:24], v[46:47], v[51:52], v[38:39]
	v_fma_f64 v[34:35], v[48:49], v[51:52], v[34:35]
	;; [unrolled: 1-line block ×8, first 2 shown]
	v_fma_f64 v[23:24], -v[48:49], v[53:54], v[23:24]
	v_fma_f64 v[34:35], v[46:47], v[53:54], v[34:35]
	v_fma_f64 v[21:22], -v[21:22], v[53:54], v[38:39]
	v_fma_f64 v[19:20], v[19:20], v[53:54], v[36:37]
	;; [unrolled: 2-line block ×4, first 2 shown]
	s_wait_loadcnt 0xd
	v_fma_f64 v[23:24], v[59:60], v[55:56], v[23:24]
	v_fma_f64 v[30:31], v[61:62], v[55:56], v[34:35]
	s_wait_loadcnt 0xc
	v_fma_f64 v[21:22], v[63:64], v[55:56], v[21:22]
	v_fma_f64 v[19:20], v[65:66], v[55:56], v[19:20]
	;; [unrolled: 3-line block ×4, first 2 shown]
	v_fma_f64 v[23:24], -v[61:62], v[57:58], v[23:24]
	v_fma_f64 v[30:31], v[59:60], v[57:58], v[30:31]
	v_fma_f64 v[21:22], -v[65:66], v[57:58], v[21:22]
	v_fma_f64 v[19:20], v[63:64], v[57:58], v[19:20]
	;; [unrolled: 2-line block ×4, first 2 shown]
	s_wait_loadcnt 0x5
	v_fma_f64 v[23:24], v[87:88], v[91:92], v[23:24]
	v_fma_f64 v[30:31], v[89:90], v[91:92], v[30:31]
	;; [unrolled: 1-line block ×8, first 2 shown]
	v_fma_f64 v[23:24], -v[89:90], v[93:94], v[23:24]
	v_fma_f64 v[30:31], v[87:88], v[93:94], v[30:31]
	v_fma_f64 v[21:22], -v[85:86], v[93:94], v[21:22]
	v_fma_f64 v[19:20], v[83:84], v[93:94], v[19:20]
	;; [unrolled: 2-line block ×4, first 2 shown]
	s_wait_loadcnt 0x3
	v_fma_f64 v[23:24], v[99:100], v[95:96], v[23:24]
	v_fma_f64 v[30:31], v[101:102], v[95:96], v[30:31]
	s_wait_loadcnt 0x2
	v_fma_f64 v[21:22], v[103:104], v[95:96], v[21:22]
	v_fma_f64 v[19:20], v[105:106], v[95:96], v[19:20]
	;; [unrolled: 3-line block ×4, first 2 shown]
	v_fma_f64 v[38:39], -v[101:102], v[97:98], v[23:24]
	v_fma_f64 v[34:35], v[99:100], v[97:98], v[30:31]
	v_fma_f64 v[44:45], -v[105:106], v[97:98], v[21:22]
	v_fma_f64 v[36:37], v[103:104], v[97:98], v[19:20]
	v_fma_f64 v[40:41], -v[109:110], v[97:98], v[17:18]
	v_fma_f64 v[42:43], v[107:108], v[97:98], v[15:16]
	v_fma_f64 v[32:33], -v[113:114], v[97:98], v[13:14]
	v_fma_f64 v[30:31], v[111:112], v[97:98], v[11:12]
	s_wait_alu 0xfffe
	s_and_not1_b32 exec_lo, exec_lo, s6
	s_cbranch_execnz .LBB15_27
; %bb.28:
	s_or_b32 exec_lo, exec_lo, s6
.LBB15_29:
	s_wait_alu 0xfffe
	s_or_b32 exec_lo, exec_lo, s2
	s_delay_alu instid0(SALU_CYCLE_1)
	s_mov_b32 s6, exec_lo
	v_cmpx_lt_u32_e32 11, v9
	s_cbranch_execz .LBB15_33
; %bb.30:
	s_mov_b32 s7, 0
.LBB15_31:                              ; =>This Inner Loop Header: Depth=1
	v_ashrrev_i32_e32 v27, 31, v26
	s_delay_alu instid0(VALU_DEP_1) | instskip(SKIP_1) | instid1(VALU_DEP_2)
	v_lshlrev_b64_e32 v[9:10], 2, v[26:27]
	v_add_nc_u32_e32 v26, 16, v26
	v_add_co_u32 v46, vcc_lo, s8, v9
	s_wait_alu 0xfffd
	s_delay_alu instid0(VALU_DEP_3)
	v_add_co_ci_u32_e64 v47, null, s9, v10, vcc_lo
	global_load_b32 v27, v[46:47], off
	s_clause 0x3
	global_load_b128 v[9:12], v[28:29], off offset:48
	global_load_b128 v[13:16], v[28:29], off offset:32
	;; [unrolled: 1-line block ×3, first 2 shown]
	global_load_b128 v[21:24], v[28:29], off
	s_clause 0x2
	global_load_b32 v127, v[46:47], off offset:16
	global_load_b32 v145, v[46:47], off offset:32
	;; [unrolled: 1-line block ×3, first 2 shown]
	s_wait_loadcnt 0x7
	v_subrev_nc_u32_e32 v27, s12, v27
	s_delay_alu instid0(VALU_DEP_1) | instskip(SKIP_2) | instid1(VALU_DEP_2)
	v_lshlrev_b32_e32 v46, 2, v27
	s_wait_loadcnt 0x2
	v_subrev_nc_u32_e32 v27, s12, v127
	v_ashrrev_i32_e32 v47, 31, v46
	s_delay_alu instid0(VALU_DEP_2) | instskip(SKIP_2) | instid1(VALU_DEP_3)
	v_lshlrev_b32_e32 v127, 2, v27
	s_wait_loadcnt 0x1
	v_subrev_nc_u32_e32 v27, s12, v145
	v_lshlrev_b64_e32 v[46:47], 4, v[46:47]
	s_delay_alu instid0(VALU_DEP_3) | instskip(NEXT) | instid1(VALU_DEP_3)
	v_ashrrev_i32_e32 v128, 31, v127
	v_lshlrev_b32_e32 v145, 2, v27
	s_wait_loadcnt 0x0
	v_subrev_nc_u32_e32 v27, s12, v147
	s_delay_alu instid0(VALU_DEP_3)
	v_lshlrev_b64_e32 v[127:128], 4, v[127:128]
	s_wait_kmcnt 0x0
	v_add_co_u32 v107, vcc_lo, s4, v46
	s_wait_alu 0xfffd
	v_add_co_ci_u32_e64 v108, null, s5, v47, vcc_lo
	v_ashrrev_i32_e32 v146, 31, v145
	v_add_co_u32 v131, vcc_lo, s4, v127
	global_load_b128 v[46:49], v[107:108], off
	s_clause 0x3
	global_load_b128 v[51:54], v[28:29], off offset:112
	global_load_b128 v[55:58], v[28:29], off offset:96
	global_load_b128 v[59:62], v[28:29], off offset:80
	global_load_b128 v[63:66], v[28:29], off offset:64
	global_load_b128 v[67:70], v[107:108], off offset:16
	s_clause 0x3
	global_load_b128 v[71:74], v[28:29], off offset:176
	global_load_b128 v[75:78], v[28:29], off offset:160
	global_load_b128 v[79:82], v[28:29], off offset:144
	global_load_b128 v[83:86], v[28:29], off offset:128
	global_load_b128 v[87:90], v[107:108], off offset:32
	;; [unrolled: 6-line block ×3, first 2 shown]
	s_clause 0x3
	global_load_b128 v[111:114], v[28:29], off offset:1072
	global_load_b128 v[115:118], v[28:29], off offset:1056
	;; [unrolled: 1-line block ×4, first 2 shown]
	s_wait_alu 0xfffd
	v_add_co_ci_u32_e64 v132, null, s5, v128, vcc_lo
	global_load_b128 v[127:130], v[131:132], off
	s_wait_loadcnt 0x14
	v_fma_f64 v[38:39], v[21:22], v[46:47], v[38:39]
	v_fma_f64 v[34:35], v[23:24], v[46:47], v[34:35]
	v_fma_f64 v[44:45], v[17:18], v[46:47], v[44:45]
	v_fma_f64 v[36:37], v[19:20], v[46:47], v[36:37]
	v_fma_f64 v[40:41], v[13:14], v[46:47], v[40:41]
	v_fma_f64 v[42:43], v[15:16], v[46:47], v[42:43]
	v_fma_f64 v[32:33], v[9:10], v[46:47], v[32:33]
	v_fma_f64 v[30:31], v[11:12], v[46:47], v[30:31]
	v_fma_f64 v[38:39], -v[23:24], v[48:49], v[38:39]
	v_fma_f64 v[34:35], v[21:22], v[48:49], v[34:35]
	v_fma_f64 v[44:45], -v[19:20], v[48:49], v[44:45]
	v_fma_f64 v[36:37], v[17:18], v[48:49], v[36:37]
	v_fma_f64 v[40:41], -v[15:16], v[48:49], v[40:41]
	v_fma_f64 v[42:43], v[13:14], v[48:49], v[42:43]
	v_fma_f64 v[46:47], -v[11:12], v[48:49], v[32:33]
	v_fma_f64 v[48:49], v[9:10], v[48:49], v[30:31]
	s_clause 0x3
	global_load_b128 v[9:12], v[28:29], off offset:1136
	global_load_b128 v[13:16], v[28:29], off offset:1120
	global_load_b128 v[17:20], v[28:29], off offset:1104
	global_load_b128 v[21:24], v[28:29], off offset:1088
	global_load_b128 v[30:33], v[131:132], off offset:16
	s_wait_loadcnt 0x14
	v_fma_f64 v[38:39], v[63:64], v[67:68], v[38:39]
	v_fma_f64 v[34:35], v[65:66], v[67:68], v[34:35]
	v_fma_f64 v[44:45], v[59:60], v[67:68], v[44:45]
	v_fma_f64 v[36:37], v[61:62], v[67:68], v[36:37]
	v_fma_f64 v[40:41], v[55:56], v[67:68], v[40:41]
	v_fma_f64 v[42:43], v[57:58], v[67:68], v[42:43]
	v_fma_f64 v[46:47], v[51:52], v[67:68], v[46:47]
	v_fma_f64 v[48:49], v[53:54], v[67:68], v[48:49]
	v_fma_f64 v[65:66], -v[65:66], v[69:70], v[38:39]
	v_fma_f64 v[63:64], v[63:64], v[69:70], v[34:35]
	v_fma_f64 v[61:62], -v[61:62], v[69:70], v[44:45]
	v_fma_f64 v[59:60], v[59:60], v[69:70], v[36:37]
	v_fma_f64 v[57:58], -v[57:58], v[69:70], v[40:41]
	v_fma_f64 v[55:56], v[55:56], v[69:70], v[42:43]
	v_fma_f64 v[67:68], -v[53:54], v[69:70], v[46:47]
	v_fma_f64 v[69:70], v[51:52], v[69:70], v[48:49]
	s_clause 0x3
	global_load_b128 v[34:37], v[28:29], off offset:1200
	global_load_b128 v[38:41], v[28:29], off offset:1184
	global_load_b128 v[42:45], v[28:29], off offset:1168
	global_load_b128 v[46:49], v[28:29], off offset:1152
	global_load_b128 v[51:54], v[131:132], off offset:32
	;; [unrolled: 23-line block ×3, first 2 shown]
	s_wait_loadcnt 0x14
	v_fma_f64 v[131:132], v[103:104], v[107:108], v[85:86]
	v_fma_f64 v[133:134], v[105:106], v[107:108], v[83:84]
	;; [unrolled: 1-line block ×8, first 2 shown]
	s_clause 0x3
	global_load_b128 v[75:78], v[28:29], off offset:2096
	global_load_b128 v[79:82], v[28:29], off offset:2080
	;; [unrolled: 1-line block ×4, first 2 shown]
	v_fma_f64 v[105:106], -v[105:106], v[109:110], v[131:132]
	v_fma_f64 v[103:104], v[103:104], v[109:110], v[133:134]
	v_fma_f64 v[101:102], -v[101:102], v[109:110], v[135:136]
	v_fma_f64 v[99:100], v[99:100], v[109:110], v[137:138]
	v_fma_f64 v[97:98], -v[97:98], v[109:110], v[139:140]
	v_fma_f64 v[95:96], v[95:96], v[109:110], v[141:142]
	v_fma_f64 v[131:132], -v[93:94], v[109:110], v[143:144]
	v_fma_f64 v[107:108], v[91:92], v[109:110], v[107:108]
	v_lshlrev_b64_e32 v[91:92], 4, v[145:146]
	v_lshlrev_b32_e32 v145, 2, v27
	s_delay_alu instid0(VALU_DEP_2) | instskip(SKIP_1) | instid1(VALU_DEP_3)
	v_add_co_u32 v133, vcc_lo, s4, v91
	s_wait_alu 0xfffd
	v_add_co_ci_u32_e64 v134, null, s5, v92, vcc_lo
	s_delay_alu instid0(VALU_DEP_3)
	v_ashrrev_i32_e32 v146, 31, v145
	global_load_b128 v[91:94], v[133:134], off
	s_wait_loadcnt 0x14
	v_fma_f64 v[105:106], v[123:124], v[127:128], v[105:106]
	v_fma_f64 v[103:104], v[125:126], v[127:128], v[103:104]
	v_fma_f64 v[101:102], v[119:120], v[127:128], v[101:102]
	v_fma_f64 v[99:100], v[121:122], v[127:128], v[99:100]
	v_fma_f64 v[97:98], v[115:116], v[127:128], v[97:98]
	v_fma_f64 v[95:96], v[117:118], v[127:128], v[95:96]
	v_fma_f64 v[109:110], v[111:112], v[127:128], v[131:132]
	v_fma_f64 v[107:108], v[113:114], v[127:128], v[107:108]
	v_fma_f64 v[125:126], -v[125:126], v[129:130], v[105:106]
	v_fma_f64 v[123:124], v[123:124], v[129:130], v[103:104]
	v_fma_f64 v[121:122], -v[121:122], v[129:130], v[101:102]
	v_fma_f64 v[119:120], v[119:120], v[129:130], v[99:100]
	v_fma_f64 v[117:118], -v[117:118], v[129:130], v[97:98]
	v_fma_f64 v[115:116], v[115:116], v[129:130], v[95:96]
	v_fma_f64 v[127:128], -v[113:114], v[129:130], v[109:110]
	v_fma_f64 v[129:130], v[111:112], v[129:130], v[107:108]
	s_clause 0x3
	global_load_b128 v[95:98], v[28:29], off offset:2160
	global_load_b128 v[99:102], v[28:29], off offset:2144
	global_load_b128 v[103:106], v[28:29], off offset:2128
	global_load_b128 v[107:110], v[28:29], off offset:2112
	global_load_b128 v[111:114], v[133:134], off offset:16
	s_wait_loadcnt 0x14
	v_fma_f64 v[125:126], v[21:22], v[30:31], v[125:126]
	v_fma_f64 v[123:124], v[23:24], v[30:31], v[123:124]
	v_fma_f64 v[121:122], v[17:18], v[30:31], v[121:122]
	v_fma_f64 v[119:120], v[19:20], v[30:31], v[119:120]
	v_fma_f64 v[117:118], v[13:14], v[30:31], v[117:118]
	v_fma_f64 v[115:116], v[15:16], v[30:31], v[115:116]
	v_fma_f64 v[127:128], v[9:10], v[30:31], v[127:128]
	v_fma_f64 v[30:31], v[11:12], v[30:31], v[129:130]
	v_fma_f64 v[125:126], -v[23:24], v[32:33], v[125:126]
	v_fma_f64 v[123:124], v[21:22], v[32:33], v[123:124]
	v_fma_f64 v[121:122], -v[19:20], v[32:33], v[121:122]
	v_fma_f64 v[119:120], v[17:18], v[32:33], v[119:120]
	v_fma_f64 v[117:118], -v[15:16], v[32:33], v[117:118]
	v_fma_f64 v[115:116], v[13:14], v[32:33], v[115:116]
	v_fma_f64 v[127:128], -v[11:12], v[32:33], v[127:128]
	v_fma_f64 v[129:130], v[9:10], v[32:33], v[30:31]
	s_clause 0x3
	global_load_b128 v[9:12], v[28:29], off offset:2224
	global_load_b128 v[13:16], v[28:29], off offset:2208
	global_load_b128 v[17:20], v[28:29], off offset:2192
	global_load_b128 v[21:24], v[28:29], off offset:2176
	global_load_b128 v[30:33], v[133:134], off offset:32
	;; [unrolled: 23-line block ×3, first 2 shown]
	s_wait_loadcnt 0x14
	v_fma_f64 v[131:132], v[67:68], v[71:72], v[125:126]
	v_fma_f64 v[133:134], v[69:70], v[71:72], v[123:124]
	;; [unrolled: 1-line block ×8, first 2 shown]
	s_clause 0x3
	global_load_b128 v[115:118], v[28:29], off offset:3120
	global_load_b128 v[119:122], v[28:29], off offset:3104
	global_load_b128 v[123:126], v[28:29], off offset:3088
	global_load_b128 v[127:130], v[28:29], off offset:3072
	v_fma_f64 v[69:70], -v[69:70], v[73:74], v[131:132]
	v_fma_f64 v[67:68], v[67:68], v[73:74], v[133:134]
	v_fma_f64 v[65:66], -v[65:66], v[73:74], v[135:136]
	v_fma_f64 v[63:64], v[63:64], v[73:74], v[137:138]
	v_fma_f64 v[131:132], -v[61:62], v[73:74], v[139:140]
	v_fma_f64 v[133:134], v[59:60], v[73:74], v[141:142]
	v_fma_f64 v[135:136], -v[57:58], v[73:74], v[143:144]
	v_fma_f64 v[71:72], v[55:56], v[73:74], v[71:72]
	v_lshlrev_b64_e32 v[55:56], 4, v[145:146]
	s_delay_alu instid0(VALU_DEP_1) | instskip(SKIP_1) | instid1(VALU_DEP_2)
	v_add_co_u32 v137, vcc_lo, s4, v55
	s_wait_alu 0xfffd
	v_add_co_ci_u32_e64 v138, null, s5, v56, vcc_lo
	s_clause 0x1
	global_load_b128 v[55:58], v[137:138], off
	global_load_b128 v[59:62], v[137:138], off offset:16
	v_cmp_ge_i32_e32 vcc_lo, v26, v50
	s_wait_alu 0xfffe
	s_or_b32 s7, vcc_lo, s7
	s_wait_loadcnt 0x15
	v_fma_f64 v[69:70], v[87:88], v[91:92], v[69:70]
	v_fma_f64 v[67:68], v[89:90], v[91:92], v[67:68]
	;; [unrolled: 1-line block ×8, first 2 shown]
	v_fma_f64 v[89:90], -v[89:90], v[93:94], v[69:70]
	v_fma_f64 v[87:88], v[87:88], v[93:94], v[67:68]
	v_fma_f64 v[85:86], -v[85:86], v[93:94], v[65:66]
	v_fma_f64 v[83:84], v[83:84], v[93:94], v[63:64]
	;; [unrolled: 2-line block ×4, first 2 shown]
	s_clause 0x3
	global_load_b128 v[63:66], v[28:29], off offset:3136
	global_load_b128 v[67:70], v[28:29], off offset:3152
	;; [unrolled: 1-line block ×4, first 2 shown]
	s_wait_loadcnt 0x14
	v_fma_f64 v[89:90], v[107:108], v[111:112], v[89:90]
	v_fma_f64 v[87:88], v[109:110], v[111:112], v[87:88]
	;; [unrolled: 1-line block ×8, first 2 shown]
	v_fma_f64 v[109:110], -v[109:110], v[113:114], v[89:90]
	v_fma_f64 v[107:108], v[107:108], v[113:114], v[87:88]
	v_fma_f64 v[105:106], -v[105:106], v[113:114], v[85:86]
	v_fma_f64 v[103:104], v[103:104], v[113:114], v[83:84]
	;; [unrolled: 2-line block ×4, first 2 shown]
	s_clause 0x3
	global_load_b128 v[79:82], v[28:29], off offset:3248
	global_load_b128 v[83:86], v[28:29], off offset:3232
	;; [unrolled: 1-line block ×4, first 2 shown]
	s_clause 0x1
	global_load_b128 v[95:98], v[137:138], off offset:32
	global_load_b128 v[99:102], v[137:138], off offset:48
	s_wait_loadcnt 0x15
	v_fma_f64 v[109:110], v[21:22], v[30:31], v[109:110]
	v_fma_f64 v[107:108], v[23:24], v[30:31], v[107:108]
	;; [unrolled: 1-line block ×8, first 2 shown]
	v_fma_f64 v[109:110], -v[23:24], v[32:33], v[109:110]
	v_fma_f64 v[107:108], v[21:22], v[32:33], v[107:108]
	v_fma_f64 v[105:106], -v[19:20], v[32:33], v[105:106]
	v_fma_f64 v[103:104], v[17:18], v[32:33], v[103:104]
	;; [unrolled: 2-line block ×4, first 2 shown]
	s_clause 0x3
	global_load_b128 v[9:12], v[28:29], off offset:3264
	global_load_b128 v[13:16], v[28:29], off offset:3280
	;; [unrolled: 1-line block ×4, first 2 shown]
	v_add_co_u32 v28, s2, 0x1000, v28
	s_wait_alu 0xf1ff
	v_add_co_ci_u32_e64 v29, null, 0, v29, s2
	s_wait_loadcnt 0x14
	v_fma_f64 v[32:33], v[46:47], v[51:52], v[109:110]
	v_fma_f64 v[107:108], v[48:49], v[51:52], v[107:108]
	;; [unrolled: 1-line block ×8, first 2 shown]
	v_fma_f64 v[32:33], -v[48:49], v[53:54], v[32:33]
	v_fma_f64 v[46:47], v[46:47], v[53:54], v[107:108]
	v_fma_f64 v[44:45], -v[44:45], v[53:54], v[105:106]
	v_fma_f64 v[42:43], v[42:43], v[53:54], v[103:104]
	;; [unrolled: 2-line block ×4, first 2 shown]
	s_wait_loadcnt 0xf
	v_fma_f64 v[32:33], v[127:128], v[55:56], v[32:33]
	v_fma_f64 v[34:35], v[129:130], v[55:56], v[46:47]
	;; [unrolled: 1-line block ×8, first 2 shown]
	v_fma_f64 v[32:33], -v[129:130], v[57:58], v[32:33]
	v_fma_f64 v[34:35], v[127:128], v[57:58], v[34:35]
	v_fma_f64 v[44:45], -v[125:126], v[57:58], v[44:45]
	v_fma_f64 v[42:43], v[123:124], v[57:58], v[42:43]
	;; [unrolled: 2-line block ×4, first 2 shown]
	s_wait_loadcnt 0xd
	v_fma_f64 v[32:33], v[63:64], v[59:60], v[32:33]
	v_fma_f64 v[34:35], v[65:66], v[59:60], v[34:35]
	s_wait_loadcnt 0xc
	v_fma_f64 v[44:45], v[67:68], v[59:60], v[44:45]
	v_fma_f64 v[42:43], v[69:70], v[59:60], v[42:43]
	;; [unrolled: 3-line block ×4, first 2 shown]
	v_fma_f64 v[32:33], -v[65:66], v[61:62], v[32:33]
	v_fma_f64 v[34:35], v[63:64], v[61:62], v[34:35]
	v_fma_f64 v[44:45], -v[69:70], v[61:62], v[44:45]
	v_fma_f64 v[42:43], v[67:68], v[61:62], v[42:43]
	;; [unrolled: 2-line block ×4, first 2 shown]
	s_wait_loadcnt 0x5
	v_fma_f64 v[32:33], v[91:92], v[95:96], v[32:33]
	v_fma_f64 v[34:35], v[93:94], v[95:96], v[34:35]
	;; [unrolled: 1-line block ×8, first 2 shown]
	v_fma_f64 v[32:33], -v[93:94], v[97:98], v[32:33]
	v_fma_f64 v[34:35], v[91:92], v[97:98], v[34:35]
	v_fma_f64 v[44:45], -v[89:90], v[97:98], v[44:45]
	v_fma_f64 v[42:43], v[87:88], v[97:98], v[42:43]
	;; [unrolled: 2-line block ×4, first 2 shown]
	s_wait_loadcnt 0x3
	v_fma_f64 v[32:33], v[9:10], v[99:100], v[32:33]
	v_fma_f64 v[34:35], v[11:12], v[99:100], v[34:35]
	s_wait_loadcnt 0x2
	v_fma_f64 v[44:45], v[13:14], v[99:100], v[44:45]
	v_fma_f64 v[42:43], v[15:16], v[99:100], v[42:43]
	;; [unrolled: 3-line block ×4, first 2 shown]
	v_fma_f64 v[38:39], -v[11:12], v[101:102], v[32:33]
	v_fma_f64 v[34:35], v[9:10], v[101:102], v[34:35]
	v_fma_f64 v[44:45], -v[15:16], v[101:102], v[44:45]
	v_fma_f64 v[36:37], v[13:14], v[101:102], v[42:43]
	v_fma_f64 v[40:41], -v[19:20], v[101:102], v[40:41]
	v_fma_f64 v[42:43], v[17:18], v[101:102], v[46:47]
	v_fma_f64 v[32:33], -v[23:24], v[101:102], v[48:49]
	v_fma_f64 v[30:31], v[21:22], v[101:102], v[30:31]
	s_wait_alu 0xfffe
	s_and_not1_b32 exec_lo, exec_lo, s7
	s_cbranch_execnz .LBB15_31
; %bb.32:
	s_or_b32 exec_lo, exec_lo, s7
.LBB15_33:
	s_wait_alu 0xfffe
	s_or_b32 exec_lo, exec_lo, s6
.LBB15_34:
	s_wait_alu 0xfffe
	s_or_b32 exec_lo, exec_lo, s3
.LBB15_35:
	v_mbcnt_lo_u32_b32 v46, -1, 0
	s_delay_alu instid0(VALU_DEP_1) | instskip(NEXT) | instid1(VALU_DEP_1)
	v_xor_b32_e32 v9, 2, v46
	v_cmp_gt_i32_e32 vcc_lo, 32, v9
	s_wait_alu 0xfffd
	v_cndmask_b32_e32 v9, v46, v9, vcc_lo
	s_delay_alu instid0(VALU_DEP_1)
	v_lshlrev_b32_e32 v23, 2, v9
	ds_bpermute_b32 v9, v23, v38
	ds_bpermute_b32 v10, v23, v39
	;; [unrolled: 1-line block ×16, first 2 shown]
	s_wait_dscnt 0xe
	v_add_f64_e32 v[9:10], v[38:39], v[9:10]
	s_wait_dscnt 0xc
	v_add_f64_e32 v[28:29], v[34:35], v[11:12]
	;; [unrolled: 2-line block ×7, first 2 shown]
	v_xor_b32_e32 v21, 1, v46
	s_wait_dscnt 0x0
	v_add_f64_e32 v[17:18], v[30:31], v[26:27]
	s_delay_alu instid0(VALU_DEP_2) | instskip(SKIP_3) | instid1(VALU_DEP_2)
	v_cmp_gt_i32_e32 vcc_lo, 32, v21
	s_wait_alu 0xfffd
	v_cndmask_b32_e32 v21, v46, v21, vcc_lo
	v_cmp_eq_u32_e32 vcc_lo, 3, v0
	v_lshlrev_b32_e32 v35, 2, v21
	ds_bpermute_b32 v21, v35, v9
	ds_bpermute_b32 v22, v35, v10
	;; [unrolled: 1-line block ×16, first 2 shown]
	s_and_b32 exec_lo, exec_lo, vcc_lo
	s_cbranch_execz .LBB15_8
; %bb.36:
	s_wait_dscnt 0xc
	v_add_f64_e32 v[28:29], v[28:29], v[40:41]
	s_wait_dscnt 0x8
	v_add_f64_e32 v[23:24], v[23:24], v[38:39]
	;; [unrolled: 2-line block ×4, first 2 shown]
	v_add_f64_e32 v[9:10], v[9:10], v[21:22]
	v_add_f64_e32 v[11:12], v[11:12], v[26:27]
	v_add_f64_e32 v[21:22], v[13:14], v[30:31]
	v_add_f64_e32 v[26:27], v[15:16], v[32:33]
	v_cmp_eq_f64_e32 vcc_lo, 0, v[1:2]
	v_cmp_eq_f64_e64 s2, 0, v[3:4]
	s_load_b64 s[0:1], s[0:1], 0x60
	v_mul_f64_e64 v[13:14], v[28:29], -v[7:8]
	v_mul_f64_e32 v[15:16], v[5:6], v[28:29]
	v_mul_f64_e64 v[28:29], v[23:24], -v[7:8]
	v_mul_f64_e32 v[23:24], v[5:6], v[23:24]
	v_mul_f64_e64 v[30:31], v[19:20], -v[7:8]
	v_mul_f64_e32 v[32:33], v[5:6], v[19:20]
	v_mul_f64_e64 v[34:35], v[17:18], -v[7:8]
	v_mul_f64_e32 v[36:37], v[5:6], v[17:18]
	s_and_b32 s2, vcc_lo, s2
	v_fma_f64 v[17:18], v[5:6], v[9:10], v[13:14]
	v_fma_f64 v[19:20], v[7:8], v[9:10], v[15:16]
	;; [unrolled: 1-line block ×8, first 2 shown]
	v_lshlrev_b32_e32 v21, 2, v25
	s_wait_alu 0xfffe
	s_and_saveexec_b32 s3, s2
	s_wait_alu 0xfffe
	s_xor_b32 s2, exec_lo, s3
	s_cbranch_execz .LBB15_38
; %bb.37:
	v_ashrrev_i32_e32 v22, 31, v21
	s_delay_alu instid0(VALU_DEP_1) | instskip(SKIP_1) | instid1(VALU_DEP_1)
	v_lshlrev_b64_e32 v[0:1], 4, v[21:22]
                                        ; implicit-def: $vgpr21
	s_wait_kmcnt 0x0
	v_add_co_u32 v0, vcc_lo, s0, v0
	s_wait_alu 0xfffd
	s_delay_alu instid0(VALU_DEP_2)
	v_add_co_ci_u32_e64 v1, null, s1, v1, vcc_lo
	s_clause 0x3
	global_store_b128 v[0:1], v[17:20], off
	global_store_b128 v[0:1], v[13:16], off offset:16
	global_store_b128 v[0:1], v[9:12], off offset:32
	;; [unrolled: 1-line block ×3, first 2 shown]
                                        ; implicit-def: $vgpr3_vgpr4
                                        ; implicit-def: $vgpr17_vgpr18
                                        ; implicit-def: $vgpr13_vgpr14
                                        ; implicit-def: $vgpr9_vgpr10
                                        ; implicit-def: $vgpr5_vgpr6
.LBB15_38:
	s_wait_alu 0xfffe
	s_and_not1_saveexec_b32 s2, s2
	s_cbranch_execz .LBB15_8
; %bb.39:
	v_ashrrev_i32_e32 v22, 31, v21
	s_delay_alu instid0(VALU_DEP_1) | instskip(SKIP_1) | instid1(VALU_DEP_1)
	v_lshlrev_b64_e32 v[21:22], 4, v[21:22]
	s_wait_kmcnt 0x0
	v_add_co_u32 v37, vcc_lo, s0, v21
	s_wait_alu 0xfffd
	s_delay_alu instid0(VALU_DEP_2)
	v_add_co_ci_u32_e64 v38, null, s1, v22, vcc_lo
	s_clause 0x3
	global_load_b128 v[21:24], v[37:38], off
	global_load_b128 v[25:28], v[37:38], off offset:16
	global_load_b128 v[29:32], v[37:38], off offset:32
	;; [unrolled: 1-line block ×3, first 2 shown]
	s_wait_loadcnt 0x3
	v_fma_f64 v[17:18], v[1:2], v[21:22], v[17:18]
	v_fma_f64 v[19:20], v[3:4], v[21:22], v[19:20]
	s_wait_loadcnt 0x2
	v_fma_f64 v[13:14], v[1:2], v[25:26], v[13:14]
	v_fma_f64 v[15:16], v[3:4], v[25:26], v[15:16]
	;; [unrolled: 3-line block ×4, first 2 shown]
	v_fma_f64 v[5:6], -v[3:4], v[23:24], v[17:18]
	v_fma_f64 v[7:8], v[1:2], v[23:24], v[19:20]
	v_fma_f64 v[9:10], -v[3:4], v[27:28], v[13:14]
	v_fma_f64 v[11:12], v[1:2], v[27:28], v[15:16]
	v_fma_f64 v[13:14], -v[3:4], v[31:32], v[21:22]
	v_fma_f64 v[15:16], v[1:2], v[31:32], v[25:26]
	v_fma_f64 v[17:18], -v[3:4], v[35:36], v[29:30]
	v_fma_f64 v[19:20], v[1:2], v[35:36], v[33:34]
	s_clause 0x3
	global_store_b128 v[37:38], v[5:8], off
	global_store_b128 v[37:38], v[9:12], off offset:16
	global_store_b128 v[37:38], v[13:16], off offset:32
	;; [unrolled: 1-line block ×3, first 2 shown]
	s_nop 0
	s_sendmsg sendmsg(MSG_DEALLOC_VGPRS)
	s_endpgm
	.section	.rodata,"a",@progbits
	.p2align	6, 0x0
	.amdhsa_kernel _ZN9rocsparseL18bsrxmvn_4x4_kernelILj128ELj4E21rocsparse_complex_numIdEiiS2_S2_S2_EEvT3_20rocsparse_direction_NS_24const_host_device_scalarIT1_EES3_PKS3_PKT2_SC_S9_PKT4_PKT5_S7_PT6_21rocsparse_index_base_b
		.amdhsa_group_segment_fixed_size 0
		.amdhsa_private_segment_fixed_size 0
		.amdhsa_kernarg_size 112
		.amdhsa_user_sgpr_count 2
		.amdhsa_user_sgpr_dispatch_ptr 0
		.amdhsa_user_sgpr_queue_ptr 0
		.amdhsa_user_sgpr_kernarg_segment_ptr 1
		.amdhsa_user_sgpr_dispatch_id 0
		.amdhsa_user_sgpr_private_segment_size 0
		.amdhsa_wavefront_size32 1
		.amdhsa_uses_dynamic_stack 0
		.amdhsa_enable_private_segment 0
		.amdhsa_system_sgpr_workgroup_id_x 1
		.amdhsa_system_sgpr_workgroup_id_y 0
		.amdhsa_system_sgpr_workgroup_id_z 0
		.amdhsa_system_sgpr_workgroup_info 0
		.amdhsa_system_vgpr_workitem_id 0
		.amdhsa_next_free_vgpr 153
		.amdhsa_next_free_sgpr 14
		.amdhsa_reserve_vcc 1
		.amdhsa_float_round_mode_32 0
		.amdhsa_float_round_mode_16_64 0
		.amdhsa_float_denorm_mode_32 3
		.amdhsa_float_denorm_mode_16_64 3
		.amdhsa_fp16_overflow 0
		.amdhsa_workgroup_processor_mode 1
		.amdhsa_memory_ordered 1
		.amdhsa_forward_progress 1
		.amdhsa_inst_pref_size 88
		.amdhsa_round_robin_scheduling 0
		.amdhsa_exception_fp_ieee_invalid_op 0
		.amdhsa_exception_fp_denorm_src 0
		.amdhsa_exception_fp_ieee_div_zero 0
		.amdhsa_exception_fp_ieee_overflow 0
		.amdhsa_exception_fp_ieee_underflow 0
		.amdhsa_exception_fp_ieee_inexact 0
		.amdhsa_exception_int_div_zero 0
	.end_amdhsa_kernel
	.section	.text._ZN9rocsparseL18bsrxmvn_4x4_kernelILj128ELj4E21rocsparse_complex_numIdEiiS2_S2_S2_EEvT3_20rocsparse_direction_NS_24const_host_device_scalarIT1_EES3_PKS3_PKT2_SC_S9_PKT4_PKT5_S7_PT6_21rocsparse_index_base_b,"axG",@progbits,_ZN9rocsparseL18bsrxmvn_4x4_kernelILj128ELj4E21rocsparse_complex_numIdEiiS2_S2_S2_EEvT3_20rocsparse_direction_NS_24const_host_device_scalarIT1_EES3_PKS3_PKT2_SC_S9_PKT4_PKT5_S7_PT6_21rocsparse_index_base_b,comdat
.Lfunc_end15:
	.size	_ZN9rocsparseL18bsrxmvn_4x4_kernelILj128ELj4E21rocsparse_complex_numIdEiiS2_S2_S2_EEvT3_20rocsparse_direction_NS_24const_host_device_scalarIT1_EES3_PKS3_PKT2_SC_S9_PKT4_PKT5_S7_PT6_21rocsparse_index_base_b, .Lfunc_end15-_ZN9rocsparseL18bsrxmvn_4x4_kernelILj128ELj4E21rocsparse_complex_numIdEiiS2_S2_S2_EEvT3_20rocsparse_direction_NS_24const_host_device_scalarIT1_EES3_PKS3_PKT2_SC_S9_PKT4_PKT5_S7_PT6_21rocsparse_index_base_b
                                        ; -- End function
	.set _ZN9rocsparseL18bsrxmvn_4x4_kernelILj128ELj4E21rocsparse_complex_numIdEiiS2_S2_S2_EEvT3_20rocsparse_direction_NS_24const_host_device_scalarIT1_EES3_PKS3_PKT2_SC_S9_PKT4_PKT5_S7_PT6_21rocsparse_index_base_b.num_vgpr, 153
	.set _ZN9rocsparseL18bsrxmvn_4x4_kernelILj128ELj4E21rocsparse_complex_numIdEiiS2_S2_S2_EEvT3_20rocsparse_direction_NS_24const_host_device_scalarIT1_EES3_PKS3_PKT2_SC_S9_PKT4_PKT5_S7_PT6_21rocsparse_index_base_b.num_agpr, 0
	.set _ZN9rocsparseL18bsrxmvn_4x4_kernelILj128ELj4E21rocsparse_complex_numIdEiiS2_S2_S2_EEvT3_20rocsparse_direction_NS_24const_host_device_scalarIT1_EES3_PKS3_PKT2_SC_S9_PKT4_PKT5_S7_PT6_21rocsparse_index_base_b.numbered_sgpr, 14
	.set _ZN9rocsparseL18bsrxmvn_4x4_kernelILj128ELj4E21rocsparse_complex_numIdEiiS2_S2_S2_EEvT3_20rocsparse_direction_NS_24const_host_device_scalarIT1_EES3_PKS3_PKT2_SC_S9_PKT4_PKT5_S7_PT6_21rocsparse_index_base_b.num_named_barrier, 0
	.set _ZN9rocsparseL18bsrxmvn_4x4_kernelILj128ELj4E21rocsparse_complex_numIdEiiS2_S2_S2_EEvT3_20rocsparse_direction_NS_24const_host_device_scalarIT1_EES3_PKS3_PKT2_SC_S9_PKT4_PKT5_S7_PT6_21rocsparse_index_base_b.private_seg_size, 0
	.set _ZN9rocsparseL18bsrxmvn_4x4_kernelILj128ELj4E21rocsparse_complex_numIdEiiS2_S2_S2_EEvT3_20rocsparse_direction_NS_24const_host_device_scalarIT1_EES3_PKS3_PKT2_SC_S9_PKT4_PKT5_S7_PT6_21rocsparse_index_base_b.uses_vcc, 1
	.set _ZN9rocsparseL18bsrxmvn_4x4_kernelILj128ELj4E21rocsparse_complex_numIdEiiS2_S2_S2_EEvT3_20rocsparse_direction_NS_24const_host_device_scalarIT1_EES3_PKS3_PKT2_SC_S9_PKT4_PKT5_S7_PT6_21rocsparse_index_base_b.uses_flat_scratch, 0
	.set _ZN9rocsparseL18bsrxmvn_4x4_kernelILj128ELj4E21rocsparse_complex_numIdEiiS2_S2_S2_EEvT3_20rocsparse_direction_NS_24const_host_device_scalarIT1_EES3_PKS3_PKT2_SC_S9_PKT4_PKT5_S7_PT6_21rocsparse_index_base_b.has_dyn_sized_stack, 0
	.set _ZN9rocsparseL18bsrxmvn_4x4_kernelILj128ELj4E21rocsparse_complex_numIdEiiS2_S2_S2_EEvT3_20rocsparse_direction_NS_24const_host_device_scalarIT1_EES3_PKS3_PKT2_SC_S9_PKT4_PKT5_S7_PT6_21rocsparse_index_base_b.has_recursion, 0
	.set _ZN9rocsparseL18bsrxmvn_4x4_kernelILj128ELj4E21rocsparse_complex_numIdEiiS2_S2_S2_EEvT3_20rocsparse_direction_NS_24const_host_device_scalarIT1_EES3_PKS3_PKT2_SC_S9_PKT4_PKT5_S7_PT6_21rocsparse_index_base_b.has_indirect_call, 0
	.section	.AMDGPU.csdata,"",@progbits
; Kernel info:
; codeLenInByte = 11244
; TotalNumSgprs: 16
; NumVgprs: 153
; ScratchSize: 0
; MemoryBound: 1
; FloatMode: 240
; IeeeMode: 1
; LDSByteSize: 0 bytes/workgroup (compile time only)
; SGPRBlocks: 0
; VGPRBlocks: 19
; NumSGPRsForWavesPerEU: 16
; NumVGPRsForWavesPerEU: 153
; Occupancy: 9
; WaveLimiterHint : 1
; COMPUTE_PGM_RSRC2:SCRATCH_EN: 0
; COMPUTE_PGM_RSRC2:USER_SGPR: 2
; COMPUTE_PGM_RSRC2:TRAP_HANDLER: 0
; COMPUTE_PGM_RSRC2:TGID_X_EN: 1
; COMPUTE_PGM_RSRC2:TGID_Y_EN: 0
; COMPUTE_PGM_RSRC2:TGID_Z_EN: 0
; COMPUTE_PGM_RSRC2:TIDIG_COMP_CNT: 0
	.section	.text._ZN9rocsparseL18bsrxmvn_4x4_kernelILj128ELj8E21rocsparse_complex_numIdEiiS2_S2_S2_EEvT3_20rocsparse_direction_NS_24const_host_device_scalarIT1_EES3_PKS3_PKT2_SC_S9_PKT4_PKT5_S7_PT6_21rocsparse_index_base_b,"axG",@progbits,_ZN9rocsparseL18bsrxmvn_4x4_kernelILj128ELj8E21rocsparse_complex_numIdEiiS2_S2_S2_EEvT3_20rocsparse_direction_NS_24const_host_device_scalarIT1_EES3_PKS3_PKT2_SC_S9_PKT4_PKT5_S7_PT6_21rocsparse_index_base_b,comdat
	.globl	_ZN9rocsparseL18bsrxmvn_4x4_kernelILj128ELj8E21rocsparse_complex_numIdEiiS2_S2_S2_EEvT3_20rocsparse_direction_NS_24const_host_device_scalarIT1_EES3_PKS3_PKT2_SC_S9_PKT4_PKT5_S7_PT6_21rocsparse_index_base_b ; -- Begin function _ZN9rocsparseL18bsrxmvn_4x4_kernelILj128ELj8E21rocsparse_complex_numIdEiiS2_S2_S2_EEvT3_20rocsparse_direction_NS_24const_host_device_scalarIT1_EES3_PKS3_PKT2_SC_S9_PKT4_PKT5_S7_PT6_21rocsparse_index_base_b
	.p2align	8
	.type	_ZN9rocsparseL18bsrxmvn_4x4_kernelILj128ELj8E21rocsparse_complex_numIdEiiS2_S2_S2_EEvT3_20rocsparse_direction_NS_24const_host_device_scalarIT1_EES3_PKS3_PKT2_SC_S9_PKT4_PKT5_S7_PT6_21rocsparse_index_base_b,@function
_ZN9rocsparseL18bsrxmvn_4x4_kernelILj128ELj8E21rocsparse_complex_numIdEiiS2_S2_S2_EEvT3_20rocsparse_direction_NS_24const_host_device_scalarIT1_EES3_PKS3_PKT2_SC_S9_PKT4_PKT5_S7_PT6_21rocsparse_index_base_b: ; @_ZN9rocsparseL18bsrxmvn_4x4_kernelILj128ELj8E21rocsparse_complex_numIdEiiS2_S2_S2_EEvT3_20rocsparse_direction_NS_24const_host_device_scalarIT1_EES3_PKS3_PKT2_SC_S9_PKT4_PKT5_S7_PT6_21rocsparse_index_base_b
; %bb.0:
	s_clause 0x1
	s_load_b64 s[12:13], s[0:1], 0x68
	s_load_b64 s[2:3], s[0:1], 0x8
	s_add_nc_u64 s[4:5], s[0:1], 8
	s_load_b64 s[6:7], s[0:1], 0x50
	s_wait_kmcnt 0x0
	s_bitcmp1_b32 s13, 0
	s_cselect_b32 s2, s4, s2
	s_cselect_b32 s3, s5, s3
	s_delay_alu instid0(SALU_CYCLE_1)
	v_dual_mov_b32 v1, s2 :: v_dual_mov_b32 v2, s3
	s_add_nc_u64 s[2:3], s[0:1], 0x50
	s_wait_alu 0xfffe
	s_cselect_b32 s2, s2, s6
	s_cselect_b32 s3, s3, s7
	flat_load_b128 v[5:8], v[1:2]
	s_wait_alu 0xfffe
	v_dual_mov_b32 v1, s2 :: v_dual_mov_b32 v2, s3
	flat_load_b128 v[1:4], v[1:2]
	s_wait_loadcnt_dscnt 0x101
	v_cmp_eq_f64_e32 vcc_lo, 0, v[5:6]
	v_cmp_eq_f64_e64 s2, 0, v[7:8]
	s_and_b32 s4, vcc_lo, s2
	s_mov_b32 s2, -1
	s_and_saveexec_b32 s3, s4
	s_cbranch_execz .LBB16_2
; %bb.1:
	s_wait_loadcnt_dscnt 0x0
	v_cmp_neq_f64_e32 vcc_lo, 1.0, v[1:2]
	v_cmp_neq_f64_e64 s2, 0, v[3:4]
	s_wait_alu 0xfffe
	s_or_b32 s2, vcc_lo, s2
	s_wait_alu 0xfffe
	s_or_not1_b32 s2, s2, exec_lo
.LBB16_2:
	s_wait_alu 0xfffe
	s_or_b32 exec_lo, exec_lo, s3
	s_and_saveexec_b32 s3, s2
	s_cbranch_execz .LBB16_8
; %bb.3:
	s_clause 0x1
	s_load_b64 s[4:5], s[0:1], 0x20
	s_load_b64 s[2:3], s[0:1], 0x0
	v_lshrrev_b32_e32 v9, 3, v0
	s_delay_alu instid0(VALU_DEP_1)
	v_lshl_or_b32 v25, ttmp9, 4, v9
	s_wait_kmcnt 0x0
	s_cmp_lg_u64 s[4:5], 0
	s_cbranch_scc0 .LBB16_9
; %bb.4:
	s_load_b32 s6, s[0:1], 0x18
	s_mov_b32 s7, 0
                                        ; implicit-def: $vgpr9
	s_wait_kmcnt 0x0
	v_cmp_gt_i32_e32 vcc_lo, s6, v25
	s_mov_b32 s6, 0
	s_and_saveexec_b32 s8, vcc_lo
	s_delay_alu instid0(SALU_CYCLE_1)
	s_xor_b32 s8, exec_lo, s8
	s_cbranch_execz .LBB16_6
; %bb.5:
	v_ashrrev_i32_e32 v26, 31, v25
	s_mov_b32 s6, exec_lo
	s_delay_alu instid0(VALU_DEP_1) | instskip(NEXT) | instid1(VALU_DEP_1)
	v_lshlrev_b64_e32 v[9:10], 2, v[25:26]
	v_add_co_u32 v9, vcc_lo, s4, v9
	s_delay_alu instid0(VALU_DEP_1)
	v_add_co_ci_u32_e64 v10, null, s5, v10, vcc_lo
	global_load_b32 v9, v[9:10], off
	s_wait_loadcnt 0x0
	v_subrev_nc_u32_e32 v9, s12, v9
.LBB16_6:
	s_or_b32 exec_lo, exec_lo, s8
	s_delay_alu instid0(SALU_CYCLE_1)
	s_and_b32 vcc_lo, exec_lo, s7
	s_wait_alu 0xfffe
	s_cbranch_vccz .LBB16_10
.LBB16_7:
	v_cmp_gt_i32_e32 vcc_lo, s2, v25
	s_and_not1_b32 s2, s6, exec_lo
	s_and_b32 s4, vcc_lo, exec_lo
	s_wait_alu 0xfffe
	s_or_b32 s6, s2, s4
	s_wait_alu 0xfffe
	s_and_b32 exec_lo, exec_lo, s6
	s_cbranch_execnz .LBB16_11
.LBB16_8:
	s_nop 0
	s_sendmsg sendmsg(MSG_DEALLOC_VGPRS)
	s_endpgm
.LBB16_9:
	s_mov_b32 s6, 0
                                        ; implicit-def: $vgpr9
	s_cbranch_execnz .LBB16_7
.LBB16_10:
	v_mov_b32_e32 v25, v9
	s_and_b32 exec_lo, exec_lo, s6
	s_cbranch_execz .LBB16_8
.LBB16_11:
	s_load_b256 s[4:11], s[0:1], 0x28
	s_delay_alu instid0(VALU_DEP_1) | instskip(SKIP_1) | instid1(VALU_DEP_2)
	v_ashrrev_i32_e32 v26, 31, v25
	v_and_b32_e32 v0, 7, v0
	v_lshlrev_b64_e32 v[9:10], 2, v[25:26]
	s_wait_kmcnt 0x0
	s_delay_alu instid0(VALU_DEP_1) | instskip(SKIP_1) | instid1(VALU_DEP_2)
	v_add_co_u32 v11, vcc_lo, s4, v9
	s_wait_alu 0xfffd
	v_add_co_ci_u32_e64 v12, null, s5, v10, vcc_lo
	v_add_co_u32 v9, vcc_lo, s6, v9
	s_wait_alu 0xfffd
	v_add_co_ci_u32_e64 v10, null, s7, v10, vcc_lo
	global_load_b32 v51, v[11:12], off
	v_add_co_u32 v11, vcc_lo, v11, 4
	s_wait_alu 0xfffd
	v_add_co_ci_u32_e64 v12, null, 0, v12, vcc_lo
	s_cmp_eq_u64 s[6:7], 0
	s_load_b64 s[4:5], s[0:1], 0x48
	s_cselect_b32 vcc_lo, -1, 0
	s_cmp_eq_u32 s3, 1
	s_wait_alu 0xfffe
	v_dual_cndmask_b32 v10, v10, v12 :: v_dual_cndmask_b32 v9, v9, v11
	global_load_b32 v11, v[9:10], off
	s_wait_loadcnt 0x1
	v_subrev_nc_u32_e32 v9, s12, v51
	s_delay_alu instid0(VALU_DEP_1) | instskip(NEXT) | instid1(VALU_DEP_1)
	v_add_nc_u32_e32 v26, v9, v0
	v_ashrrev_i32_e32 v27, 31, v26
	s_wait_loadcnt 0x0
	v_subrev_nc_u32_e32 v50, s12, v11
	s_delay_alu instid0(VALU_DEP_2) | instskip(NEXT) | instid1(VALU_DEP_2)
	v_lshlrev_b64_e32 v[9:10], 8, v[26:27]
	v_cmp_lt_i32_e64 s2, v26, v50
	s_delay_alu instid0(VALU_DEP_2) | instskip(SKIP_1) | instid1(VALU_DEP_3)
	v_add_co_u32 v28, vcc_lo, s10, v9
	s_wait_alu 0xfffd
	v_add_co_ci_u32_e64 v29, null, s11, v10, vcc_lo
	s_cbranch_scc1 .LBB16_23
; %bb.12:
	v_mov_b32_e32 v34, 0
	v_mov_b32_e32 v32, 0
	;; [unrolled: 1-line block ×3, first 2 shown]
	v_dual_mov_b32 v44, 0 :: v_dual_mov_b32 v35, 0
	v_dual_mov_b32 v38, 0 :: v_dual_mov_b32 v33, 0
	v_dual_mov_b32 v30, 0 :: v_dual_mov_b32 v41, 0
	v_dual_mov_b32 v42, 0 :: v_dual_mov_b32 v45, 0
	v_dual_mov_b32 v36, 0 :: v_dual_mov_b32 v39, 0
	v_mov_b32_e32 v31, 0
	v_mov_b32_e32 v43, 0
	;; [unrolled: 1-line block ×3, first 2 shown]
	s_and_saveexec_b32 s6, s2
	s_cbranch_execz .LBB16_22
; %bb.13:
	v_dual_mov_b32 v36, 0 :: v_dual_add_nc_u32 v9, v51, v0
	v_not_b32_e32 v10, v51
	v_dual_mov_b32 v37, 0 :: v_dual_mov_b32 v42, 0
	s_delay_alu instid0(VALU_DEP_3) | instskip(SKIP_2) | instid1(VALU_DEP_3)
	v_subrev_nc_u32_e32 v9, s12, v9
	v_dual_mov_b32 v43, 0 :: v_dual_mov_b32 v30, 0
	v_dual_mov_b32 v31, 0 :: v_dual_mov_b32 v32, 0
	v_dual_mov_b32 v44, 0 :: v_dual_add_nc_u32 v9, 8, v9
	v_dual_mov_b32 v33, 0 :: v_dual_mov_b32 v38, 0
	v_dual_mov_b32 v45, 0 :: v_dual_mov_b32 v40, 0
	s_delay_alu instid0(VALU_DEP_3) | instskip(SKIP_2) | instid1(VALU_DEP_3)
	v_max_i32_e32 v9, v9, v50
	v_dual_mov_b32 v39, 0 :: v_dual_mov_b32 v34, 0
	v_dual_mov_b32 v49, v29 :: v_dual_mov_b32 v46, v26
	v_add3_u32 v9, s12, v9, v10
	v_dual_mov_b32 v35, 0 :: v_dual_mov_b32 v48, v28
	s_mov_b32 s3, exec_lo
	s_delay_alu instid0(VALU_DEP_2) | instskip(NEXT) | instid1(VALU_DEP_1)
	v_sub_nc_u32_e32 v9, v9, v0
	v_dual_mov_b32 v41, 0 :: v_dual_and_b32 v10, 24, v9
	s_delay_alu instid0(VALU_DEP_1)
	v_cmpx_ne_u32_e32 24, v10
	s_cbranch_execz .LBB16_17
; %bb.14:
	v_lshrrev_b32_e32 v10, 3, v9
	v_mov_b32_e32 v34, 0
	v_dual_mov_b32 v35, 0 :: v_dual_mov_b32 v38, 0
	v_mov_b32_e32 v32, 0
	s_delay_alu instid0(VALU_DEP_4) | instskip(SKIP_3) | instid1(VALU_DEP_4)
	v_add_nc_u32_e32 v10, 1, v10
	v_mov_b32_e32 v30, 0
	v_mov_b32_e32 v40, 0
	v_dual_mov_b32 v42, 0 :: v_dual_mov_b32 v49, v29
	v_and_b32_e32 v10, 3, v10
	v_mov_b32_e32 v44, 0
	v_mov_b32_e32 v36, 0
	v_dual_mov_b32 v46, v26 :: v_dual_mov_b32 v33, 0
	v_mov_b32_e32 v39, 0
	v_mov_b32_e32 v31, 0
	;; [unrolled: 1-line block ×6, first 2 shown]
	v_sub_nc_u32_e32 v10, 0, v10
	v_mov_b32_e32 v48, v28
	s_mov_b32 s7, 0
.LBB16_15:                              ; =>This Inner Loop Header: Depth=1
	v_ashrrev_i32_e32 v47, 31, v46
	s_delay_alu instid0(VALU_DEP_3) | instskip(SKIP_2) | instid1(VALU_DEP_2)
	v_add_co_u32 v10, s10, v10, 1
	s_wait_alu 0xfffe
	s_or_b32 s7, s10, s7
	v_lshlrev_b64_e32 v[11:12], 2, v[46:47]
	v_add_nc_u32_e32 v46, 8, v46
	s_delay_alu instid0(VALU_DEP_2) | instskip(SKIP_1) | instid1(VALU_DEP_3)
	v_add_co_u32 v11, vcc_lo, s8, v11
	s_wait_alu 0xfffd
	v_add_co_ci_u32_e64 v12, null, s9, v12, vcc_lo
	global_load_b32 v23, v[11:12], off
	s_clause 0x7
	global_load_b128 v[11:14], v[48:49], off offset:16
	global_load_b128 v[15:18], v[48:49], off
	global_load_b128 v[19:22], v[48:49], off offset:80
	global_load_b128 v[52:55], v[48:49], off offset:64
	;; [unrolled: 1-line block ×6, first 2 shown]
	s_wait_loadcnt 0x8
	v_subrev_nc_u32_e32 v23, s12, v23
	s_delay_alu instid0(VALU_DEP_1) | instskip(NEXT) | instid1(VALU_DEP_1)
	v_lshlrev_b32_e32 v23, 2, v23
	v_ashrrev_i32_e32 v24, 31, v23
	s_delay_alu instid0(VALU_DEP_1) | instskip(SKIP_1) | instid1(VALU_DEP_1)
	v_lshlrev_b64_e32 v[23:24], 4, v[23:24]
	s_wait_kmcnt 0x0
	v_add_co_u32 v23, vcc_lo, s4, v23
	s_wait_alu 0xfffd
	s_delay_alu instid0(VALU_DEP_2)
	v_add_co_ci_u32_e64 v24, null, s5, v24, vcc_lo
	s_clause 0x1
	global_load_b128 v[72:75], v[23:24], off
	global_load_b128 v[76:79], v[23:24], off offset:16
	s_clause 0x7
	global_load_b128 v[80:83], v[48:49], off offset:48
	global_load_b128 v[84:87], v[48:49], off offset:32
	;; [unrolled: 1-line block ×8, first 2 shown]
	s_clause 0x1
	global_load_b128 v[112:115], v[23:24], off offset:32
	global_load_b128 v[116:119], v[23:24], off offset:48
	v_add_co_u32 v48, vcc_lo, 0x800, v48
	s_wait_alu 0xfffd
	v_add_co_ci_u32_e64 v49, null, 0, v49, vcc_lo
	s_wait_loadcnt 0xb
	v_fma_f64 v[23:24], v[15:16], v[72:73], v[38:39]
	v_fma_f64 v[34:35], v[17:18], v[72:73], v[34:35]
	v_fma_f64 v[38:39], v[52:53], v[72:73], v[44:45]
	v_fma_f64 v[36:37], v[54:55], v[72:73], v[36:37]
	v_fma_f64 v[40:41], v[60:61], v[72:73], v[40:41]
	v_fma_f64 v[42:43], v[62:63], v[72:73], v[42:43]
	v_fma_f64 v[32:33], v[68:69], v[72:73], v[32:33]
	v_fma_f64 v[30:31], v[70:71], v[72:73], v[30:31]
	v_fma_f64 v[17:18], -v[17:18], v[74:75], v[23:24]
	v_fma_f64 v[15:16], v[15:16], v[74:75], v[34:35]
	v_fma_f64 v[23:24], -v[54:55], v[74:75], v[38:39]
	v_fma_f64 v[34:35], v[52:53], v[74:75], v[36:37]
	v_fma_f64 v[36:37], -v[62:63], v[74:75], v[40:41]
	v_fma_f64 v[38:39], v[60:61], v[74:75], v[42:43]
	v_fma_f64 v[32:33], -v[70:71], v[74:75], v[32:33]
	v_fma_f64 v[30:31], v[68:69], v[74:75], v[30:31]
	s_wait_loadcnt 0xa
	v_fma_f64 v[17:18], v[11:12], v[76:77], v[17:18]
	v_fma_f64 v[15:16], v[13:14], v[76:77], v[15:16]
	v_fma_f64 v[23:24], v[19:20], v[76:77], v[23:24]
	v_fma_f64 v[34:35], v[21:22], v[76:77], v[34:35]
	v_fma_f64 v[36:37], v[56:57], v[76:77], v[36:37]
	v_fma_f64 v[38:39], v[58:59], v[76:77], v[38:39]
	v_fma_f64 v[32:33], v[64:65], v[76:77], v[32:33]
	v_fma_f64 v[30:31], v[66:67], v[76:77], v[30:31]
	v_fma_f64 v[13:14], -v[13:14], v[78:79], v[17:18]
	v_fma_f64 v[11:12], v[11:12], v[78:79], v[15:16]
	v_fma_f64 v[15:16], -v[21:22], v[78:79], v[23:24]
	v_fma_f64 v[17:18], v[19:20], v[78:79], v[34:35]
	v_fma_f64 v[19:20], -v[58:59], v[78:79], v[36:37]
	v_fma_f64 v[21:22], v[56:57], v[78:79], v[38:39]
	v_fma_f64 v[23:24], -v[66:67], v[78:79], v[32:33]
	v_fma_f64 v[30:31], v[64:65], v[78:79], v[30:31]
	;; [unrolled: 17-line block ×4, first 2 shown]
	s_wait_alu 0xfffe
	s_and_not1_b32 exec_lo, exec_lo, s7
	s_cbranch_execnz .LBB16_15
; %bb.16:
	s_or_b32 exec_lo, exec_lo, s7
.LBB16_17:
	s_wait_alu 0xfffe
	s_or_b32 exec_lo, exec_lo, s3
	s_delay_alu instid0(SALU_CYCLE_1)
	s_mov_b32 s7, exec_lo
	v_cmpx_lt_u32_e32 23, v9
	s_cbranch_execz .LBB16_21
; %bb.18:
	s_mov_b32 s10, 0
.LBB16_19:                              ; =>This Inner Loop Header: Depth=1
	v_ashrrev_i32_e32 v47, 31, v46
	s_delay_alu instid0(VALU_DEP_1) | instskip(SKIP_1) | instid1(VALU_DEP_2)
	v_lshlrev_b64_e32 v[9:10], 2, v[46:47]
	v_add_nc_u32_e32 v46, 32, v46
	v_add_co_u32 v52, vcc_lo, s8, v9
	s_wait_alu 0xfffd
	s_delay_alu instid0(VALU_DEP_3)
	v_add_co_ci_u32_e64 v53, null, s9, v10, vcc_lo
	global_load_b32 v27, v[52:53], off
	s_clause 0x3
	global_load_b128 v[21:24], v[48:49], off
	global_load_b128 v[17:20], v[48:49], off offset:64
	global_load_b128 v[13:16], v[48:49], off offset:128
	;; [unrolled: 1-line block ×3, first 2 shown]
	s_clause 0x2
	global_load_b32 v47, v[52:53], off offset:32
	global_load_b32 v150, v[52:53], off offset:64
	;; [unrolled: 1-line block ×3, first 2 shown]
	s_wait_loadcnt 0x7
	v_subrev_nc_u32_e32 v27, s12, v27
	s_delay_alu instid0(VALU_DEP_1) | instskip(SKIP_2) | instid1(VALU_DEP_2)
	v_lshlrev_b32_e32 v52, 2, v27
	s_wait_loadcnt 0x2
	v_subrev_nc_u32_e32 v27, s12, v47
	v_ashrrev_i32_e32 v53, 31, v52
	s_delay_alu instid0(VALU_DEP_2) | instskip(SKIP_2) | instid1(VALU_DEP_3)
	v_lshlrev_b32_e32 v132, 2, v27
	s_wait_loadcnt 0x1
	v_subrev_nc_u32_e32 v27, s12, v150
	v_lshlrev_b64_e32 v[52:53], 4, v[52:53]
	s_delay_alu instid0(VALU_DEP_3) | instskip(NEXT) | instid1(VALU_DEP_3)
	v_ashrrev_i32_e32 v133, 31, v132
	v_lshlrev_b32_e32 v150, 2, v27
	s_wait_loadcnt 0x0
	v_subrev_nc_u32_e32 v27, s12, v152
	s_delay_alu instid0(VALU_DEP_3)
	v_lshlrev_b64_e32 v[132:133], 4, v[132:133]
	s_wait_kmcnt 0x0
	v_add_co_u32 v112, vcc_lo, s4, v52
	s_wait_alu 0xfffd
	v_add_co_ci_u32_e64 v113, null, s5, v53, vcc_lo
	v_ashrrev_i32_e32 v151, 31, v150
	v_add_co_u32 v136, vcc_lo, s4, v132
	global_load_b128 v[52:55], v[112:113], off
	s_clause 0x3
	global_load_b128 v[56:59], v[48:49], off offset:16
	global_load_b128 v[60:63], v[48:49], off offset:80
	global_load_b128 v[64:67], v[48:49], off offset:144
	global_load_b128 v[68:71], v[48:49], off offset:208
	global_load_b128 v[72:75], v[112:113], off offset:16
	s_clause 0x3
	global_load_b128 v[76:79], v[48:49], off offset:32
	global_load_b128 v[80:83], v[48:49], off offset:96
	global_load_b128 v[84:87], v[48:49], off offset:160
	global_load_b128 v[88:91], v[48:49], off offset:224
	global_load_b128 v[92:95], v[112:113], off offset:32
	;; [unrolled: 6-line block ×3, first 2 shown]
	s_clause 0x3
	global_load_b128 v[116:119], v[48:49], off offset:2048
	global_load_b128 v[120:123], v[48:49], off offset:2112
	;; [unrolled: 1-line block ×4, first 2 shown]
	s_wait_alu 0xfffd
	v_add_co_ci_u32_e64 v137, null, s5, v133, vcc_lo
	global_load_b128 v[132:135], v[136:137], off
	s_wait_loadcnt 0x14
	v_fma_f64 v[38:39], v[21:22], v[52:53], v[38:39]
	v_fma_f64 v[34:35], v[23:24], v[52:53], v[34:35]
	v_fma_f64 v[44:45], v[17:18], v[52:53], v[44:45]
	v_fma_f64 v[36:37], v[19:20], v[52:53], v[36:37]
	v_fma_f64 v[40:41], v[13:14], v[52:53], v[40:41]
	v_fma_f64 v[42:43], v[15:16], v[52:53], v[42:43]
	v_fma_f64 v[32:33], v[9:10], v[52:53], v[32:33]
	v_fma_f64 v[30:31], v[11:12], v[52:53], v[30:31]
	v_fma_f64 v[38:39], -v[23:24], v[54:55], v[38:39]
	v_fma_f64 v[34:35], v[21:22], v[54:55], v[34:35]
	v_fma_f64 v[44:45], -v[19:20], v[54:55], v[44:45]
	v_fma_f64 v[36:37], v[17:18], v[54:55], v[36:37]
	v_fma_f64 v[40:41], -v[15:16], v[54:55], v[40:41]
	v_fma_f64 v[42:43], v[13:14], v[54:55], v[42:43]
	v_fma_f64 v[52:53], -v[11:12], v[54:55], v[32:33]
	v_fma_f64 v[54:55], v[9:10], v[54:55], v[30:31]
	s_clause 0x3
	global_load_b128 v[9:12], v[48:49], off offset:2064
	global_load_b128 v[13:16], v[48:49], off offset:2128
	global_load_b128 v[17:20], v[48:49], off offset:2192
	global_load_b128 v[21:24], v[48:49], off offset:2256
	global_load_b128 v[30:33], v[136:137], off offset:16
	s_wait_loadcnt 0x14
	v_fma_f64 v[38:39], v[56:57], v[72:73], v[38:39]
	v_fma_f64 v[34:35], v[58:59], v[72:73], v[34:35]
	v_fma_f64 v[44:45], v[60:61], v[72:73], v[44:45]
	v_fma_f64 v[36:37], v[62:63], v[72:73], v[36:37]
	v_fma_f64 v[40:41], v[64:65], v[72:73], v[40:41]
	v_fma_f64 v[42:43], v[66:67], v[72:73], v[42:43]
	v_fma_f64 v[52:53], v[68:69], v[72:73], v[52:53]
	v_fma_f64 v[54:55], v[70:71], v[72:73], v[54:55]
	v_fma_f64 v[72:73], -v[58:59], v[74:75], v[38:39]
	v_fma_f64 v[138:139], v[56:57], v[74:75], v[34:35]
	v_fma_f64 v[62:63], -v[62:63], v[74:75], v[44:45]
	v_fma_f64 v[60:61], v[60:61], v[74:75], v[36:37]
	v_fma_f64 v[66:67], -v[66:67], v[74:75], v[40:41]
	v_fma_f64 v[64:65], v[64:65], v[74:75], v[42:43]
	v_fma_f64 v[70:71], -v[70:71], v[74:75], v[52:53]
	v_fma_f64 v[68:69], v[68:69], v[74:75], v[54:55]
	s_clause 0x3
	global_load_b128 v[34:37], v[48:49], off offset:2080
	global_load_b128 v[38:41], v[48:49], off offset:2144
	global_load_b128 v[42:45], v[48:49], off offset:2208
	global_load_b128 v[52:55], v[48:49], off offset:2272
	global_load_b128 v[56:59], v[136:137], off offset:32
	;; [unrolled: 23-line block ×3, first 2 shown]
	s_wait_loadcnt 0x14
	v_fma_f64 v[136:137], v[96:97], v[112:113], v[92:93]
	v_fma_f64 v[138:139], v[98:99], v[112:113], v[138:139]
	;; [unrolled: 1-line block ×8, first 2 shown]
	s_clause 0x3
	global_load_b128 v[80:83], v[48:49], off offset:4096
	global_load_b128 v[84:87], v[48:49], off offset:4160
	;; [unrolled: 1-line block ×4, first 2 shown]
	v_fma_f64 v[136:137], -v[98:99], v[114:115], v[136:137]
	v_fma_f64 v[138:139], v[96:97], v[114:115], v[138:139]
	v_fma_f64 v[102:103], -v[102:103], v[114:115], v[140:141]
	v_fma_f64 v[100:101], v[100:101], v[114:115], v[142:143]
	;; [unrolled: 2-line block ×4, first 2 shown]
	v_lshlrev_b64_e32 v[96:97], 4, v[150:151]
	v_lshlrev_b32_e32 v150, 2, v27
	s_delay_alu instid0(VALU_DEP_2) | instskip(SKIP_1) | instid1(VALU_DEP_3)
	v_add_co_u32 v140, vcc_lo, s4, v96
	s_wait_alu 0xfffd
	v_add_co_ci_u32_e64 v141, null, s5, v97, vcc_lo
	s_delay_alu instid0(VALU_DEP_3)
	v_ashrrev_i32_e32 v151, 31, v150
	global_load_b128 v[96:99], v[140:141], off
	s_wait_loadcnt 0x14
	v_fma_f64 v[112:113], v[116:117], v[132:133], v[136:137]
	v_fma_f64 v[114:115], v[118:119], v[132:133], v[138:139]
	v_fma_f64 v[102:103], v[120:121], v[132:133], v[102:103]
	v_fma_f64 v[100:101], v[122:123], v[132:133], v[100:101]
	v_fma_f64 v[106:107], v[124:125], v[132:133], v[106:107]
	v_fma_f64 v[104:105], v[126:127], v[132:133], v[104:105]
	v_fma_f64 v[110:111], v[128:129], v[132:133], v[110:111]
	v_fma_f64 v[108:109], v[130:131], v[132:133], v[108:109]
	v_fma_f64 v[132:133], -v[118:119], v[134:135], v[112:113]
	v_fma_f64 v[136:137], v[116:117], v[134:135], v[114:115]
	v_fma_f64 v[122:123], -v[122:123], v[134:135], v[102:103]
	v_fma_f64 v[120:121], v[120:121], v[134:135], v[100:101]
	v_fma_f64 v[126:127], -v[126:127], v[134:135], v[106:107]
	v_fma_f64 v[124:125], v[124:125], v[134:135], v[104:105]
	v_fma_f64 v[130:131], -v[130:131], v[134:135], v[110:111]
	v_fma_f64 v[128:129], v[128:129], v[134:135], v[108:109]
	s_clause 0x3
	global_load_b128 v[100:103], v[48:49], off offset:4112
	global_load_b128 v[104:107], v[48:49], off offset:4176
	global_load_b128 v[108:111], v[48:49], off offset:4240
	global_load_b128 v[112:115], v[48:49], off offset:4304
	global_load_b128 v[116:119], v[140:141], off offset:16
	s_wait_loadcnt 0x14
	v_fma_f64 v[132:133], v[9:10], v[30:31], v[132:133]
	v_fma_f64 v[134:135], v[11:12], v[30:31], v[136:137]
	v_fma_f64 v[122:123], v[13:14], v[30:31], v[122:123]
	v_fma_f64 v[120:121], v[15:16], v[30:31], v[120:121]
	v_fma_f64 v[126:127], v[17:18], v[30:31], v[126:127]
	v_fma_f64 v[124:125], v[19:20], v[30:31], v[124:125]
	v_fma_f64 v[130:131], v[21:22], v[30:31], v[130:131]
	v_fma_f64 v[30:31], v[23:24], v[30:31], v[128:129]
	v_fma_f64 v[128:129], -v[11:12], v[32:33], v[132:133]
	v_fma_f64 v[132:133], v[9:10], v[32:33], v[134:135]
	v_fma_f64 v[122:123], -v[15:16], v[32:33], v[122:123]
	v_fma_f64 v[120:121], v[13:14], v[32:33], v[120:121]
	v_fma_f64 v[126:127], -v[19:20], v[32:33], v[126:127]
	v_fma_f64 v[124:125], v[17:18], v[32:33], v[124:125]
	v_fma_f64 v[130:131], -v[23:24], v[32:33], v[130:131]
	v_fma_f64 v[134:135], v[21:22], v[32:33], v[30:31]
	s_clause 0x3
	global_load_b128 v[9:12], v[48:49], off offset:4128
	global_load_b128 v[13:16], v[48:49], off offset:4192
	global_load_b128 v[17:20], v[48:49], off offset:4256
	global_load_b128 v[21:24], v[48:49], off offset:4320
	global_load_b128 v[30:33], v[140:141], off offset:32
	;; [unrolled: 23-line block ×3, first 2 shown]
	s_wait_loadcnt 0x14
	v_fma_f64 v[136:137], v[60:61], v[76:77], v[128:129]
	v_fma_f64 v[138:139], v[62:63], v[76:77], v[132:133]
	;; [unrolled: 1-line block ×8, first 2 shown]
	s_clause 0x3
	global_load_b128 v[120:123], v[48:49], off offset:6144
	global_load_b128 v[124:127], v[48:49], off offset:6208
	;; [unrolled: 1-line block ×4, first 2 shown]
	v_fma_f64 v[136:137], -v[62:63], v[78:79], v[136:137]
	v_fma_f64 v[138:139], v[60:61], v[78:79], v[138:139]
	v_fma_f64 v[66:67], -v[66:67], v[78:79], v[140:141]
	v_fma_f64 v[64:65], v[64:65], v[78:79], v[142:143]
	;; [unrolled: 2-line block ×4, first 2 shown]
	v_lshlrev_b64_e32 v[60:61], 4, v[150:151]
	s_delay_alu instid0(VALU_DEP_1) | instskip(SKIP_1) | instid1(VALU_DEP_2)
	v_add_co_u32 v140, vcc_lo, s4, v60
	s_wait_alu 0xfffd
	v_add_co_ci_u32_e64 v141, null, s5, v61, vcc_lo
	v_cmp_ge_i32_e32 vcc_lo, v46, v50
	global_load_b128 v[60:63], v[140:141], off
	s_wait_alu 0xfffe
	s_or_b32 s10, vcc_lo, s10
	s_wait_loadcnt 0x14
	v_fma_f64 v[76:77], v[80:81], v[96:97], v[136:137]
	v_fma_f64 v[78:79], v[82:83], v[96:97], v[138:139]
	v_fma_f64 v[66:67], v[84:85], v[96:97], v[66:67]
	v_fma_f64 v[64:65], v[86:87], v[96:97], v[64:65]
	v_fma_f64 v[70:71], v[88:89], v[96:97], v[70:71]
	v_fma_f64 v[68:69], v[90:91], v[96:97], v[68:69]
	v_fma_f64 v[74:75], v[92:93], v[96:97], v[74:75]
	v_fma_f64 v[72:73], v[94:95], v[96:97], v[72:73]
	v_fma_f64 v[96:97], -v[82:83], v[98:99], v[76:77]
	v_fma_f64 v[136:137], v[80:81], v[98:99], v[78:79]
	v_fma_f64 v[86:87], -v[86:87], v[98:99], v[66:67]
	v_fma_f64 v[84:85], v[84:85], v[98:99], v[64:65]
	v_fma_f64 v[90:91], -v[90:91], v[98:99], v[70:71]
	v_fma_f64 v[88:89], v[88:89], v[98:99], v[68:69]
	v_fma_f64 v[94:95], -v[94:95], v[98:99], v[74:75]
	v_fma_f64 v[92:93], v[92:93], v[98:99], v[72:73]
	s_clause 0x3
	global_load_b128 v[64:67], v[48:49], off offset:6160
	global_load_b128 v[68:71], v[48:49], off offset:6224
	global_load_b128 v[72:75], v[48:49], off offset:6288
	global_load_b128 v[76:79], v[48:49], off offset:6352
	global_load_b128 v[80:83], v[140:141], off offset:16
	s_wait_loadcnt 0x14
	v_fma_f64 v[96:97], v[100:101], v[116:117], v[96:97]
	v_fma_f64 v[98:99], v[102:103], v[116:117], v[136:137]
	v_fma_f64 v[86:87], v[104:105], v[116:117], v[86:87]
	v_fma_f64 v[84:85], v[106:107], v[116:117], v[84:85]
	v_fma_f64 v[90:91], v[108:109], v[116:117], v[90:91]
	v_fma_f64 v[88:89], v[110:111], v[116:117], v[88:89]
	v_fma_f64 v[94:95], v[112:113], v[116:117], v[94:95]
	v_fma_f64 v[92:93], v[114:115], v[116:117], v[92:93]
	v_fma_f64 v[116:117], -v[102:103], v[118:119], v[96:97]
	v_fma_f64 v[136:137], v[100:101], v[118:119], v[98:99]
	v_fma_f64 v[106:107], -v[106:107], v[118:119], v[86:87]
	v_fma_f64 v[104:105], v[104:105], v[118:119], v[84:85]
	v_fma_f64 v[110:111], -v[110:111], v[118:119], v[90:91]
	v_fma_f64 v[108:109], v[108:109], v[118:119], v[88:89]
	v_fma_f64 v[114:115], -v[114:115], v[118:119], v[94:95]
	v_fma_f64 v[112:113], v[112:113], v[118:119], v[92:93]
	s_clause 0x3
	global_load_b128 v[84:87], v[48:49], off offset:6176
	global_load_b128 v[88:91], v[48:49], off offset:6240
	global_load_b128 v[92:95], v[48:49], off offset:6304
	global_load_b128 v[96:99], v[48:49], off offset:6368
	global_load_b128 v[100:103], v[140:141], off offset:32
	;; [unrolled: 23-line block ×3, first 2 shown]
	v_add_co_u32 v48, s3, 0x2000, v48
	s_wait_alu 0xf1ff
	v_add_co_ci_u32_e64 v49, null, 0, v49, s3
	s_wait_loadcnt 0x14
	v_fma_f64 v[32:33], v[34:35], v[56:57], v[112:113]
	v_fma_f64 v[112:113], v[36:37], v[56:57], v[116:117]
	v_fma_f64 v[116:117], v[38:39], v[56:57], v[118:119]
	v_fma_f64 v[118:119], v[40:41], v[56:57], v[136:137]
	v_fma_f64 v[110:111], v[42:43], v[56:57], v[110:111]
	v_fma_f64 v[108:109], v[44:45], v[56:57], v[108:109]
	v_fma_f64 v[114:115], v[52:53], v[56:57], v[114:115]
	v_fma_f64 v[30:31], v[54:55], v[56:57], v[30:31]
	v_fma_f64 v[32:33], -v[36:37], v[58:59], v[32:33]
	v_fma_f64 v[34:35], v[34:35], v[58:59], v[112:113]
	v_fma_f64 v[36:37], -v[40:41], v[58:59], v[116:117]
	v_fma_f64 v[38:39], v[38:39], v[58:59], v[118:119]
	v_fma_f64 v[40:41], -v[44:45], v[58:59], v[110:111]
	v_fma_f64 v[42:43], v[42:43], v[58:59], v[108:109]
	v_fma_f64 v[44:45], -v[54:55], v[58:59], v[114:115]
	v_fma_f64 v[30:31], v[52:53], v[58:59], v[30:31]
	s_wait_loadcnt 0xf
	v_fma_f64 v[32:33], v[120:121], v[60:61], v[32:33]
	v_fma_f64 v[34:35], v[122:123], v[60:61], v[34:35]
	v_fma_f64 v[36:37], v[124:125], v[60:61], v[36:37]
	v_fma_f64 v[38:39], v[126:127], v[60:61], v[38:39]
	v_fma_f64 v[40:41], v[128:129], v[60:61], v[40:41]
	v_fma_f64 v[42:43], v[130:131], v[60:61], v[42:43]
	v_fma_f64 v[44:45], v[132:133], v[60:61], v[44:45]
	v_fma_f64 v[30:31], v[134:135], v[60:61], v[30:31]
	v_fma_f64 v[32:33], -v[122:123], v[62:63], v[32:33]
	v_fma_f64 v[34:35], v[120:121], v[62:63], v[34:35]
	v_fma_f64 v[36:37], -v[126:127], v[62:63], v[36:37]
	v_fma_f64 v[38:39], v[124:125], v[62:63], v[38:39]
	v_fma_f64 v[40:41], -v[130:131], v[62:63], v[40:41]
	v_fma_f64 v[42:43], v[128:129], v[62:63], v[42:43]
	v_fma_f64 v[44:45], -v[134:135], v[62:63], v[44:45]
	v_fma_f64 v[30:31], v[132:133], v[62:63], v[30:31]
	;; [unrolled: 17-line block ×5, first 2 shown]
	s_wait_alu 0xfffe
	s_and_not1_b32 exec_lo, exec_lo, s10
	s_cbranch_execnz .LBB16_19
; %bb.20:
	s_or_b32 exec_lo, exec_lo, s10
.LBB16_21:
	s_wait_alu 0xfffe
	s_or_b32 exec_lo, exec_lo, s7
.LBB16_22:
	s_wait_alu 0xfffe
	s_or_b32 exec_lo, exec_lo, s6
	s_cbranch_execz .LBB16_24
	s_branch .LBB16_35
.LBB16_23:
                                        ; implicit-def: $vgpr34_vgpr35
                                        ; implicit-def: $vgpr38_vgpr39
                                        ; implicit-def: $vgpr32_vgpr33
                                        ; implicit-def: $vgpr30_vgpr31
                                        ; implicit-def: $vgpr40_vgpr41
                                        ; implicit-def: $vgpr42_vgpr43
                                        ; implicit-def: $vgpr44_vgpr45
                                        ; implicit-def: $vgpr36_vgpr37
.LBB16_24:
	v_mov_b32_e32 v34, 0
	v_mov_b32_e32 v32, 0
	;; [unrolled: 1-line block ×3, first 2 shown]
	v_dual_mov_b32 v44, 0 :: v_dual_mov_b32 v35, 0
	v_dual_mov_b32 v38, 0 :: v_dual_mov_b32 v33, 0
	;; [unrolled: 1-line block ×5, first 2 shown]
	v_mov_b32_e32 v31, 0
	v_mov_b32_e32 v43, 0
	;; [unrolled: 1-line block ×3, first 2 shown]
	s_and_saveexec_b32 s3, s2
	s_cbranch_execz .LBB16_34
; %bb.25:
	v_dual_mov_b32 v36, 0 :: v_dual_add_nc_u32 v9, v51, v0
	v_not_b32_e32 v10, v51
	v_dual_mov_b32 v37, 0 :: v_dual_mov_b32 v42, 0
	s_delay_alu instid0(VALU_DEP_3) | instskip(SKIP_2) | instid1(VALU_DEP_3)
	v_subrev_nc_u32_e32 v9, s12, v9
	v_dual_mov_b32 v43, 0 :: v_dual_mov_b32 v40, 0
	v_dual_mov_b32 v41, 0 :: v_dual_mov_b32 v30, 0
	v_dual_mov_b32 v44, 0 :: v_dual_add_nc_u32 v9, 8, v9
	v_dual_mov_b32 v31, 0 :: v_dual_mov_b32 v32, 0
	v_dual_mov_b32 v33, 0 :: v_dual_mov_b32 v38, 0
	s_delay_alu instid0(VALU_DEP_3) | instskip(SKIP_3) | instid1(VALU_DEP_3)
	v_max_i32_e32 v9, v9, v50
	v_dual_mov_b32 v39, 0 :: v_dual_mov_b32 v34, 0
	v_mov_b32_e32 v35, 0
	s_mov_b32 s2, exec_lo
	v_add3_u32 v9, s12, v9, v10
	s_delay_alu instid0(VALU_DEP_1) | instskip(NEXT) | instid1(VALU_DEP_1)
	v_sub_nc_u32_e32 v9, v9, v0
	v_dual_mov_b32 v45, 0 :: v_dual_and_b32 v10, 24, v9
	s_delay_alu instid0(VALU_DEP_1)
	v_cmpx_ne_u32_e32 24, v10
	s_cbranch_execz .LBB16_29
; %bb.26:
	v_lshrrev_b32_e32 v10, 3, v9
	v_mov_b32_e32 v34, 0
	v_mov_b32_e32 v38, 0
	;; [unrolled: 1-line block ×4, first 2 shown]
	v_dual_mov_b32 v35, 0 :: v_dual_add_nc_u32 v10, 1, v10
	v_mov_b32_e32 v40, 0
	v_mov_b32_e32 v42, 0
	;; [unrolled: 1-line block ×3, first 2 shown]
	s_delay_alu instid0(VALU_DEP_4)
	v_dual_mov_b32 v41, 0 :: v_dual_and_b32 v10, 3, v10
	v_dual_mov_b32 v36, 0 :: v_dual_mov_b32 v39, 0
	v_mov_b32_e32 v33, 0
	v_mov_b32_e32 v31, 0
	;; [unrolled: 1-line block ×5, first 2 shown]
	v_sub_nc_u32_e32 v10, 0, v10
	s_mov_b32 s6, 0
.LBB16_27:                              ; =>This Inner Loop Header: Depth=1
	v_ashrrev_i32_e32 v27, 31, v26
	s_delay_alu instid0(VALU_DEP_2) | instskip(SKIP_2) | instid1(VALU_DEP_2)
	v_add_co_u32 v10, s7, v10, 1
	s_wait_alu 0xfffe
	s_or_b32 s6, s7, s6
	v_lshlrev_b64_e32 v[11:12], 2, v[26:27]
	v_add_nc_u32_e32 v26, 8, v26
	s_delay_alu instid0(VALU_DEP_2) | instskip(SKIP_1) | instid1(VALU_DEP_3)
	v_add_co_u32 v11, vcc_lo, s8, v11
	s_wait_alu 0xfffd
	v_add_co_ci_u32_e64 v12, null, s9, v12, vcc_lo
	global_load_b32 v23, v[11:12], off
	s_clause 0x3
	global_load_b128 v[11:14], v[28:29], off offset:48
	global_load_b128 v[15:18], v[28:29], off offset:32
	;; [unrolled: 1-line block ×3, first 2 shown]
	global_load_b128 v[46:49], v[28:29], off
	s_wait_loadcnt 0x4
	v_subrev_nc_u32_e32 v23, s12, v23
	s_delay_alu instid0(VALU_DEP_1) | instskip(NEXT) | instid1(VALU_DEP_1)
	v_lshlrev_b32_e32 v23, 2, v23
	v_ashrrev_i32_e32 v24, 31, v23
	s_delay_alu instid0(VALU_DEP_1) | instskip(SKIP_1) | instid1(VALU_DEP_1)
	v_lshlrev_b64_e32 v[23:24], 4, v[23:24]
	s_wait_kmcnt 0x0
	v_add_co_u32 v23, vcc_lo, s4, v23
	s_wait_alu 0xfffd
	s_delay_alu instid0(VALU_DEP_2)
	v_add_co_ci_u32_e64 v24, null, s5, v24, vcc_lo
	s_clause 0x1
	global_load_b128 v[51:54], v[23:24], off
	global_load_b128 v[55:58], v[23:24], off offset:16
	s_clause 0x7
	global_load_b128 v[59:62], v[28:29], off offset:64
	global_load_b128 v[63:66], v[28:29], off offset:80
	;; [unrolled: 1-line block ×8, first 2 shown]
	s_clause 0x1
	global_load_b128 v[91:94], v[23:24], off offset:32
	global_load_b128 v[95:98], v[23:24], off offset:48
	s_clause 0x3
	global_load_b128 v[99:102], v[28:29], off offset:192
	global_load_b128 v[103:106], v[28:29], off offset:208
	;; [unrolled: 1-line block ×4, first 2 shown]
	v_add_co_u32 v28, vcc_lo, 0x800, v28
	s_wait_alu 0xfffd
	v_add_co_ci_u32_e64 v29, null, 0, v29, vcc_lo
	s_wait_loadcnt 0xf
	v_fma_f64 v[23:24], v[46:47], v[51:52], v[38:39]
	v_fma_f64 v[34:35], v[48:49], v[51:52], v[34:35]
	v_fma_f64 v[38:39], v[19:20], v[51:52], v[44:45]
	v_fma_f64 v[36:37], v[21:22], v[51:52], v[36:37]
	v_fma_f64 v[40:41], v[15:16], v[51:52], v[40:41]
	v_fma_f64 v[42:43], v[17:18], v[51:52], v[42:43]
	v_fma_f64 v[32:33], v[11:12], v[51:52], v[32:33]
	v_fma_f64 v[30:31], v[13:14], v[51:52], v[30:31]
	v_fma_f64 v[23:24], -v[48:49], v[53:54], v[23:24]
	v_fma_f64 v[34:35], v[46:47], v[53:54], v[34:35]
	v_fma_f64 v[21:22], -v[21:22], v[53:54], v[38:39]
	v_fma_f64 v[19:20], v[19:20], v[53:54], v[36:37]
	;; [unrolled: 2-line block ×4, first 2 shown]
	s_wait_loadcnt 0xd
	v_fma_f64 v[23:24], v[59:60], v[55:56], v[23:24]
	v_fma_f64 v[30:31], v[61:62], v[55:56], v[34:35]
	s_wait_loadcnt 0xc
	v_fma_f64 v[21:22], v[63:64], v[55:56], v[21:22]
	v_fma_f64 v[19:20], v[65:66], v[55:56], v[19:20]
	;; [unrolled: 3-line block ×4, first 2 shown]
	v_fma_f64 v[23:24], -v[61:62], v[57:58], v[23:24]
	v_fma_f64 v[30:31], v[59:60], v[57:58], v[30:31]
	v_fma_f64 v[21:22], -v[65:66], v[57:58], v[21:22]
	v_fma_f64 v[19:20], v[63:64], v[57:58], v[19:20]
	;; [unrolled: 2-line block ×4, first 2 shown]
	s_wait_loadcnt 0x5
	v_fma_f64 v[23:24], v[87:88], v[91:92], v[23:24]
	v_fma_f64 v[30:31], v[89:90], v[91:92], v[30:31]
	;; [unrolled: 1-line block ×8, first 2 shown]
	v_fma_f64 v[23:24], -v[89:90], v[93:94], v[23:24]
	v_fma_f64 v[30:31], v[87:88], v[93:94], v[30:31]
	v_fma_f64 v[21:22], -v[85:86], v[93:94], v[21:22]
	v_fma_f64 v[19:20], v[83:84], v[93:94], v[19:20]
	;; [unrolled: 2-line block ×4, first 2 shown]
	s_wait_loadcnt 0x3
	v_fma_f64 v[23:24], v[99:100], v[95:96], v[23:24]
	v_fma_f64 v[30:31], v[101:102], v[95:96], v[30:31]
	s_wait_loadcnt 0x2
	v_fma_f64 v[21:22], v[103:104], v[95:96], v[21:22]
	v_fma_f64 v[19:20], v[105:106], v[95:96], v[19:20]
	;; [unrolled: 3-line block ×4, first 2 shown]
	v_fma_f64 v[38:39], -v[101:102], v[97:98], v[23:24]
	v_fma_f64 v[34:35], v[99:100], v[97:98], v[30:31]
	v_fma_f64 v[44:45], -v[105:106], v[97:98], v[21:22]
	v_fma_f64 v[36:37], v[103:104], v[97:98], v[19:20]
	;; [unrolled: 2-line block ×4, first 2 shown]
	s_wait_alu 0xfffe
	s_and_not1_b32 exec_lo, exec_lo, s6
	s_cbranch_execnz .LBB16_27
; %bb.28:
	s_or_b32 exec_lo, exec_lo, s6
.LBB16_29:
	s_wait_alu 0xfffe
	s_or_b32 exec_lo, exec_lo, s2
	s_delay_alu instid0(SALU_CYCLE_1)
	s_mov_b32 s6, exec_lo
	v_cmpx_lt_u32_e32 23, v9
	s_cbranch_execz .LBB16_33
; %bb.30:
	s_mov_b32 s7, 0
.LBB16_31:                              ; =>This Inner Loop Header: Depth=1
	v_ashrrev_i32_e32 v27, 31, v26
	s_delay_alu instid0(VALU_DEP_1) | instskip(SKIP_1) | instid1(VALU_DEP_2)
	v_lshlrev_b64_e32 v[9:10], 2, v[26:27]
	v_add_nc_u32_e32 v26, 32, v26
	v_add_co_u32 v46, vcc_lo, s8, v9
	s_wait_alu 0xfffd
	s_delay_alu instid0(VALU_DEP_3)
	v_add_co_ci_u32_e64 v47, null, s9, v10, vcc_lo
	global_load_b32 v27, v[46:47], off
	s_clause 0x3
	global_load_b128 v[9:12], v[28:29], off offset:48
	global_load_b128 v[13:16], v[28:29], off offset:32
	;; [unrolled: 1-line block ×3, first 2 shown]
	global_load_b128 v[21:24], v[28:29], off
	s_clause 0x2
	global_load_b32 v127, v[46:47], off offset:32
	global_load_b32 v145, v[46:47], off offset:64
	;; [unrolled: 1-line block ×3, first 2 shown]
	s_wait_loadcnt 0x7
	v_subrev_nc_u32_e32 v27, s12, v27
	s_delay_alu instid0(VALU_DEP_1) | instskip(SKIP_2) | instid1(VALU_DEP_2)
	v_lshlrev_b32_e32 v46, 2, v27
	s_wait_loadcnt 0x2
	v_subrev_nc_u32_e32 v27, s12, v127
	v_ashrrev_i32_e32 v47, 31, v46
	s_delay_alu instid0(VALU_DEP_2) | instskip(SKIP_2) | instid1(VALU_DEP_3)
	v_lshlrev_b32_e32 v127, 2, v27
	s_wait_loadcnt 0x1
	v_subrev_nc_u32_e32 v27, s12, v145
	v_lshlrev_b64_e32 v[46:47], 4, v[46:47]
	s_delay_alu instid0(VALU_DEP_3) | instskip(NEXT) | instid1(VALU_DEP_3)
	v_ashrrev_i32_e32 v128, 31, v127
	v_lshlrev_b32_e32 v145, 2, v27
	s_wait_loadcnt 0x0
	v_subrev_nc_u32_e32 v27, s12, v147
	s_delay_alu instid0(VALU_DEP_3)
	v_lshlrev_b64_e32 v[127:128], 4, v[127:128]
	s_wait_kmcnt 0x0
	v_add_co_u32 v107, vcc_lo, s4, v46
	s_wait_alu 0xfffd
	v_add_co_ci_u32_e64 v108, null, s5, v47, vcc_lo
	v_ashrrev_i32_e32 v146, 31, v145
	v_add_co_u32 v131, vcc_lo, s4, v127
	global_load_b128 v[46:49], v[107:108], off
	s_clause 0x3
	global_load_b128 v[51:54], v[28:29], off offset:112
	global_load_b128 v[55:58], v[28:29], off offset:96
	global_load_b128 v[59:62], v[28:29], off offset:80
	global_load_b128 v[63:66], v[28:29], off offset:64
	global_load_b128 v[67:70], v[107:108], off offset:16
	s_clause 0x3
	global_load_b128 v[71:74], v[28:29], off offset:176
	global_load_b128 v[75:78], v[28:29], off offset:160
	global_load_b128 v[79:82], v[28:29], off offset:144
	global_load_b128 v[83:86], v[28:29], off offset:128
	global_load_b128 v[87:90], v[107:108], off offset:32
	;; [unrolled: 6-line block ×3, first 2 shown]
	s_clause 0x3
	global_load_b128 v[111:114], v[28:29], off offset:2096
	global_load_b128 v[115:118], v[28:29], off offset:2080
	;; [unrolled: 1-line block ×4, first 2 shown]
	s_wait_alu 0xfffd
	v_add_co_ci_u32_e64 v132, null, s5, v128, vcc_lo
	global_load_b128 v[127:130], v[131:132], off
	s_wait_loadcnt 0x14
	v_fma_f64 v[38:39], v[21:22], v[46:47], v[38:39]
	v_fma_f64 v[34:35], v[23:24], v[46:47], v[34:35]
	v_fma_f64 v[44:45], v[17:18], v[46:47], v[44:45]
	v_fma_f64 v[36:37], v[19:20], v[46:47], v[36:37]
	v_fma_f64 v[40:41], v[13:14], v[46:47], v[40:41]
	v_fma_f64 v[42:43], v[15:16], v[46:47], v[42:43]
	v_fma_f64 v[32:33], v[9:10], v[46:47], v[32:33]
	v_fma_f64 v[30:31], v[11:12], v[46:47], v[30:31]
	v_fma_f64 v[38:39], -v[23:24], v[48:49], v[38:39]
	v_fma_f64 v[34:35], v[21:22], v[48:49], v[34:35]
	v_fma_f64 v[44:45], -v[19:20], v[48:49], v[44:45]
	v_fma_f64 v[36:37], v[17:18], v[48:49], v[36:37]
	v_fma_f64 v[40:41], -v[15:16], v[48:49], v[40:41]
	v_fma_f64 v[42:43], v[13:14], v[48:49], v[42:43]
	v_fma_f64 v[46:47], -v[11:12], v[48:49], v[32:33]
	v_fma_f64 v[48:49], v[9:10], v[48:49], v[30:31]
	s_clause 0x3
	global_load_b128 v[9:12], v[28:29], off offset:2160
	global_load_b128 v[13:16], v[28:29], off offset:2144
	global_load_b128 v[17:20], v[28:29], off offset:2128
	global_load_b128 v[21:24], v[28:29], off offset:2112
	global_load_b128 v[30:33], v[131:132], off offset:16
	s_wait_loadcnt 0x14
	v_fma_f64 v[38:39], v[63:64], v[67:68], v[38:39]
	v_fma_f64 v[34:35], v[65:66], v[67:68], v[34:35]
	v_fma_f64 v[44:45], v[59:60], v[67:68], v[44:45]
	v_fma_f64 v[36:37], v[61:62], v[67:68], v[36:37]
	v_fma_f64 v[40:41], v[55:56], v[67:68], v[40:41]
	v_fma_f64 v[42:43], v[57:58], v[67:68], v[42:43]
	v_fma_f64 v[46:47], v[51:52], v[67:68], v[46:47]
	v_fma_f64 v[48:49], v[53:54], v[67:68], v[48:49]
	v_fma_f64 v[65:66], -v[65:66], v[69:70], v[38:39]
	v_fma_f64 v[63:64], v[63:64], v[69:70], v[34:35]
	v_fma_f64 v[61:62], -v[61:62], v[69:70], v[44:45]
	v_fma_f64 v[59:60], v[59:60], v[69:70], v[36:37]
	v_fma_f64 v[57:58], -v[57:58], v[69:70], v[40:41]
	v_fma_f64 v[55:56], v[55:56], v[69:70], v[42:43]
	v_fma_f64 v[67:68], -v[53:54], v[69:70], v[46:47]
	v_fma_f64 v[69:70], v[51:52], v[69:70], v[48:49]
	s_clause 0x3
	global_load_b128 v[34:37], v[28:29], off offset:2224
	global_load_b128 v[38:41], v[28:29], off offset:2208
	global_load_b128 v[42:45], v[28:29], off offset:2192
	global_load_b128 v[46:49], v[28:29], off offset:2176
	global_load_b128 v[51:54], v[131:132], off offset:32
	;; [unrolled: 23-line block ×3, first 2 shown]
	s_wait_loadcnt 0x14
	v_fma_f64 v[131:132], v[103:104], v[107:108], v[85:86]
	v_fma_f64 v[133:134], v[105:106], v[107:108], v[83:84]
	v_fma_f64 v[135:136], v[99:100], v[107:108], v[81:82]
	v_fma_f64 v[137:138], v[101:102], v[107:108], v[79:80]
	v_fma_f64 v[139:140], v[95:96], v[107:108], v[77:78]
	v_fma_f64 v[141:142], v[97:98], v[107:108], v[75:76]
	v_fma_f64 v[143:144], v[91:92], v[107:108], v[87:88]
	v_fma_f64 v[107:108], v[93:94], v[107:108], v[89:90]
	s_clause 0x3
	global_load_b128 v[75:78], v[28:29], off offset:4144
	global_load_b128 v[79:82], v[28:29], off offset:4128
	;; [unrolled: 1-line block ×4, first 2 shown]
	v_fma_f64 v[105:106], -v[105:106], v[109:110], v[131:132]
	v_fma_f64 v[103:104], v[103:104], v[109:110], v[133:134]
	v_fma_f64 v[101:102], -v[101:102], v[109:110], v[135:136]
	v_fma_f64 v[99:100], v[99:100], v[109:110], v[137:138]
	;; [unrolled: 2-line block ×4, first 2 shown]
	v_lshlrev_b64_e32 v[91:92], 4, v[145:146]
	v_lshlrev_b32_e32 v145, 2, v27
	s_delay_alu instid0(VALU_DEP_2) | instskip(SKIP_1) | instid1(VALU_DEP_3)
	v_add_co_u32 v133, vcc_lo, s4, v91
	s_wait_alu 0xfffd
	v_add_co_ci_u32_e64 v134, null, s5, v92, vcc_lo
	s_delay_alu instid0(VALU_DEP_3)
	v_ashrrev_i32_e32 v146, 31, v145
	global_load_b128 v[91:94], v[133:134], off
	s_wait_loadcnt 0x14
	v_fma_f64 v[105:106], v[123:124], v[127:128], v[105:106]
	v_fma_f64 v[103:104], v[125:126], v[127:128], v[103:104]
	v_fma_f64 v[101:102], v[119:120], v[127:128], v[101:102]
	v_fma_f64 v[99:100], v[121:122], v[127:128], v[99:100]
	v_fma_f64 v[97:98], v[115:116], v[127:128], v[97:98]
	v_fma_f64 v[95:96], v[117:118], v[127:128], v[95:96]
	v_fma_f64 v[109:110], v[111:112], v[127:128], v[131:132]
	v_fma_f64 v[107:108], v[113:114], v[127:128], v[107:108]
	v_fma_f64 v[125:126], -v[125:126], v[129:130], v[105:106]
	v_fma_f64 v[123:124], v[123:124], v[129:130], v[103:104]
	v_fma_f64 v[121:122], -v[121:122], v[129:130], v[101:102]
	v_fma_f64 v[119:120], v[119:120], v[129:130], v[99:100]
	v_fma_f64 v[117:118], -v[117:118], v[129:130], v[97:98]
	v_fma_f64 v[115:116], v[115:116], v[129:130], v[95:96]
	v_fma_f64 v[127:128], -v[113:114], v[129:130], v[109:110]
	v_fma_f64 v[129:130], v[111:112], v[129:130], v[107:108]
	s_clause 0x3
	global_load_b128 v[95:98], v[28:29], off offset:4208
	global_load_b128 v[99:102], v[28:29], off offset:4192
	global_load_b128 v[103:106], v[28:29], off offset:4176
	global_load_b128 v[107:110], v[28:29], off offset:4160
	global_load_b128 v[111:114], v[133:134], off offset:16
	s_wait_loadcnt 0x14
	v_fma_f64 v[125:126], v[21:22], v[30:31], v[125:126]
	v_fma_f64 v[123:124], v[23:24], v[30:31], v[123:124]
	v_fma_f64 v[121:122], v[17:18], v[30:31], v[121:122]
	v_fma_f64 v[119:120], v[19:20], v[30:31], v[119:120]
	v_fma_f64 v[117:118], v[13:14], v[30:31], v[117:118]
	v_fma_f64 v[115:116], v[15:16], v[30:31], v[115:116]
	v_fma_f64 v[127:128], v[9:10], v[30:31], v[127:128]
	v_fma_f64 v[30:31], v[11:12], v[30:31], v[129:130]
	v_fma_f64 v[125:126], -v[23:24], v[32:33], v[125:126]
	v_fma_f64 v[123:124], v[21:22], v[32:33], v[123:124]
	v_fma_f64 v[121:122], -v[19:20], v[32:33], v[121:122]
	v_fma_f64 v[119:120], v[17:18], v[32:33], v[119:120]
	v_fma_f64 v[117:118], -v[15:16], v[32:33], v[117:118]
	v_fma_f64 v[115:116], v[13:14], v[32:33], v[115:116]
	v_fma_f64 v[127:128], -v[11:12], v[32:33], v[127:128]
	v_fma_f64 v[129:130], v[9:10], v[32:33], v[30:31]
	s_clause 0x3
	global_load_b128 v[9:12], v[28:29], off offset:4272
	global_load_b128 v[13:16], v[28:29], off offset:4256
	global_load_b128 v[17:20], v[28:29], off offset:4240
	global_load_b128 v[21:24], v[28:29], off offset:4224
	global_load_b128 v[30:33], v[133:134], off offset:32
	;; [unrolled: 23-line block ×3, first 2 shown]
	s_wait_loadcnt 0x14
	v_fma_f64 v[131:132], v[67:68], v[71:72], v[125:126]
	v_fma_f64 v[133:134], v[69:70], v[71:72], v[123:124]
	;; [unrolled: 1-line block ×8, first 2 shown]
	s_clause 0x3
	global_load_b128 v[115:118], v[28:29], off offset:6192
	global_load_b128 v[119:122], v[28:29], off offset:6176
	;; [unrolled: 1-line block ×4, first 2 shown]
	v_fma_f64 v[69:70], -v[69:70], v[73:74], v[131:132]
	v_fma_f64 v[67:68], v[67:68], v[73:74], v[133:134]
	v_fma_f64 v[65:66], -v[65:66], v[73:74], v[135:136]
	v_fma_f64 v[63:64], v[63:64], v[73:74], v[137:138]
	;; [unrolled: 2-line block ×4, first 2 shown]
	v_lshlrev_b64_e32 v[55:56], 4, v[145:146]
	s_delay_alu instid0(VALU_DEP_1) | instskip(SKIP_1) | instid1(VALU_DEP_2)
	v_add_co_u32 v137, vcc_lo, s4, v55
	s_wait_alu 0xfffd
	v_add_co_ci_u32_e64 v138, null, s5, v56, vcc_lo
	s_clause 0x1
	global_load_b128 v[55:58], v[137:138], off
	global_load_b128 v[59:62], v[137:138], off offset:16
	v_cmp_ge_i32_e32 vcc_lo, v26, v50
	s_wait_alu 0xfffe
	s_or_b32 s7, vcc_lo, s7
	s_wait_loadcnt 0x15
	v_fma_f64 v[69:70], v[87:88], v[91:92], v[69:70]
	v_fma_f64 v[67:68], v[89:90], v[91:92], v[67:68]
	;; [unrolled: 1-line block ×8, first 2 shown]
	v_fma_f64 v[89:90], -v[89:90], v[93:94], v[69:70]
	v_fma_f64 v[87:88], v[87:88], v[93:94], v[67:68]
	v_fma_f64 v[85:86], -v[85:86], v[93:94], v[65:66]
	v_fma_f64 v[83:84], v[83:84], v[93:94], v[63:64]
	;; [unrolled: 2-line block ×4, first 2 shown]
	s_clause 0x3
	global_load_b128 v[63:66], v[28:29], off offset:6208
	global_load_b128 v[67:70], v[28:29], off offset:6224
	;; [unrolled: 1-line block ×4, first 2 shown]
	s_wait_loadcnt 0x14
	v_fma_f64 v[89:90], v[107:108], v[111:112], v[89:90]
	v_fma_f64 v[87:88], v[109:110], v[111:112], v[87:88]
	;; [unrolled: 1-line block ×8, first 2 shown]
	v_fma_f64 v[109:110], -v[109:110], v[113:114], v[89:90]
	v_fma_f64 v[107:108], v[107:108], v[113:114], v[87:88]
	v_fma_f64 v[105:106], -v[105:106], v[113:114], v[85:86]
	v_fma_f64 v[103:104], v[103:104], v[113:114], v[83:84]
	;; [unrolled: 2-line block ×4, first 2 shown]
	s_clause 0x3
	global_load_b128 v[79:82], v[28:29], off offset:6320
	global_load_b128 v[83:86], v[28:29], off offset:6304
	;; [unrolled: 1-line block ×4, first 2 shown]
	s_clause 0x1
	global_load_b128 v[95:98], v[137:138], off offset:32
	global_load_b128 v[99:102], v[137:138], off offset:48
	s_wait_loadcnt 0x15
	v_fma_f64 v[109:110], v[21:22], v[30:31], v[109:110]
	v_fma_f64 v[107:108], v[23:24], v[30:31], v[107:108]
	;; [unrolled: 1-line block ×8, first 2 shown]
	v_fma_f64 v[109:110], -v[23:24], v[32:33], v[109:110]
	v_fma_f64 v[107:108], v[21:22], v[32:33], v[107:108]
	v_fma_f64 v[105:106], -v[19:20], v[32:33], v[105:106]
	v_fma_f64 v[103:104], v[17:18], v[32:33], v[103:104]
	;; [unrolled: 2-line block ×4, first 2 shown]
	s_clause 0x3
	global_load_b128 v[9:12], v[28:29], off offset:6336
	global_load_b128 v[13:16], v[28:29], off offset:6352
	;; [unrolled: 1-line block ×4, first 2 shown]
	v_add_co_u32 v28, s2, 0x2000, v28
	s_wait_alu 0xf1ff
	v_add_co_ci_u32_e64 v29, null, 0, v29, s2
	s_wait_loadcnt 0x14
	v_fma_f64 v[32:33], v[46:47], v[51:52], v[109:110]
	v_fma_f64 v[107:108], v[48:49], v[51:52], v[107:108]
	v_fma_f64 v[105:106], v[42:43], v[51:52], v[105:106]
	v_fma_f64 v[103:104], v[44:45], v[51:52], v[103:104]
	v_fma_f64 v[109:110], v[38:39], v[51:52], v[111:112]
	v_fma_f64 v[111:112], v[40:41], v[51:52], v[113:114]
	v_fma_f64 v[113:114], v[34:35], v[51:52], v[131:132]
	v_fma_f64 v[30:31], v[36:37], v[51:52], v[30:31]
	v_fma_f64 v[32:33], -v[48:49], v[53:54], v[32:33]
	v_fma_f64 v[46:47], v[46:47], v[53:54], v[107:108]
	v_fma_f64 v[44:45], -v[44:45], v[53:54], v[105:106]
	v_fma_f64 v[42:43], v[42:43], v[53:54], v[103:104]
	;; [unrolled: 2-line block ×4, first 2 shown]
	s_wait_loadcnt 0xf
	v_fma_f64 v[32:33], v[127:128], v[55:56], v[32:33]
	v_fma_f64 v[34:35], v[129:130], v[55:56], v[46:47]
	;; [unrolled: 1-line block ×8, first 2 shown]
	v_fma_f64 v[32:33], -v[129:130], v[57:58], v[32:33]
	v_fma_f64 v[34:35], v[127:128], v[57:58], v[34:35]
	v_fma_f64 v[44:45], -v[125:126], v[57:58], v[44:45]
	v_fma_f64 v[42:43], v[123:124], v[57:58], v[42:43]
	;; [unrolled: 2-line block ×4, first 2 shown]
	s_wait_loadcnt 0xd
	v_fma_f64 v[32:33], v[63:64], v[59:60], v[32:33]
	v_fma_f64 v[34:35], v[65:66], v[59:60], v[34:35]
	s_wait_loadcnt 0xc
	v_fma_f64 v[44:45], v[67:68], v[59:60], v[44:45]
	v_fma_f64 v[42:43], v[69:70], v[59:60], v[42:43]
	;; [unrolled: 3-line block ×4, first 2 shown]
	v_fma_f64 v[32:33], -v[65:66], v[61:62], v[32:33]
	v_fma_f64 v[34:35], v[63:64], v[61:62], v[34:35]
	v_fma_f64 v[44:45], -v[69:70], v[61:62], v[44:45]
	v_fma_f64 v[42:43], v[67:68], v[61:62], v[42:43]
	;; [unrolled: 2-line block ×4, first 2 shown]
	s_wait_loadcnt 0x5
	v_fma_f64 v[32:33], v[91:92], v[95:96], v[32:33]
	v_fma_f64 v[34:35], v[93:94], v[95:96], v[34:35]
	;; [unrolled: 1-line block ×8, first 2 shown]
	v_fma_f64 v[32:33], -v[93:94], v[97:98], v[32:33]
	v_fma_f64 v[34:35], v[91:92], v[97:98], v[34:35]
	v_fma_f64 v[44:45], -v[89:90], v[97:98], v[44:45]
	v_fma_f64 v[42:43], v[87:88], v[97:98], v[42:43]
	;; [unrolled: 2-line block ×4, first 2 shown]
	s_wait_loadcnt 0x3
	v_fma_f64 v[32:33], v[9:10], v[99:100], v[32:33]
	v_fma_f64 v[34:35], v[11:12], v[99:100], v[34:35]
	s_wait_loadcnt 0x2
	v_fma_f64 v[44:45], v[13:14], v[99:100], v[44:45]
	v_fma_f64 v[42:43], v[15:16], v[99:100], v[42:43]
	;; [unrolled: 3-line block ×4, first 2 shown]
	v_fma_f64 v[38:39], -v[11:12], v[101:102], v[32:33]
	v_fma_f64 v[34:35], v[9:10], v[101:102], v[34:35]
	v_fma_f64 v[44:45], -v[15:16], v[101:102], v[44:45]
	v_fma_f64 v[36:37], v[13:14], v[101:102], v[42:43]
	;; [unrolled: 2-line block ×4, first 2 shown]
	s_wait_alu 0xfffe
	s_and_not1_b32 exec_lo, exec_lo, s7
	s_cbranch_execnz .LBB16_31
; %bb.32:
	s_or_b32 exec_lo, exec_lo, s7
.LBB16_33:
	s_wait_alu 0xfffe
	s_or_b32 exec_lo, exec_lo, s6
.LBB16_34:
	s_wait_alu 0xfffe
	s_or_b32 exec_lo, exec_lo, s3
.LBB16_35:
	v_mbcnt_lo_u32_b32 v46, -1, 0
	s_delay_alu instid0(VALU_DEP_1) | instskip(NEXT) | instid1(VALU_DEP_1)
	v_xor_b32_e32 v9, 4, v46
	v_cmp_gt_i32_e32 vcc_lo, 32, v9
	s_wait_alu 0xfffd
	v_cndmask_b32_e32 v9, v46, v9, vcc_lo
	s_delay_alu instid0(VALU_DEP_1)
	v_lshlrev_b32_e32 v24, 2, v9
	ds_bpermute_b32 v9, v24, v38
	ds_bpermute_b32 v10, v24, v39
	;; [unrolled: 1-line block ×16, first 2 shown]
	s_wait_dscnt 0xe
	v_add_f64_e32 v[9:10], v[38:39], v[9:10]
	s_wait_dscnt 0xc
	v_add_f64_e32 v[11:12], v[34:35], v[11:12]
	;; [unrolled: 2-line block ×8, first 2 shown]
	v_xor_b32_e32 v23, 2, v46
	s_delay_alu instid0(VALU_DEP_1) | instskip(SKIP_2) | instid1(VALU_DEP_1)
	v_cmp_gt_i32_e32 vcc_lo, 32, v23
	s_wait_alu 0xfffd
	v_cndmask_b32_e32 v23, v46, v23, vcc_lo
	v_lshlrev_b32_e32 v41, 2, v23
	ds_bpermute_b32 v23, v41, v9
	ds_bpermute_b32 v24, v41, v10
	;; [unrolled: 1-line block ×16, first 2 shown]
	s_wait_dscnt 0xe
	v_add_f64_e32 v[9:10], v[9:10], v[23:24]
	s_wait_dscnt 0xc
	v_add_f64_e32 v[28:29], v[11:12], v[28:29]
	;; [unrolled: 2-line block ×7, first 2 shown]
	v_xor_b32_e32 v21, 1, v46
	s_wait_dscnt 0x0
	v_add_f64_e32 v[17:18], v[26:27], v[40:41]
	s_delay_alu instid0(VALU_DEP_2) | instskip(SKIP_3) | instid1(VALU_DEP_2)
	v_cmp_gt_i32_e32 vcc_lo, 32, v21
	s_wait_alu 0xfffd
	v_cndmask_b32_e32 v21, v46, v21, vcc_lo
	v_cmp_eq_u32_e32 vcc_lo, 7, v0
	v_lshlrev_b32_e32 v35, 2, v21
	ds_bpermute_b32 v21, v35, v9
	ds_bpermute_b32 v22, v35, v10
	;; [unrolled: 1-line block ×16, first 2 shown]
	s_and_b32 exec_lo, exec_lo, vcc_lo
	s_cbranch_execz .LBB16_8
; %bb.36:
	s_wait_dscnt 0xc
	v_add_f64_e32 v[28:29], v[28:29], v[40:41]
	s_wait_dscnt 0x8
	v_add_f64_e32 v[23:24], v[23:24], v[38:39]
	s_wait_dscnt 0x4
	v_add_f64_e32 v[19:20], v[19:20], v[36:37]
	s_wait_dscnt 0x0
	v_add_f64_e32 v[17:18], v[17:18], v[34:35]
	v_add_f64_e32 v[9:10], v[9:10], v[21:22]
	v_add_f64_e32 v[11:12], v[11:12], v[26:27]
	;; [unrolled: 1-line block ×4, first 2 shown]
	v_cmp_eq_f64_e32 vcc_lo, 0, v[1:2]
	v_cmp_eq_f64_e64 s2, 0, v[3:4]
	s_load_b64 s[0:1], s[0:1], 0x60
	v_mul_f64_e64 v[13:14], v[28:29], -v[7:8]
	v_mul_f64_e32 v[15:16], v[5:6], v[28:29]
	v_mul_f64_e64 v[28:29], v[23:24], -v[7:8]
	v_mul_f64_e32 v[23:24], v[5:6], v[23:24]
	;; [unrolled: 2-line block ×4, first 2 shown]
	s_and_b32 s2, vcc_lo, s2
	v_fma_f64 v[17:18], v[5:6], v[9:10], v[13:14]
	v_fma_f64 v[19:20], v[7:8], v[9:10], v[15:16]
	;; [unrolled: 1-line block ×8, first 2 shown]
	v_lshlrev_b32_e32 v21, 2, v25
	s_wait_alu 0xfffe
	s_and_saveexec_b32 s3, s2
	s_wait_alu 0xfffe
	s_xor_b32 s2, exec_lo, s3
	s_cbranch_execz .LBB16_38
; %bb.37:
	v_ashrrev_i32_e32 v22, 31, v21
	s_delay_alu instid0(VALU_DEP_1) | instskip(SKIP_1) | instid1(VALU_DEP_1)
	v_lshlrev_b64_e32 v[0:1], 4, v[21:22]
                                        ; implicit-def: $vgpr21
	s_wait_kmcnt 0x0
	v_add_co_u32 v0, vcc_lo, s0, v0
	s_wait_alu 0xfffd
	s_delay_alu instid0(VALU_DEP_2)
	v_add_co_ci_u32_e64 v1, null, s1, v1, vcc_lo
	s_clause 0x3
	global_store_b128 v[0:1], v[17:20], off
	global_store_b128 v[0:1], v[13:16], off offset:16
	global_store_b128 v[0:1], v[9:12], off offset:32
	;; [unrolled: 1-line block ×3, first 2 shown]
                                        ; implicit-def: $vgpr3_vgpr4
                                        ; implicit-def: $vgpr17_vgpr18
                                        ; implicit-def: $vgpr13_vgpr14
                                        ; implicit-def: $vgpr9_vgpr10
                                        ; implicit-def: $vgpr5_vgpr6
.LBB16_38:
	s_wait_alu 0xfffe
	s_and_not1_saveexec_b32 s2, s2
	s_cbranch_execz .LBB16_8
; %bb.39:
	v_ashrrev_i32_e32 v22, 31, v21
	s_delay_alu instid0(VALU_DEP_1) | instskip(SKIP_1) | instid1(VALU_DEP_1)
	v_lshlrev_b64_e32 v[21:22], 4, v[21:22]
	s_wait_kmcnt 0x0
	v_add_co_u32 v37, vcc_lo, s0, v21
	s_wait_alu 0xfffd
	s_delay_alu instid0(VALU_DEP_2)
	v_add_co_ci_u32_e64 v38, null, s1, v22, vcc_lo
	s_clause 0x3
	global_load_b128 v[21:24], v[37:38], off
	global_load_b128 v[25:28], v[37:38], off offset:16
	global_load_b128 v[29:32], v[37:38], off offset:32
	;; [unrolled: 1-line block ×3, first 2 shown]
	s_wait_loadcnt 0x3
	v_fma_f64 v[17:18], v[1:2], v[21:22], v[17:18]
	v_fma_f64 v[19:20], v[3:4], v[21:22], v[19:20]
	s_wait_loadcnt 0x2
	v_fma_f64 v[13:14], v[1:2], v[25:26], v[13:14]
	v_fma_f64 v[15:16], v[3:4], v[25:26], v[15:16]
	;; [unrolled: 3-line block ×4, first 2 shown]
	v_fma_f64 v[5:6], -v[3:4], v[23:24], v[17:18]
	v_fma_f64 v[7:8], v[1:2], v[23:24], v[19:20]
	v_fma_f64 v[9:10], -v[3:4], v[27:28], v[13:14]
	v_fma_f64 v[11:12], v[1:2], v[27:28], v[15:16]
	;; [unrolled: 2-line block ×4, first 2 shown]
	s_clause 0x3
	global_store_b128 v[37:38], v[5:8], off
	global_store_b128 v[37:38], v[9:12], off offset:16
	global_store_b128 v[37:38], v[13:16], off offset:32
	;; [unrolled: 1-line block ×3, first 2 shown]
	s_nop 0
	s_sendmsg sendmsg(MSG_DEALLOC_VGPRS)
	s_endpgm
	.section	.rodata,"a",@progbits
	.p2align	6, 0x0
	.amdhsa_kernel _ZN9rocsparseL18bsrxmvn_4x4_kernelILj128ELj8E21rocsparse_complex_numIdEiiS2_S2_S2_EEvT3_20rocsparse_direction_NS_24const_host_device_scalarIT1_EES3_PKS3_PKT2_SC_S9_PKT4_PKT5_S7_PT6_21rocsparse_index_base_b
		.amdhsa_group_segment_fixed_size 0
		.amdhsa_private_segment_fixed_size 0
		.amdhsa_kernarg_size 112
		.amdhsa_user_sgpr_count 2
		.amdhsa_user_sgpr_dispatch_ptr 0
		.amdhsa_user_sgpr_queue_ptr 0
		.amdhsa_user_sgpr_kernarg_segment_ptr 1
		.amdhsa_user_sgpr_dispatch_id 0
		.amdhsa_user_sgpr_private_segment_size 0
		.amdhsa_wavefront_size32 1
		.amdhsa_uses_dynamic_stack 0
		.amdhsa_enable_private_segment 0
		.amdhsa_system_sgpr_workgroup_id_x 1
		.amdhsa_system_sgpr_workgroup_id_y 0
		.amdhsa_system_sgpr_workgroup_id_z 0
		.amdhsa_system_sgpr_workgroup_info 0
		.amdhsa_system_vgpr_workitem_id 0
		.amdhsa_next_free_vgpr 153
		.amdhsa_next_free_sgpr 14
		.amdhsa_reserve_vcc 1
		.amdhsa_float_round_mode_32 0
		.amdhsa_float_round_mode_16_64 0
		.amdhsa_float_denorm_mode_32 3
		.amdhsa_float_denorm_mode_16_64 3
		.amdhsa_fp16_overflow 0
		.amdhsa_workgroup_processor_mode 1
		.amdhsa_memory_ordered 1
		.amdhsa_forward_progress 1
		.amdhsa_inst_pref_size 90
		.amdhsa_round_robin_scheduling 0
		.amdhsa_exception_fp_ieee_invalid_op 0
		.amdhsa_exception_fp_denorm_src 0
		.amdhsa_exception_fp_ieee_div_zero 0
		.amdhsa_exception_fp_ieee_overflow 0
		.amdhsa_exception_fp_ieee_underflow 0
		.amdhsa_exception_fp_ieee_inexact 0
		.amdhsa_exception_int_div_zero 0
	.end_amdhsa_kernel
	.section	.text._ZN9rocsparseL18bsrxmvn_4x4_kernelILj128ELj8E21rocsparse_complex_numIdEiiS2_S2_S2_EEvT3_20rocsparse_direction_NS_24const_host_device_scalarIT1_EES3_PKS3_PKT2_SC_S9_PKT4_PKT5_S7_PT6_21rocsparse_index_base_b,"axG",@progbits,_ZN9rocsparseL18bsrxmvn_4x4_kernelILj128ELj8E21rocsparse_complex_numIdEiiS2_S2_S2_EEvT3_20rocsparse_direction_NS_24const_host_device_scalarIT1_EES3_PKS3_PKT2_SC_S9_PKT4_PKT5_S7_PT6_21rocsparse_index_base_b,comdat
.Lfunc_end16:
	.size	_ZN9rocsparseL18bsrxmvn_4x4_kernelILj128ELj8E21rocsparse_complex_numIdEiiS2_S2_S2_EEvT3_20rocsparse_direction_NS_24const_host_device_scalarIT1_EES3_PKS3_PKT2_SC_S9_PKT4_PKT5_S7_PT6_21rocsparse_index_base_b, .Lfunc_end16-_ZN9rocsparseL18bsrxmvn_4x4_kernelILj128ELj8E21rocsparse_complex_numIdEiiS2_S2_S2_EEvT3_20rocsparse_direction_NS_24const_host_device_scalarIT1_EES3_PKS3_PKT2_SC_S9_PKT4_PKT5_S7_PT6_21rocsparse_index_base_b
                                        ; -- End function
	.set _ZN9rocsparseL18bsrxmvn_4x4_kernelILj128ELj8E21rocsparse_complex_numIdEiiS2_S2_S2_EEvT3_20rocsparse_direction_NS_24const_host_device_scalarIT1_EES3_PKS3_PKT2_SC_S9_PKT4_PKT5_S7_PT6_21rocsparse_index_base_b.num_vgpr, 153
	.set _ZN9rocsparseL18bsrxmvn_4x4_kernelILj128ELj8E21rocsparse_complex_numIdEiiS2_S2_S2_EEvT3_20rocsparse_direction_NS_24const_host_device_scalarIT1_EES3_PKS3_PKT2_SC_S9_PKT4_PKT5_S7_PT6_21rocsparse_index_base_b.num_agpr, 0
	.set _ZN9rocsparseL18bsrxmvn_4x4_kernelILj128ELj8E21rocsparse_complex_numIdEiiS2_S2_S2_EEvT3_20rocsparse_direction_NS_24const_host_device_scalarIT1_EES3_PKS3_PKT2_SC_S9_PKT4_PKT5_S7_PT6_21rocsparse_index_base_b.numbered_sgpr, 14
	.set _ZN9rocsparseL18bsrxmvn_4x4_kernelILj128ELj8E21rocsparse_complex_numIdEiiS2_S2_S2_EEvT3_20rocsparse_direction_NS_24const_host_device_scalarIT1_EES3_PKS3_PKT2_SC_S9_PKT4_PKT5_S7_PT6_21rocsparse_index_base_b.num_named_barrier, 0
	.set _ZN9rocsparseL18bsrxmvn_4x4_kernelILj128ELj8E21rocsparse_complex_numIdEiiS2_S2_S2_EEvT3_20rocsparse_direction_NS_24const_host_device_scalarIT1_EES3_PKS3_PKT2_SC_S9_PKT4_PKT5_S7_PT6_21rocsparse_index_base_b.private_seg_size, 0
	.set _ZN9rocsparseL18bsrxmvn_4x4_kernelILj128ELj8E21rocsparse_complex_numIdEiiS2_S2_S2_EEvT3_20rocsparse_direction_NS_24const_host_device_scalarIT1_EES3_PKS3_PKT2_SC_S9_PKT4_PKT5_S7_PT6_21rocsparse_index_base_b.uses_vcc, 1
	.set _ZN9rocsparseL18bsrxmvn_4x4_kernelILj128ELj8E21rocsparse_complex_numIdEiiS2_S2_S2_EEvT3_20rocsparse_direction_NS_24const_host_device_scalarIT1_EES3_PKS3_PKT2_SC_S9_PKT4_PKT5_S7_PT6_21rocsparse_index_base_b.uses_flat_scratch, 0
	.set _ZN9rocsparseL18bsrxmvn_4x4_kernelILj128ELj8E21rocsparse_complex_numIdEiiS2_S2_S2_EEvT3_20rocsparse_direction_NS_24const_host_device_scalarIT1_EES3_PKS3_PKT2_SC_S9_PKT4_PKT5_S7_PT6_21rocsparse_index_base_b.has_dyn_sized_stack, 0
	.set _ZN9rocsparseL18bsrxmvn_4x4_kernelILj128ELj8E21rocsparse_complex_numIdEiiS2_S2_S2_EEvT3_20rocsparse_direction_NS_24const_host_device_scalarIT1_EES3_PKS3_PKT2_SC_S9_PKT4_PKT5_S7_PT6_21rocsparse_index_base_b.has_recursion, 0
	.set _ZN9rocsparseL18bsrxmvn_4x4_kernelILj128ELj8E21rocsparse_complex_numIdEiiS2_S2_S2_EEvT3_20rocsparse_direction_NS_24const_host_device_scalarIT1_EES3_PKS3_PKT2_SC_S9_PKT4_PKT5_S7_PT6_21rocsparse_index_base_b.has_indirect_call, 0
	.section	.AMDGPU.csdata,"",@progbits
; Kernel info:
; codeLenInByte = 11460
; TotalNumSgprs: 16
; NumVgprs: 153
; ScratchSize: 0
; MemoryBound: 1
; FloatMode: 240
; IeeeMode: 1
; LDSByteSize: 0 bytes/workgroup (compile time only)
; SGPRBlocks: 0
; VGPRBlocks: 19
; NumSGPRsForWavesPerEU: 16
; NumVGPRsForWavesPerEU: 153
; Occupancy: 9
; WaveLimiterHint : 1
; COMPUTE_PGM_RSRC2:SCRATCH_EN: 0
; COMPUTE_PGM_RSRC2:USER_SGPR: 2
; COMPUTE_PGM_RSRC2:TRAP_HANDLER: 0
; COMPUTE_PGM_RSRC2:TGID_X_EN: 1
; COMPUTE_PGM_RSRC2:TGID_Y_EN: 0
; COMPUTE_PGM_RSRC2:TGID_Z_EN: 0
; COMPUTE_PGM_RSRC2:TIDIG_COMP_CNT: 0
	.section	.text._ZN9rocsparseL18bsrxmvn_4x4_kernelILj128ELj16E21rocsparse_complex_numIdEiiS2_S2_S2_EEvT3_20rocsparse_direction_NS_24const_host_device_scalarIT1_EES3_PKS3_PKT2_SC_S9_PKT4_PKT5_S7_PT6_21rocsparse_index_base_b,"axG",@progbits,_ZN9rocsparseL18bsrxmvn_4x4_kernelILj128ELj16E21rocsparse_complex_numIdEiiS2_S2_S2_EEvT3_20rocsparse_direction_NS_24const_host_device_scalarIT1_EES3_PKS3_PKT2_SC_S9_PKT4_PKT5_S7_PT6_21rocsparse_index_base_b,comdat
	.globl	_ZN9rocsparseL18bsrxmvn_4x4_kernelILj128ELj16E21rocsparse_complex_numIdEiiS2_S2_S2_EEvT3_20rocsparse_direction_NS_24const_host_device_scalarIT1_EES3_PKS3_PKT2_SC_S9_PKT4_PKT5_S7_PT6_21rocsparse_index_base_b ; -- Begin function _ZN9rocsparseL18bsrxmvn_4x4_kernelILj128ELj16E21rocsparse_complex_numIdEiiS2_S2_S2_EEvT3_20rocsparse_direction_NS_24const_host_device_scalarIT1_EES3_PKS3_PKT2_SC_S9_PKT4_PKT5_S7_PT6_21rocsparse_index_base_b
	.p2align	8
	.type	_ZN9rocsparseL18bsrxmvn_4x4_kernelILj128ELj16E21rocsparse_complex_numIdEiiS2_S2_S2_EEvT3_20rocsparse_direction_NS_24const_host_device_scalarIT1_EES3_PKS3_PKT2_SC_S9_PKT4_PKT5_S7_PT6_21rocsparse_index_base_b,@function
_ZN9rocsparseL18bsrxmvn_4x4_kernelILj128ELj16E21rocsparse_complex_numIdEiiS2_S2_S2_EEvT3_20rocsparse_direction_NS_24const_host_device_scalarIT1_EES3_PKS3_PKT2_SC_S9_PKT4_PKT5_S7_PT6_21rocsparse_index_base_b: ; @_ZN9rocsparseL18bsrxmvn_4x4_kernelILj128ELj16E21rocsparse_complex_numIdEiiS2_S2_S2_EEvT3_20rocsparse_direction_NS_24const_host_device_scalarIT1_EES3_PKS3_PKT2_SC_S9_PKT4_PKT5_S7_PT6_21rocsparse_index_base_b
; %bb.0:
	s_clause 0x1
	s_load_b64 s[12:13], s[0:1], 0x68
	s_load_b64 s[2:3], s[0:1], 0x8
	s_add_nc_u64 s[4:5], s[0:1], 8
	s_load_b64 s[6:7], s[0:1], 0x50
	s_wait_kmcnt 0x0
	s_bitcmp1_b32 s13, 0
	s_cselect_b32 s2, s4, s2
	s_cselect_b32 s3, s5, s3
	s_delay_alu instid0(SALU_CYCLE_1)
	v_dual_mov_b32 v1, s2 :: v_dual_mov_b32 v2, s3
	s_add_nc_u64 s[2:3], s[0:1], 0x50
	s_wait_alu 0xfffe
	s_cselect_b32 s2, s2, s6
	s_cselect_b32 s3, s3, s7
	flat_load_b128 v[5:8], v[1:2]
	s_wait_alu 0xfffe
	v_dual_mov_b32 v1, s2 :: v_dual_mov_b32 v2, s3
	flat_load_b128 v[1:4], v[1:2]
	s_wait_loadcnt_dscnt 0x101
	v_cmp_eq_f64_e32 vcc_lo, 0, v[5:6]
	v_cmp_eq_f64_e64 s2, 0, v[7:8]
	s_and_b32 s4, vcc_lo, s2
	s_mov_b32 s2, -1
	s_and_saveexec_b32 s3, s4
	s_cbranch_execz .LBB17_2
; %bb.1:
	s_wait_loadcnt_dscnt 0x0
	v_cmp_neq_f64_e32 vcc_lo, 1.0, v[1:2]
	v_cmp_neq_f64_e64 s2, 0, v[3:4]
	s_wait_alu 0xfffe
	s_or_b32 s2, vcc_lo, s2
	s_wait_alu 0xfffe
	s_or_not1_b32 s2, s2, exec_lo
.LBB17_2:
	s_wait_alu 0xfffe
	s_or_b32 exec_lo, exec_lo, s3
	s_and_saveexec_b32 s3, s2
	s_cbranch_execz .LBB17_8
; %bb.3:
	s_clause 0x1
	s_load_b64 s[4:5], s[0:1], 0x20
	s_load_b64 s[2:3], s[0:1], 0x0
	v_lshrrev_b32_e32 v9, 4, v0
	s_delay_alu instid0(VALU_DEP_1)
	v_lshl_or_b32 v25, ttmp9, 3, v9
	s_wait_kmcnt 0x0
	s_cmp_lg_u64 s[4:5], 0
	s_cbranch_scc0 .LBB17_9
; %bb.4:
	s_load_b32 s6, s[0:1], 0x18
	s_mov_b32 s7, 0
                                        ; implicit-def: $vgpr9
	s_wait_kmcnt 0x0
	v_cmp_gt_i32_e32 vcc_lo, s6, v25
	s_mov_b32 s6, 0
	s_and_saveexec_b32 s8, vcc_lo
	s_delay_alu instid0(SALU_CYCLE_1)
	s_xor_b32 s8, exec_lo, s8
	s_cbranch_execz .LBB17_6
; %bb.5:
	v_ashrrev_i32_e32 v26, 31, v25
	s_mov_b32 s6, exec_lo
	s_delay_alu instid0(VALU_DEP_1) | instskip(NEXT) | instid1(VALU_DEP_1)
	v_lshlrev_b64_e32 v[9:10], 2, v[25:26]
	v_add_co_u32 v9, vcc_lo, s4, v9
	s_delay_alu instid0(VALU_DEP_1)
	v_add_co_ci_u32_e64 v10, null, s5, v10, vcc_lo
	global_load_b32 v9, v[9:10], off
	s_wait_loadcnt 0x0
	v_subrev_nc_u32_e32 v9, s12, v9
.LBB17_6:
	s_or_b32 exec_lo, exec_lo, s8
	s_delay_alu instid0(SALU_CYCLE_1)
	s_and_b32 vcc_lo, exec_lo, s7
	s_wait_alu 0xfffe
	s_cbranch_vccz .LBB17_10
.LBB17_7:
	v_cmp_gt_i32_e32 vcc_lo, s2, v25
	s_and_not1_b32 s2, s6, exec_lo
	s_and_b32 s4, vcc_lo, exec_lo
	s_wait_alu 0xfffe
	s_or_b32 s6, s2, s4
	s_wait_alu 0xfffe
	s_and_b32 exec_lo, exec_lo, s6
	s_cbranch_execnz .LBB17_11
.LBB17_8:
	s_nop 0
	s_sendmsg sendmsg(MSG_DEALLOC_VGPRS)
	s_endpgm
.LBB17_9:
	s_mov_b32 s6, 0
                                        ; implicit-def: $vgpr9
	s_cbranch_execnz .LBB17_7
.LBB17_10:
	v_mov_b32_e32 v25, v9
	s_and_b32 exec_lo, exec_lo, s6
	s_cbranch_execz .LBB17_8
.LBB17_11:
	s_load_b256 s[4:11], s[0:1], 0x28
	s_delay_alu instid0(VALU_DEP_1) | instskip(SKIP_1) | instid1(VALU_DEP_2)
	v_ashrrev_i32_e32 v26, 31, v25
	v_and_b32_e32 v0, 15, v0
	v_lshlrev_b64_e32 v[9:10], 2, v[25:26]
	s_wait_kmcnt 0x0
	s_delay_alu instid0(VALU_DEP_1) | instskip(SKIP_1) | instid1(VALU_DEP_2)
	v_add_co_u32 v11, vcc_lo, s4, v9
	s_wait_alu 0xfffd
	v_add_co_ci_u32_e64 v12, null, s5, v10, vcc_lo
	v_add_co_u32 v9, vcc_lo, s6, v9
	s_wait_alu 0xfffd
	v_add_co_ci_u32_e64 v10, null, s7, v10, vcc_lo
	global_load_b32 v51, v[11:12], off
	v_add_co_u32 v11, vcc_lo, v11, 4
	s_wait_alu 0xfffd
	v_add_co_ci_u32_e64 v12, null, 0, v12, vcc_lo
	s_cmp_eq_u64 s[6:7], 0
	s_load_b64 s[4:5], s[0:1], 0x48
	s_cselect_b32 vcc_lo, -1, 0
	s_cmp_eq_u32 s3, 1
	s_wait_alu 0xfffe
	v_dual_cndmask_b32 v10, v10, v12 :: v_dual_cndmask_b32 v9, v9, v11
	global_load_b32 v11, v[9:10], off
	s_wait_loadcnt 0x1
	v_subrev_nc_u32_e32 v9, s12, v51
	s_delay_alu instid0(VALU_DEP_1) | instskip(NEXT) | instid1(VALU_DEP_1)
	v_add_nc_u32_e32 v26, v9, v0
	v_ashrrev_i32_e32 v27, 31, v26
	s_wait_loadcnt 0x0
	v_subrev_nc_u32_e32 v50, s12, v11
	s_delay_alu instid0(VALU_DEP_2) | instskip(NEXT) | instid1(VALU_DEP_2)
	v_lshlrev_b64_e32 v[9:10], 8, v[26:27]
	v_cmp_lt_i32_e64 s2, v26, v50
	s_delay_alu instid0(VALU_DEP_2) | instskip(SKIP_1) | instid1(VALU_DEP_3)
	v_add_co_u32 v28, vcc_lo, s10, v9
	s_wait_alu 0xfffd
	v_add_co_ci_u32_e64 v29, null, s11, v10, vcc_lo
	s_cbranch_scc1 .LBB17_23
; %bb.12:
	v_mov_b32_e32 v34, 0
	v_mov_b32_e32 v32, 0
	;; [unrolled: 1-line block ×3, first 2 shown]
	v_dual_mov_b32 v44, 0 :: v_dual_mov_b32 v35, 0
	v_dual_mov_b32 v38, 0 :: v_dual_mov_b32 v33, 0
	;; [unrolled: 1-line block ×5, first 2 shown]
	v_mov_b32_e32 v31, 0
	v_mov_b32_e32 v43, 0
	;; [unrolled: 1-line block ×3, first 2 shown]
	s_and_saveexec_b32 s6, s2
	s_cbranch_execz .LBB17_22
; %bb.13:
	v_dual_mov_b32 v36, 0 :: v_dual_add_nc_u32 v9, v51, v0
	v_not_b32_e32 v10, v51
	v_dual_mov_b32 v37, 0 :: v_dual_mov_b32 v42, 0
	s_delay_alu instid0(VALU_DEP_3) | instskip(SKIP_2) | instid1(VALU_DEP_3)
	v_subrev_nc_u32_e32 v9, s12, v9
	v_dual_mov_b32 v43, 0 :: v_dual_mov_b32 v30, 0
	v_dual_mov_b32 v31, 0 :: v_dual_mov_b32 v32, 0
	v_dual_mov_b32 v44, 0 :: v_dual_add_nc_u32 v9, 16, v9
	v_dual_mov_b32 v33, 0 :: v_dual_mov_b32 v38, 0
	v_dual_mov_b32 v45, 0 :: v_dual_mov_b32 v40, 0
	s_delay_alu instid0(VALU_DEP_3) | instskip(SKIP_2) | instid1(VALU_DEP_3)
	v_max_i32_e32 v9, v9, v50
	v_dual_mov_b32 v39, 0 :: v_dual_mov_b32 v34, 0
	v_dual_mov_b32 v49, v29 :: v_dual_mov_b32 v46, v26
	v_add3_u32 v9, s12, v9, v10
	v_dual_mov_b32 v35, 0 :: v_dual_mov_b32 v48, v28
	s_mov_b32 s3, exec_lo
	s_delay_alu instid0(VALU_DEP_2) | instskip(NEXT) | instid1(VALU_DEP_1)
	v_sub_nc_u32_e32 v9, v9, v0
	v_dual_mov_b32 v41, 0 :: v_dual_and_b32 v10, 48, v9
	s_delay_alu instid0(VALU_DEP_1)
	v_cmpx_ne_u32_e32 48, v10
	s_cbranch_execz .LBB17_17
; %bb.14:
	v_lshrrev_b32_e32 v10, 4, v9
	v_mov_b32_e32 v34, 0
	v_dual_mov_b32 v35, 0 :: v_dual_mov_b32 v38, 0
	v_mov_b32_e32 v32, 0
	s_delay_alu instid0(VALU_DEP_4) | instskip(SKIP_3) | instid1(VALU_DEP_4)
	v_add_nc_u32_e32 v10, 1, v10
	v_mov_b32_e32 v30, 0
	v_mov_b32_e32 v40, 0
	v_dual_mov_b32 v42, 0 :: v_dual_mov_b32 v49, v29
	v_and_b32_e32 v10, 3, v10
	v_mov_b32_e32 v44, 0
	v_mov_b32_e32 v36, 0
	v_dual_mov_b32 v46, v26 :: v_dual_mov_b32 v33, 0
	v_mov_b32_e32 v39, 0
	v_mov_b32_e32 v31, 0
	;; [unrolled: 1-line block ×6, first 2 shown]
	v_sub_nc_u32_e32 v10, 0, v10
	v_mov_b32_e32 v48, v28
	s_mov_b32 s7, 0
.LBB17_15:                              ; =>This Inner Loop Header: Depth=1
	v_ashrrev_i32_e32 v47, 31, v46
	s_delay_alu instid0(VALU_DEP_3) | instskip(SKIP_2) | instid1(VALU_DEP_2)
	v_add_co_u32 v10, s10, v10, 1
	s_wait_alu 0xfffe
	s_or_b32 s7, s10, s7
	v_lshlrev_b64_e32 v[11:12], 2, v[46:47]
	v_add_nc_u32_e32 v46, 16, v46
	s_delay_alu instid0(VALU_DEP_2) | instskip(SKIP_1) | instid1(VALU_DEP_3)
	v_add_co_u32 v11, vcc_lo, s8, v11
	s_wait_alu 0xfffd
	v_add_co_ci_u32_e64 v12, null, s9, v12, vcc_lo
	global_load_b32 v23, v[11:12], off
	s_clause 0x7
	global_load_b128 v[11:14], v[48:49], off offset:16
	global_load_b128 v[15:18], v[48:49], off
	global_load_b128 v[19:22], v[48:49], off offset:80
	global_load_b128 v[52:55], v[48:49], off offset:64
	;; [unrolled: 1-line block ×6, first 2 shown]
	s_wait_loadcnt 0x8
	v_subrev_nc_u32_e32 v23, s12, v23
	s_delay_alu instid0(VALU_DEP_1) | instskip(NEXT) | instid1(VALU_DEP_1)
	v_lshlrev_b32_e32 v23, 2, v23
	v_ashrrev_i32_e32 v24, 31, v23
	s_delay_alu instid0(VALU_DEP_1) | instskip(SKIP_1) | instid1(VALU_DEP_1)
	v_lshlrev_b64_e32 v[23:24], 4, v[23:24]
	s_wait_kmcnt 0x0
	v_add_co_u32 v23, vcc_lo, s4, v23
	s_wait_alu 0xfffd
	s_delay_alu instid0(VALU_DEP_2)
	v_add_co_ci_u32_e64 v24, null, s5, v24, vcc_lo
	s_clause 0x1
	global_load_b128 v[72:75], v[23:24], off
	global_load_b128 v[76:79], v[23:24], off offset:16
	s_clause 0x7
	global_load_b128 v[80:83], v[48:49], off offset:48
	global_load_b128 v[84:87], v[48:49], off offset:32
	;; [unrolled: 1-line block ×8, first 2 shown]
	s_clause 0x1
	global_load_b128 v[112:115], v[23:24], off offset:32
	global_load_b128 v[116:119], v[23:24], off offset:48
	v_add_co_u32 v48, vcc_lo, 0x1000, v48
	s_wait_alu 0xfffd
	v_add_co_ci_u32_e64 v49, null, 0, v49, vcc_lo
	s_wait_loadcnt 0xb
	v_fma_f64 v[23:24], v[15:16], v[72:73], v[38:39]
	v_fma_f64 v[34:35], v[17:18], v[72:73], v[34:35]
	v_fma_f64 v[38:39], v[52:53], v[72:73], v[44:45]
	v_fma_f64 v[36:37], v[54:55], v[72:73], v[36:37]
	v_fma_f64 v[40:41], v[60:61], v[72:73], v[40:41]
	v_fma_f64 v[42:43], v[62:63], v[72:73], v[42:43]
	v_fma_f64 v[32:33], v[68:69], v[72:73], v[32:33]
	v_fma_f64 v[30:31], v[70:71], v[72:73], v[30:31]
	v_fma_f64 v[17:18], -v[17:18], v[74:75], v[23:24]
	v_fma_f64 v[15:16], v[15:16], v[74:75], v[34:35]
	v_fma_f64 v[23:24], -v[54:55], v[74:75], v[38:39]
	v_fma_f64 v[34:35], v[52:53], v[74:75], v[36:37]
	v_fma_f64 v[36:37], -v[62:63], v[74:75], v[40:41]
	v_fma_f64 v[38:39], v[60:61], v[74:75], v[42:43]
	v_fma_f64 v[32:33], -v[70:71], v[74:75], v[32:33]
	v_fma_f64 v[30:31], v[68:69], v[74:75], v[30:31]
	s_wait_loadcnt 0xa
	v_fma_f64 v[17:18], v[11:12], v[76:77], v[17:18]
	v_fma_f64 v[15:16], v[13:14], v[76:77], v[15:16]
	v_fma_f64 v[23:24], v[19:20], v[76:77], v[23:24]
	v_fma_f64 v[34:35], v[21:22], v[76:77], v[34:35]
	v_fma_f64 v[36:37], v[56:57], v[76:77], v[36:37]
	v_fma_f64 v[38:39], v[58:59], v[76:77], v[38:39]
	v_fma_f64 v[32:33], v[64:65], v[76:77], v[32:33]
	v_fma_f64 v[30:31], v[66:67], v[76:77], v[30:31]
	v_fma_f64 v[13:14], -v[13:14], v[78:79], v[17:18]
	v_fma_f64 v[11:12], v[11:12], v[78:79], v[15:16]
	v_fma_f64 v[15:16], -v[21:22], v[78:79], v[23:24]
	v_fma_f64 v[17:18], v[19:20], v[78:79], v[34:35]
	v_fma_f64 v[19:20], -v[58:59], v[78:79], v[36:37]
	v_fma_f64 v[21:22], v[56:57], v[78:79], v[38:39]
	v_fma_f64 v[23:24], -v[66:67], v[78:79], v[32:33]
	v_fma_f64 v[30:31], v[64:65], v[78:79], v[30:31]
	s_wait_loadcnt 0x1
	v_fma_f64 v[13:14], v[84:85], v[112:113], v[13:14]
	v_fma_f64 v[11:12], v[86:87], v[112:113], v[11:12]
	v_fma_f64 v[15:16], v[92:93], v[112:113], v[15:16]
	v_fma_f64 v[17:18], v[94:95], v[112:113], v[17:18]
	v_fma_f64 v[19:20], v[100:101], v[112:113], v[19:20]
	v_fma_f64 v[21:22], v[102:103], v[112:113], v[21:22]
	v_fma_f64 v[23:24], v[108:109], v[112:113], v[23:24]
	v_fma_f64 v[30:31], v[110:111], v[112:113], v[30:31]
	v_fma_f64 v[13:14], -v[86:87], v[114:115], v[13:14]
	v_fma_f64 v[11:12], v[84:85], v[114:115], v[11:12]
	v_fma_f64 v[15:16], -v[94:95], v[114:115], v[15:16]
	v_fma_f64 v[17:18], v[92:93], v[114:115], v[17:18]
	v_fma_f64 v[19:20], -v[102:103], v[114:115], v[19:20]
	v_fma_f64 v[21:22], v[100:101], v[114:115], v[21:22]
	v_fma_f64 v[23:24], -v[110:111], v[114:115], v[23:24]
	v_fma_f64 v[30:31], v[108:109], v[114:115], v[30:31]
	s_wait_loadcnt 0x0
	v_fma_f64 v[13:14], v[80:81], v[116:117], v[13:14]
	v_fma_f64 v[11:12], v[82:83], v[116:117], v[11:12]
	v_fma_f64 v[15:16], v[88:89], v[116:117], v[15:16]
	v_fma_f64 v[17:18], v[90:91], v[116:117], v[17:18]
	v_fma_f64 v[19:20], v[96:97], v[116:117], v[19:20]
	v_fma_f64 v[21:22], v[98:99], v[116:117], v[21:22]
	v_fma_f64 v[23:24], v[104:105], v[116:117], v[23:24]
	v_fma_f64 v[30:31], v[106:107], v[116:117], v[30:31]
	v_fma_f64 v[38:39], -v[82:83], v[118:119], v[13:14]
	v_fma_f64 v[34:35], v[80:81], v[118:119], v[11:12]
	v_fma_f64 v[44:45], -v[90:91], v[118:119], v[15:16]
	v_fma_f64 v[36:37], v[88:89], v[118:119], v[17:18]
	v_fma_f64 v[40:41], -v[98:99], v[118:119], v[19:20]
	v_fma_f64 v[42:43], v[96:97], v[118:119], v[21:22]
	v_fma_f64 v[32:33], -v[106:107], v[118:119], v[23:24]
	v_fma_f64 v[30:31], v[104:105], v[118:119], v[30:31]
	s_wait_alu 0xfffe
	s_and_not1_b32 exec_lo, exec_lo, s7
	s_cbranch_execnz .LBB17_15
; %bb.16:
	s_or_b32 exec_lo, exec_lo, s7
.LBB17_17:
	s_wait_alu 0xfffe
	s_or_b32 exec_lo, exec_lo, s3
	s_delay_alu instid0(SALU_CYCLE_1)
	s_mov_b32 s7, exec_lo
	v_cmpx_lt_u32_e32 47, v9
	s_cbranch_execz .LBB17_21
; %bb.18:
	s_mov_b32 s10, 0
.LBB17_19:                              ; =>This Inner Loop Header: Depth=1
	v_ashrrev_i32_e32 v47, 31, v46
	s_delay_alu instid0(VALU_DEP_1) | instskip(SKIP_1) | instid1(VALU_DEP_2)
	v_lshlrev_b64_e32 v[9:10], 2, v[46:47]
	v_add_nc_u32_e32 v46, 64, v46
	v_add_co_u32 v52, vcc_lo, s8, v9
	s_wait_alu 0xfffd
	s_delay_alu instid0(VALU_DEP_3)
	v_add_co_ci_u32_e64 v53, null, s9, v10, vcc_lo
	global_load_b32 v27, v[52:53], off
	s_clause 0x3
	global_load_b128 v[21:24], v[48:49], off
	global_load_b128 v[17:20], v[48:49], off offset:64
	global_load_b128 v[13:16], v[48:49], off offset:128
	;; [unrolled: 1-line block ×3, first 2 shown]
	s_clause 0x2
	global_load_b32 v47, v[52:53], off offset:64
	global_load_b32 v150, v[52:53], off offset:128
	;; [unrolled: 1-line block ×3, first 2 shown]
	s_wait_loadcnt 0x7
	v_subrev_nc_u32_e32 v27, s12, v27
	s_delay_alu instid0(VALU_DEP_1) | instskip(SKIP_2) | instid1(VALU_DEP_2)
	v_lshlrev_b32_e32 v52, 2, v27
	s_wait_loadcnt 0x2
	v_subrev_nc_u32_e32 v27, s12, v47
	v_ashrrev_i32_e32 v53, 31, v52
	s_delay_alu instid0(VALU_DEP_2) | instskip(SKIP_2) | instid1(VALU_DEP_3)
	v_lshlrev_b32_e32 v132, 2, v27
	s_wait_loadcnt 0x1
	v_subrev_nc_u32_e32 v27, s12, v150
	v_lshlrev_b64_e32 v[52:53], 4, v[52:53]
	s_delay_alu instid0(VALU_DEP_3) | instskip(NEXT) | instid1(VALU_DEP_3)
	v_ashrrev_i32_e32 v133, 31, v132
	v_lshlrev_b32_e32 v150, 2, v27
	s_wait_loadcnt 0x0
	v_subrev_nc_u32_e32 v27, s12, v152
	s_delay_alu instid0(VALU_DEP_3)
	v_lshlrev_b64_e32 v[132:133], 4, v[132:133]
	s_wait_kmcnt 0x0
	v_add_co_u32 v112, vcc_lo, s4, v52
	s_wait_alu 0xfffd
	v_add_co_ci_u32_e64 v113, null, s5, v53, vcc_lo
	v_ashrrev_i32_e32 v151, 31, v150
	v_add_co_u32 v136, vcc_lo, s4, v132
	global_load_b128 v[52:55], v[112:113], off
	s_clause 0x3
	global_load_b128 v[56:59], v[48:49], off offset:16
	global_load_b128 v[60:63], v[48:49], off offset:80
	global_load_b128 v[64:67], v[48:49], off offset:144
	global_load_b128 v[68:71], v[48:49], off offset:208
	global_load_b128 v[72:75], v[112:113], off offset:16
	s_clause 0x3
	global_load_b128 v[76:79], v[48:49], off offset:32
	global_load_b128 v[80:83], v[48:49], off offset:96
	global_load_b128 v[84:87], v[48:49], off offset:160
	global_load_b128 v[88:91], v[48:49], off offset:224
	global_load_b128 v[92:95], v[112:113], off offset:32
	;; [unrolled: 6-line block ×3, first 2 shown]
	s_clause 0x3
	global_load_b128 v[116:119], v[48:49], off offset:4096
	global_load_b128 v[120:123], v[48:49], off offset:4160
	;; [unrolled: 1-line block ×4, first 2 shown]
	s_wait_alu 0xfffd
	v_add_co_ci_u32_e64 v137, null, s5, v133, vcc_lo
	global_load_b128 v[132:135], v[136:137], off
	s_wait_loadcnt 0x14
	v_fma_f64 v[38:39], v[21:22], v[52:53], v[38:39]
	v_fma_f64 v[34:35], v[23:24], v[52:53], v[34:35]
	v_fma_f64 v[44:45], v[17:18], v[52:53], v[44:45]
	v_fma_f64 v[36:37], v[19:20], v[52:53], v[36:37]
	v_fma_f64 v[40:41], v[13:14], v[52:53], v[40:41]
	v_fma_f64 v[42:43], v[15:16], v[52:53], v[42:43]
	v_fma_f64 v[32:33], v[9:10], v[52:53], v[32:33]
	v_fma_f64 v[30:31], v[11:12], v[52:53], v[30:31]
	v_fma_f64 v[38:39], -v[23:24], v[54:55], v[38:39]
	v_fma_f64 v[34:35], v[21:22], v[54:55], v[34:35]
	v_fma_f64 v[44:45], -v[19:20], v[54:55], v[44:45]
	v_fma_f64 v[36:37], v[17:18], v[54:55], v[36:37]
	v_fma_f64 v[40:41], -v[15:16], v[54:55], v[40:41]
	v_fma_f64 v[42:43], v[13:14], v[54:55], v[42:43]
	v_fma_f64 v[52:53], -v[11:12], v[54:55], v[32:33]
	v_fma_f64 v[54:55], v[9:10], v[54:55], v[30:31]
	s_clause 0x3
	global_load_b128 v[9:12], v[48:49], off offset:4112
	global_load_b128 v[13:16], v[48:49], off offset:4176
	global_load_b128 v[17:20], v[48:49], off offset:4240
	global_load_b128 v[21:24], v[48:49], off offset:4304
	global_load_b128 v[30:33], v[136:137], off offset:16
	s_wait_loadcnt 0x14
	v_fma_f64 v[38:39], v[56:57], v[72:73], v[38:39]
	v_fma_f64 v[34:35], v[58:59], v[72:73], v[34:35]
	v_fma_f64 v[44:45], v[60:61], v[72:73], v[44:45]
	v_fma_f64 v[36:37], v[62:63], v[72:73], v[36:37]
	v_fma_f64 v[40:41], v[64:65], v[72:73], v[40:41]
	v_fma_f64 v[42:43], v[66:67], v[72:73], v[42:43]
	v_fma_f64 v[52:53], v[68:69], v[72:73], v[52:53]
	v_fma_f64 v[54:55], v[70:71], v[72:73], v[54:55]
	v_fma_f64 v[72:73], -v[58:59], v[74:75], v[38:39]
	v_fma_f64 v[138:139], v[56:57], v[74:75], v[34:35]
	v_fma_f64 v[62:63], -v[62:63], v[74:75], v[44:45]
	v_fma_f64 v[60:61], v[60:61], v[74:75], v[36:37]
	v_fma_f64 v[66:67], -v[66:67], v[74:75], v[40:41]
	v_fma_f64 v[64:65], v[64:65], v[74:75], v[42:43]
	v_fma_f64 v[70:71], -v[70:71], v[74:75], v[52:53]
	v_fma_f64 v[68:69], v[68:69], v[74:75], v[54:55]
	s_clause 0x3
	global_load_b128 v[34:37], v[48:49], off offset:4128
	global_load_b128 v[38:41], v[48:49], off offset:4192
	global_load_b128 v[42:45], v[48:49], off offset:4256
	global_load_b128 v[52:55], v[48:49], off offset:4320
	global_load_b128 v[56:59], v[136:137], off offset:32
	;; [unrolled: 23-line block ×3, first 2 shown]
	s_wait_loadcnt 0x14
	v_fma_f64 v[136:137], v[96:97], v[112:113], v[92:93]
	v_fma_f64 v[138:139], v[98:99], v[112:113], v[138:139]
	;; [unrolled: 1-line block ×8, first 2 shown]
	s_clause 0x3
	global_load_b128 v[80:83], v[48:49], off offset:8192
	global_load_b128 v[84:87], v[48:49], off offset:8256
	;; [unrolled: 1-line block ×4, first 2 shown]
	v_fma_f64 v[136:137], -v[98:99], v[114:115], v[136:137]
	v_fma_f64 v[138:139], v[96:97], v[114:115], v[138:139]
	v_fma_f64 v[102:103], -v[102:103], v[114:115], v[140:141]
	v_fma_f64 v[100:101], v[100:101], v[114:115], v[142:143]
	;; [unrolled: 2-line block ×4, first 2 shown]
	v_lshlrev_b64_e32 v[96:97], 4, v[150:151]
	v_lshlrev_b32_e32 v150, 2, v27
	s_delay_alu instid0(VALU_DEP_2) | instskip(SKIP_1) | instid1(VALU_DEP_3)
	v_add_co_u32 v140, vcc_lo, s4, v96
	s_wait_alu 0xfffd
	v_add_co_ci_u32_e64 v141, null, s5, v97, vcc_lo
	s_delay_alu instid0(VALU_DEP_3)
	v_ashrrev_i32_e32 v151, 31, v150
	global_load_b128 v[96:99], v[140:141], off
	s_wait_loadcnt 0x14
	v_fma_f64 v[112:113], v[116:117], v[132:133], v[136:137]
	v_fma_f64 v[114:115], v[118:119], v[132:133], v[138:139]
	v_fma_f64 v[102:103], v[120:121], v[132:133], v[102:103]
	v_fma_f64 v[100:101], v[122:123], v[132:133], v[100:101]
	v_fma_f64 v[106:107], v[124:125], v[132:133], v[106:107]
	v_fma_f64 v[104:105], v[126:127], v[132:133], v[104:105]
	v_fma_f64 v[110:111], v[128:129], v[132:133], v[110:111]
	v_fma_f64 v[108:109], v[130:131], v[132:133], v[108:109]
	v_fma_f64 v[132:133], -v[118:119], v[134:135], v[112:113]
	v_fma_f64 v[136:137], v[116:117], v[134:135], v[114:115]
	v_fma_f64 v[122:123], -v[122:123], v[134:135], v[102:103]
	v_fma_f64 v[120:121], v[120:121], v[134:135], v[100:101]
	v_fma_f64 v[126:127], -v[126:127], v[134:135], v[106:107]
	v_fma_f64 v[124:125], v[124:125], v[134:135], v[104:105]
	v_fma_f64 v[130:131], -v[130:131], v[134:135], v[110:111]
	v_fma_f64 v[128:129], v[128:129], v[134:135], v[108:109]
	s_clause 0x3
	global_load_b128 v[100:103], v[48:49], off offset:8208
	global_load_b128 v[104:107], v[48:49], off offset:8272
	global_load_b128 v[108:111], v[48:49], off offset:8336
	global_load_b128 v[112:115], v[48:49], off offset:8400
	global_load_b128 v[116:119], v[140:141], off offset:16
	s_wait_loadcnt 0x14
	v_fma_f64 v[132:133], v[9:10], v[30:31], v[132:133]
	v_fma_f64 v[134:135], v[11:12], v[30:31], v[136:137]
	v_fma_f64 v[122:123], v[13:14], v[30:31], v[122:123]
	v_fma_f64 v[120:121], v[15:16], v[30:31], v[120:121]
	v_fma_f64 v[126:127], v[17:18], v[30:31], v[126:127]
	v_fma_f64 v[124:125], v[19:20], v[30:31], v[124:125]
	v_fma_f64 v[130:131], v[21:22], v[30:31], v[130:131]
	v_fma_f64 v[30:31], v[23:24], v[30:31], v[128:129]
	v_fma_f64 v[128:129], -v[11:12], v[32:33], v[132:133]
	v_fma_f64 v[132:133], v[9:10], v[32:33], v[134:135]
	v_fma_f64 v[122:123], -v[15:16], v[32:33], v[122:123]
	v_fma_f64 v[120:121], v[13:14], v[32:33], v[120:121]
	v_fma_f64 v[126:127], -v[19:20], v[32:33], v[126:127]
	v_fma_f64 v[124:125], v[17:18], v[32:33], v[124:125]
	v_fma_f64 v[130:131], -v[23:24], v[32:33], v[130:131]
	v_fma_f64 v[134:135], v[21:22], v[32:33], v[30:31]
	s_clause 0x3
	global_load_b128 v[9:12], v[48:49], off offset:8224
	global_load_b128 v[13:16], v[48:49], off offset:8288
	global_load_b128 v[17:20], v[48:49], off offset:8352
	global_load_b128 v[21:24], v[48:49], off offset:8416
	global_load_b128 v[30:33], v[140:141], off offset:32
	;; [unrolled: 23-line block ×3, first 2 shown]
	s_wait_loadcnt 0x14
	v_fma_f64 v[136:137], v[60:61], v[76:77], v[128:129]
	v_fma_f64 v[138:139], v[62:63], v[76:77], v[132:133]
	v_fma_f64 v[140:141], v[64:65], v[76:77], v[122:123]
	v_fma_f64 v[142:143], v[66:67], v[76:77], v[120:121]
	v_fma_f64 v[144:145], v[68:69], v[76:77], v[126:127]
	v_fma_f64 v[146:147], v[70:71], v[76:77], v[124:125]
	v_fma_f64 v[148:149], v[72:73], v[76:77], v[130:131]
	v_fma_f64 v[76:77], v[74:75], v[76:77], v[134:135]
	s_clause 0x3
	global_load_b128 v[120:123], v[48:49], off offset:12288
	global_load_b128 v[124:127], v[48:49], off offset:12352
	;; [unrolled: 1-line block ×4, first 2 shown]
	v_fma_f64 v[136:137], -v[62:63], v[78:79], v[136:137]
	v_fma_f64 v[138:139], v[60:61], v[78:79], v[138:139]
	v_fma_f64 v[66:67], -v[66:67], v[78:79], v[140:141]
	v_fma_f64 v[64:65], v[64:65], v[78:79], v[142:143]
	v_fma_f64 v[70:71], -v[70:71], v[78:79], v[144:145]
	v_fma_f64 v[68:69], v[68:69], v[78:79], v[146:147]
	v_fma_f64 v[74:75], -v[74:75], v[78:79], v[148:149]
	v_fma_f64 v[72:73], v[72:73], v[78:79], v[76:77]
	v_lshlrev_b64_e32 v[60:61], 4, v[150:151]
	s_delay_alu instid0(VALU_DEP_1) | instskip(SKIP_1) | instid1(VALU_DEP_2)
	v_add_co_u32 v140, vcc_lo, s4, v60
	s_wait_alu 0xfffd
	v_add_co_ci_u32_e64 v141, null, s5, v61, vcc_lo
	v_cmp_ge_i32_e32 vcc_lo, v46, v50
	global_load_b128 v[60:63], v[140:141], off
	s_wait_alu 0xfffe
	s_or_b32 s10, vcc_lo, s10
	s_wait_loadcnt 0x14
	v_fma_f64 v[76:77], v[80:81], v[96:97], v[136:137]
	v_fma_f64 v[78:79], v[82:83], v[96:97], v[138:139]
	v_fma_f64 v[66:67], v[84:85], v[96:97], v[66:67]
	v_fma_f64 v[64:65], v[86:87], v[96:97], v[64:65]
	v_fma_f64 v[70:71], v[88:89], v[96:97], v[70:71]
	v_fma_f64 v[68:69], v[90:91], v[96:97], v[68:69]
	v_fma_f64 v[74:75], v[92:93], v[96:97], v[74:75]
	v_fma_f64 v[72:73], v[94:95], v[96:97], v[72:73]
	v_fma_f64 v[96:97], -v[82:83], v[98:99], v[76:77]
	v_fma_f64 v[136:137], v[80:81], v[98:99], v[78:79]
	v_fma_f64 v[86:87], -v[86:87], v[98:99], v[66:67]
	v_fma_f64 v[84:85], v[84:85], v[98:99], v[64:65]
	v_fma_f64 v[90:91], -v[90:91], v[98:99], v[70:71]
	v_fma_f64 v[88:89], v[88:89], v[98:99], v[68:69]
	v_fma_f64 v[94:95], -v[94:95], v[98:99], v[74:75]
	v_fma_f64 v[92:93], v[92:93], v[98:99], v[72:73]
	s_clause 0x3
	global_load_b128 v[64:67], v[48:49], off offset:12304
	global_load_b128 v[68:71], v[48:49], off offset:12368
	global_load_b128 v[72:75], v[48:49], off offset:12432
	global_load_b128 v[76:79], v[48:49], off offset:12496
	global_load_b128 v[80:83], v[140:141], off offset:16
	s_wait_loadcnt 0x14
	v_fma_f64 v[96:97], v[100:101], v[116:117], v[96:97]
	v_fma_f64 v[98:99], v[102:103], v[116:117], v[136:137]
	v_fma_f64 v[86:87], v[104:105], v[116:117], v[86:87]
	v_fma_f64 v[84:85], v[106:107], v[116:117], v[84:85]
	v_fma_f64 v[90:91], v[108:109], v[116:117], v[90:91]
	v_fma_f64 v[88:89], v[110:111], v[116:117], v[88:89]
	v_fma_f64 v[94:95], v[112:113], v[116:117], v[94:95]
	v_fma_f64 v[92:93], v[114:115], v[116:117], v[92:93]
	v_fma_f64 v[116:117], -v[102:103], v[118:119], v[96:97]
	v_fma_f64 v[136:137], v[100:101], v[118:119], v[98:99]
	v_fma_f64 v[106:107], -v[106:107], v[118:119], v[86:87]
	v_fma_f64 v[104:105], v[104:105], v[118:119], v[84:85]
	v_fma_f64 v[110:111], -v[110:111], v[118:119], v[90:91]
	v_fma_f64 v[108:109], v[108:109], v[118:119], v[88:89]
	v_fma_f64 v[114:115], -v[114:115], v[118:119], v[94:95]
	v_fma_f64 v[112:113], v[112:113], v[118:119], v[92:93]
	s_clause 0x3
	global_load_b128 v[84:87], v[48:49], off offset:12320
	global_load_b128 v[88:91], v[48:49], off offset:12384
	global_load_b128 v[92:95], v[48:49], off offset:12448
	global_load_b128 v[96:99], v[48:49], off offset:12512
	global_load_b128 v[100:103], v[140:141], off offset:32
	;; [unrolled: 23-line block ×3, first 2 shown]
	v_add_co_u32 v48, s3, 0x4000, v48
	s_wait_alu 0xf1ff
	v_add_co_ci_u32_e64 v49, null, 0, v49, s3
	s_wait_loadcnt 0x14
	v_fma_f64 v[32:33], v[34:35], v[56:57], v[112:113]
	v_fma_f64 v[112:113], v[36:37], v[56:57], v[116:117]
	v_fma_f64 v[116:117], v[38:39], v[56:57], v[118:119]
	v_fma_f64 v[118:119], v[40:41], v[56:57], v[136:137]
	v_fma_f64 v[110:111], v[42:43], v[56:57], v[110:111]
	v_fma_f64 v[108:109], v[44:45], v[56:57], v[108:109]
	v_fma_f64 v[114:115], v[52:53], v[56:57], v[114:115]
	v_fma_f64 v[30:31], v[54:55], v[56:57], v[30:31]
	v_fma_f64 v[32:33], -v[36:37], v[58:59], v[32:33]
	v_fma_f64 v[34:35], v[34:35], v[58:59], v[112:113]
	v_fma_f64 v[36:37], -v[40:41], v[58:59], v[116:117]
	v_fma_f64 v[38:39], v[38:39], v[58:59], v[118:119]
	v_fma_f64 v[40:41], -v[44:45], v[58:59], v[110:111]
	v_fma_f64 v[42:43], v[42:43], v[58:59], v[108:109]
	v_fma_f64 v[44:45], -v[54:55], v[58:59], v[114:115]
	v_fma_f64 v[30:31], v[52:53], v[58:59], v[30:31]
	s_wait_loadcnt 0xf
	v_fma_f64 v[32:33], v[120:121], v[60:61], v[32:33]
	v_fma_f64 v[34:35], v[122:123], v[60:61], v[34:35]
	v_fma_f64 v[36:37], v[124:125], v[60:61], v[36:37]
	v_fma_f64 v[38:39], v[126:127], v[60:61], v[38:39]
	v_fma_f64 v[40:41], v[128:129], v[60:61], v[40:41]
	v_fma_f64 v[42:43], v[130:131], v[60:61], v[42:43]
	v_fma_f64 v[44:45], v[132:133], v[60:61], v[44:45]
	v_fma_f64 v[30:31], v[134:135], v[60:61], v[30:31]
	v_fma_f64 v[32:33], -v[122:123], v[62:63], v[32:33]
	v_fma_f64 v[34:35], v[120:121], v[62:63], v[34:35]
	v_fma_f64 v[36:37], -v[126:127], v[62:63], v[36:37]
	v_fma_f64 v[38:39], v[124:125], v[62:63], v[38:39]
	v_fma_f64 v[40:41], -v[130:131], v[62:63], v[40:41]
	v_fma_f64 v[42:43], v[128:129], v[62:63], v[42:43]
	v_fma_f64 v[44:45], -v[134:135], v[62:63], v[44:45]
	v_fma_f64 v[30:31], v[132:133], v[62:63], v[30:31]
	;; [unrolled: 17-line block ×5, first 2 shown]
	s_wait_alu 0xfffe
	s_and_not1_b32 exec_lo, exec_lo, s10
	s_cbranch_execnz .LBB17_19
; %bb.20:
	s_or_b32 exec_lo, exec_lo, s10
.LBB17_21:
	s_wait_alu 0xfffe
	s_or_b32 exec_lo, exec_lo, s7
.LBB17_22:
	s_wait_alu 0xfffe
	s_or_b32 exec_lo, exec_lo, s6
	s_cbranch_execz .LBB17_24
	s_branch .LBB17_35
.LBB17_23:
                                        ; implicit-def: $vgpr34_vgpr35
                                        ; implicit-def: $vgpr38_vgpr39
                                        ; implicit-def: $vgpr32_vgpr33
                                        ; implicit-def: $vgpr30_vgpr31
                                        ; implicit-def: $vgpr40_vgpr41
                                        ; implicit-def: $vgpr42_vgpr43
                                        ; implicit-def: $vgpr44_vgpr45
                                        ; implicit-def: $vgpr36_vgpr37
.LBB17_24:
	v_mov_b32_e32 v34, 0
	v_mov_b32_e32 v32, 0
	;; [unrolled: 1-line block ×3, first 2 shown]
	v_dual_mov_b32 v44, 0 :: v_dual_mov_b32 v35, 0
	v_dual_mov_b32 v38, 0 :: v_dual_mov_b32 v33, 0
	;; [unrolled: 1-line block ×5, first 2 shown]
	v_mov_b32_e32 v31, 0
	v_mov_b32_e32 v43, 0
	;; [unrolled: 1-line block ×3, first 2 shown]
	s_and_saveexec_b32 s3, s2
	s_cbranch_execz .LBB17_34
; %bb.25:
	v_dual_mov_b32 v36, 0 :: v_dual_add_nc_u32 v9, v51, v0
	v_not_b32_e32 v10, v51
	v_dual_mov_b32 v37, 0 :: v_dual_mov_b32 v42, 0
	s_delay_alu instid0(VALU_DEP_3) | instskip(SKIP_2) | instid1(VALU_DEP_3)
	v_subrev_nc_u32_e32 v9, s12, v9
	v_dual_mov_b32 v43, 0 :: v_dual_mov_b32 v40, 0
	v_dual_mov_b32 v41, 0 :: v_dual_mov_b32 v30, 0
	v_dual_mov_b32 v44, 0 :: v_dual_add_nc_u32 v9, 16, v9
	v_dual_mov_b32 v31, 0 :: v_dual_mov_b32 v32, 0
	v_dual_mov_b32 v33, 0 :: v_dual_mov_b32 v38, 0
	s_delay_alu instid0(VALU_DEP_3) | instskip(SKIP_3) | instid1(VALU_DEP_3)
	v_max_i32_e32 v9, v9, v50
	v_dual_mov_b32 v39, 0 :: v_dual_mov_b32 v34, 0
	v_mov_b32_e32 v35, 0
	s_mov_b32 s2, exec_lo
	v_add3_u32 v9, s12, v9, v10
	s_delay_alu instid0(VALU_DEP_1) | instskip(NEXT) | instid1(VALU_DEP_1)
	v_sub_nc_u32_e32 v9, v9, v0
	v_dual_mov_b32 v45, 0 :: v_dual_and_b32 v10, 48, v9
	s_delay_alu instid0(VALU_DEP_1)
	v_cmpx_ne_u32_e32 48, v10
	s_cbranch_execz .LBB17_29
; %bb.26:
	v_lshrrev_b32_e32 v10, 4, v9
	v_mov_b32_e32 v34, 0
	v_mov_b32_e32 v38, 0
	;; [unrolled: 1-line block ×4, first 2 shown]
	v_dual_mov_b32 v35, 0 :: v_dual_add_nc_u32 v10, 1, v10
	v_mov_b32_e32 v40, 0
	v_mov_b32_e32 v42, 0
	;; [unrolled: 1-line block ×3, first 2 shown]
	s_delay_alu instid0(VALU_DEP_4)
	v_dual_mov_b32 v41, 0 :: v_dual_and_b32 v10, 3, v10
	v_dual_mov_b32 v36, 0 :: v_dual_mov_b32 v39, 0
	v_mov_b32_e32 v33, 0
	v_mov_b32_e32 v31, 0
	;; [unrolled: 1-line block ×5, first 2 shown]
	v_sub_nc_u32_e32 v10, 0, v10
	s_mov_b32 s6, 0
.LBB17_27:                              ; =>This Inner Loop Header: Depth=1
	v_ashrrev_i32_e32 v27, 31, v26
	s_delay_alu instid0(VALU_DEP_2) | instskip(SKIP_2) | instid1(VALU_DEP_2)
	v_add_co_u32 v10, s7, v10, 1
	s_wait_alu 0xfffe
	s_or_b32 s6, s7, s6
	v_lshlrev_b64_e32 v[11:12], 2, v[26:27]
	v_add_nc_u32_e32 v26, 16, v26
	s_delay_alu instid0(VALU_DEP_2) | instskip(SKIP_1) | instid1(VALU_DEP_3)
	v_add_co_u32 v11, vcc_lo, s8, v11
	s_wait_alu 0xfffd
	v_add_co_ci_u32_e64 v12, null, s9, v12, vcc_lo
	global_load_b32 v23, v[11:12], off
	s_clause 0x3
	global_load_b128 v[11:14], v[28:29], off offset:48
	global_load_b128 v[15:18], v[28:29], off offset:32
	;; [unrolled: 1-line block ×3, first 2 shown]
	global_load_b128 v[46:49], v[28:29], off
	s_wait_loadcnt 0x4
	v_subrev_nc_u32_e32 v23, s12, v23
	s_delay_alu instid0(VALU_DEP_1) | instskip(NEXT) | instid1(VALU_DEP_1)
	v_lshlrev_b32_e32 v23, 2, v23
	v_ashrrev_i32_e32 v24, 31, v23
	s_delay_alu instid0(VALU_DEP_1) | instskip(SKIP_1) | instid1(VALU_DEP_1)
	v_lshlrev_b64_e32 v[23:24], 4, v[23:24]
	s_wait_kmcnt 0x0
	v_add_co_u32 v23, vcc_lo, s4, v23
	s_wait_alu 0xfffd
	s_delay_alu instid0(VALU_DEP_2)
	v_add_co_ci_u32_e64 v24, null, s5, v24, vcc_lo
	s_clause 0x1
	global_load_b128 v[51:54], v[23:24], off
	global_load_b128 v[55:58], v[23:24], off offset:16
	s_clause 0x7
	global_load_b128 v[59:62], v[28:29], off offset:64
	global_load_b128 v[63:66], v[28:29], off offset:80
	;; [unrolled: 1-line block ×8, first 2 shown]
	s_clause 0x1
	global_load_b128 v[91:94], v[23:24], off offset:32
	global_load_b128 v[95:98], v[23:24], off offset:48
	s_clause 0x3
	global_load_b128 v[99:102], v[28:29], off offset:192
	global_load_b128 v[103:106], v[28:29], off offset:208
	;; [unrolled: 1-line block ×4, first 2 shown]
	v_add_co_u32 v28, vcc_lo, 0x1000, v28
	s_wait_alu 0xfffd
	v_add_co_ci_u32_e64 v29, null, 0, v29, vcc_lo
	s_wait_loadcnt 0xf
	v_fma_f64 v[23:24], v[46:47], v[51:52], v[38:39]
	v_fma_f64 v[34:35], v[48:49], v[51:52], v[34:35]
	;; [unrolled: 1-line block ×8, first 2 shown]
	v_fma_f64 v[23:24], -v[48:49], v[53:54], v[23:24]
	v_fma_f64 v[34:35], v[46:47], v[53:54], v[34:35]
	v_fma_f64 v[21:22], -v[21:22], v[53:54], v[38:39]
	v_fma_f64 v[19:20], v[19:20], v[53:54], v[36:37]
	v_fma_f64 v[17:18], -v[17:18], v[53:54], v[40:41]
	v_fma_f64 v[15:16], v[15:16], v[53:54], v[42:43]
	v_fma_f64 v[13:14], -v[13:14], v[53:54], v[32:33]
	v_fma_f64 v[11:12], v[11:12], v[53:54], v[30:31]
	s_wait_loadcnt 0xd
	v_fma_f64 v[23:24], v[59:60], v[55:56], v[23:24]
	v_fma_f64 v[30:31], v[61:62], v[55:56], v[34:35]
	s_wait_loadcnt 0xc
	v_fma_f64 v[21:22], v[63:64], v[55:56], v[21:22]
	v_fma_f64 v[19:20], v[65:66], v[55:56], v[19:20]
	;; [unrolled: 3-line block ×4, first 2 shown]
	v_fma_f64 v[23:24], -v[61:62], v[57:58], v[23:24]
	v_fma_f64 v[30:31], v[59:60], v[57:58], v[30:31]
	v_fma_f64 v[21:22], -v[65:66], v[57:58], v[21:22]
	v_fma_f64 v[19:20], v[63:64], v[57:58], v[19:20]
	;; [unrolled: 2-line block ×4, first 2 shown]
	s_wait_loadcnt 0x5
	v_fma_f64 v[23:24], v[87:88], v[91:92], v[23:24]
	v_fma_f64 v[30:31], v[89:90], v[91:92], v[30:31]
	v_fma_f64 v[21:22], v[83:84], v[91:92], v[21:22]
	v_fma_f64 v[19:20], v[85:86], v[91:92], v[19:20]
	v_fma_f64 v[17:18], v[79:80], v[91:92], v[17:18]
	v_fma_f64 v[15:16], v[81:82], v[91:92], v[15:16]
	v_fma_f64 v[13:14], v[75:76], v[91:92], v[13:14]
	v_fma_f64 v[11:12], v[77:78], v[91:92], v[11:12]
	v_fma_f64 v[23:24], -v[89:90], v[93:94], v[23:24]
	v_fma_f64 v[30:31], v[87:88], v[93:94], v[30:31]
	v_fma_f64 v[21:22], -v[85:86], v[93:94], v[21:22]
	v_fma_f64 v[19:20], v[83:84], v[93:94], v[19:20]
	;; [unrolled: 2-line block ×4, first 2 shown]
	s_wait_loadcnt 0x3
	v_fma_f64 v[23:24], v[99:100], v[95:96], v[23:24]
	v_fma_f64 v[30:31], v[101:102], v[95:96], v[30:31]
	s_wait_loadcnt 0x2
	v_fma_f64 v[21:22], v[103:104], v[95:96], v[21:22]
	v_fma_f64 v[19:20], v[105:106], v[95:96], v[19:20]
	;; [unrolled: 3-line block ×4, first 2 shown]
	v_fma_f64 v[38:39], -v[101:102], v[97:98], v[23:24]
	v_fma_f64 v[34:35], v[99:100], v[97:98], v[30:31]
	v_fma_f64 v[44:45], -v[105:106], v[97:98], v[21:22]
	v_fma_f64 v[36:37], v[103:104], v[97:98], v[19:20]
	;; [unrolled: 2-line block ×4, first 2 shown]
	s_wait_alu 0xfffe
	s_and_not1_b32 exec_lo, exec_lo, s6
	s_cbranch_execnz .LBB17_27
; %bb.28:
	s_or_b32 exec_lo, exec_lo, s6
.LBB17_29:
	s_wait_alu 0xfffe
	s_or_b32 exec_lo, exec_lo, s2
	s_delay_alu instid0(SALU_CYCLE_1)
	s_mov_b32 s6, exec_lo
	v_cmpx_lt_u32_e32 47, v9
	s_cbranch_execz .LBB17_33
; %bb.30:
	s_mov_b32 s7, 0
.LBB17_31:                              ; =>This Inner Loop Header: Depth=1
	v_ashrrev_i32_e32 v27, 31, v26
	s_delay_alu instid0(VALU_DEP_1) | instskip(SKIP_1) | instid1(VALU_DEP_2)
	v_lshlrev_b64_e32 v[9:10], 2, v[26:27]
	v_add_nc_u32_e32 v26, 64, v26
	v_add_co_u32 v46, vcc_lo, s8, v9
	s_wait_alu 0xfffd
	s_delay_alu instid0(VALU_DEP_3)
	v_add_co_ci_u32_e64 v47, null, s9, v10, vcc_lo
	global_load_b32 v27, v[46:47], off
	s_clause 0x3
	global_load_b128 v[9:12], v[28:29], off offset:48
	global_load_b128 v[13:16], v[28:29], off offset:32
	;; [unrolled: 1-line block ×3, first 2 shown]
	global_load_b128 v[21:24], v[28:29], off
	s_clause 0x2
	global_load_b32 v127, v[46:47], off offset:64
	global_load_b32 v145, v[46:47], off offset:128
	;; [unrolled: 1-line block ×3, first 2 shown]
	s_wait_loadcnt 0x7
	v_subrev_nc_u32_e32 v27, s12, v27
	s_delay_alu instid0(VALU_DEP_1) | instskip(SKIP_2) | instid1(VALU_DEP_2)
	v_lshlrev_b32_e32 v46, 2, v27
	s_wait_loadcnt 0x2
	v_subrev_nc_u32_e32 v27, s12, v127
	v_ashrrev_i32_e32 v47, 31, v46
	s_delay_alu instid0(VALU_DEP_2) | instskip(SKIP_2) | instid1(VALU_DEP_3)
	v_lshlrev_b32_e32 v127, 2, v27
	s_wait_loadcnt 0x1
	v_subrev_nc_u32_e32 v27, s12, v145
	v_lshlrev_b64_e32 v[46:47], 4, v[46:47]
	s_delay_alu instid0(VALU_DEP_3) | instskip(NEXT) | instid1(VALU_DEP_3)
	v_ashrrev_i32_e32 v128, 31, v127
	v_lshlrev_b32_e32 v145, 2, v27
	s_wait_loadcnt 0x0
	v_subrev_nc_u32_e32 v27, s12, v147
	s_delay_alu instid0(VALU_DEP_3)
	v_lshlrev_b64_e32 v[127:128], 4, v[127:128]
	s_wait_kmcnt 0x0
	v_add_co_u32 v107, vcc_lo, s4, v46
	s_wait_alu 0xfffd
	v_add_co_ci_u32_e64 v108, null, s5, v47, vcc_lo
	v_ashrrev_i32_e32 v146, 31, v145
	v_add_co_u32 v131, vcc_lo, s4, v127
	global_load_b128 v[46:49], v[107:108], off
	s_clause 0x3
	global_load_b128 v[51:54], v[28:29], off offset:112
	global_load_b128 v[55:58], v[28:29], off offset:96
	global_load_b128 v[59:62], v[28:29], off offset:80
	global_load_b128 v[63:66], v[28:29], off offset:64
	global_load_b128 v[67:70], v[107:108], off offset:16
	s_clause 0x3
	global_load_b128 v[71:74], v[28:29], off offset:176
	global_load_b128 v[75:78], v[28:29], off offset:160
	global_load_b128 v[79:82], v[28:29], off offset:144
	global_load_b128 v[83:86], v[28:29], off offset:128
	global_load_b128 v[87:90], v[107:108], off offset:32
	;; [unrolled: 6-line block ×3, first 2 shown]
	s_clause 0x3
	global_load_b128 v[111:114], v[28:29], off offset:4144
	global_load_b128 v[115:118], v[28:29], off offset:4128
	;; [unrolled: 1-line block ×4, first 2 shown]
	s_wait_alu 0xfffd
	v_add_co_ci_u32_e64 v132, null, s5, v128, vcc_lo
	global_load_b128 v[127:130], v[131:132], off
	s_wait_loadcnt 0x14
	v_fma_f64 v[38:39], v[21:22], v[46:47], v[38:39]
	v_fma_f64 v[34:35], v[23:24], v[46:47], v[34:35]
	v_fma_f64 v[44:45], v[17:18], v[46:47], v[44:45]
	v_fma_f64 v[36:37], v[19:20], v[46:47], v[36:37]
	v_fma_f64 v[40:41], v[13:14], v[46:47], v[40:41]
	v_fma_f64 v[42:43], v[15:16], v[46:47], v[42:43]
	v_fma_f64 v[32:33], v[9:10], v[46:47], v[32:33]
	v_fma_f64 v[30:31], v[11:12], v[46:47], v[30:31]
	v_fma_f64 v[38:39], -v[23:24], v[48:49], v[38:39]
	v_fma_f64 v[34:35], v[21:22], v[48:49], v[34:35]
	v_fma_f64 v[44:45], -v[19:20], v[48:49], v[44:45]
	v_fma_f64 v[36:37], v[17:18], v[48:49], v[36:37]
	v_fma_f64 v[40:41], -v[15:16], v[48:49], v[40:41]
	v_fma_f64 v[42:43], v[13:14], v[48:49], v[42:43]
	v_fma_f64 v[46:47], -v[11:12], v[48:49], v[32:33]
	v_fma_f64 v[48:49], v[9:10], v[48:49], v[30:31]
	s_clause 0x3
	global_load_b128 v[9:12], v[28:29], off offset:4208
	global_load_b128 v[13:16], v[28:29], off offset:4192
	global_load_b128 v[17:20], v[28:29], off offset:4176
	global_load_b128 v[21:24], v[28:29], off offset:4160
	global_load_b128 v[30:33], v[131:132], off offset:16
	s_wait_loadcnt 0x14
	v_fma_f64 v[38:39], v[63:64], v[67:68], v[38:39]
	v_fma_f64 v[34:35], v[65:66], v[67:68], v[34:35]
	v_fma_f64 v[44:45], v[59:60], v[67:68], v[44:45]
	v_fma_f64 v[36:37], v[61:62], v[67:68], v[36:37]
	v_fma_f64 v[40:41], v[55:56], v[67:68], v[40:41]
	v_fma_f64 v[42:43], v[57:58], v[67:68], v[42:43]
	v_fma_f64 v[46:47], v[51:52], v[67:68], v[46:47]
	v_fma_f64 v[48:49], v[53:54], v[67:68], v[48:49]
	v_fma_f64 v[65:66], -v[65:66], v[69:70], v[38:39]
	v_fma_f64 v[63:64], v[63:64], v[69:70], v[34:35]
	v_fma_f64 v[61:62], -v[61:62], v[69:70], v[44:45]
	v_fma_f64 v[59:60], v[59:60], v[69:70], v[36:37]
	v_fma_f64 v[57:58], -v[57:58], v[69:70], v[40:41]
	v_fma_f64 v[55:56], v[55:56], v[69:70], v[42:43]
	v_fma_f64 v[67:68], -v[53:54], v[69:70], v[46:47]
	v_fma_f64 v[69:70], v[51:52], v[69:70], v[48:49]
	s_clause 0x3
	global_load_b128 v[34:37], v[28:29], off offset:4272
	global_load_b128 v[38:41], v[28:29], off offset:4256
	global_load_b128 v[42:45], v[28:29], off offset:4240
	global_load_b128 v[46:49], v[28:29], off offset:4224
	global_load_b128 v[51:54], v[131:132], off offset:32
	;; [unrolled: 23-line block ×3, first 2 shown]
	s_wait_loadcnt 0x14
	v_fma_f64 v[131:132], v[103:104], v[107:108], v[85:86]
	v_fma_f64 v[133:134], v[105:106], v[107:108], v[83:84]
	v_fma_f64 v[135:136], v[99:100], v[107:108], v[81:82]
	v_fma_f64 v[137:138], v[101:102], v[107:108], v[79:80]
	v_fma_f64 v[139:140], v[95:96], v[107:108], v[77:78]
	v_fma_f64 v[141:142], v[97:98], v[107:108], v[75:76]
	v_fma_f64 v[143:144], v[91:92], v[107:108], v[87:88]
	v_fma_f64 v[107:108], v[93:94], v[107:108], v[89:90]
	s_clause 0x3
	global_load_b128 v[75:78], v[28:29], off offset:8240
	global_load_b128 v[79:82], v[28:29], off offset:8224
	;; [unrolled: 1-line block ×4, first 2 shown]
	v_fma_f64 v[105:106], -v[105:106], v[109:110], v[131:132]
	v_fma_f64 v[103:104], v[103:104], v[109:110], v[133:134]
	v_fma_f64 v[101:102], -v[101:102], v[109:110], v[135:136]
	v_fma_f64 v[99:100], v[99:100], v[109:110], v[137:138]
	;; [unrolled: 2-line block ×4, first 2 shown]
	v_lshlrev_b64_e32 v[91:92], 4, v[145:146]
	v_lshlrev_b32_e32 v145, 2, v27
	s_delay_alu instid0(VALU_DEP_2) | instskip(SKIP_1) | instid1(VALU_DEP_3)
	v_add_co_u32 v133, vcc_lo, s4, v91
	s_wait_alu 0xfffd
	v_add_co_ci_u32_e64 v134, null, s5, v92, vcc_lo
	s_delay_alu instid0(VALU_DEP_3)
	v_ashrrev_i32_e32 v146, 31, v145
	global_load_b128 v[91:94], v[133:134], off
	s_wait_loadcnt 0x14
	v_fma_f64 v[105:106], v[123:124], v[127:128], v[105:106]
	v_fma_f64 v[103:104], v[125:126], v[127:128], v[103:104]
	v_fma_f64 v[101:102], v[119:120], v[127:128], v[101:102]
	v_fma_f64 v[99:100], v[121:122], v[127:128], v[99:100]
	v_fma_f64 v[97:98], v[115:116], v[127:128], v[97:98]
	v_fma_f64 v[95:96], v[117:118], v[127:128], v[95:96]
	v_fma_f64 v[109:110], v[111:112], v[127:128], v[131:132]
	v_fma_f64 v[107:108], v[113:114], v[127:128], v[107:108]
	v_fma_f64 v[125:126], -v[125:126], v[129:130], v[105:106]
	v_fma_f64 v[123:124], v[123:124], v[129:130], v[103:104]
	v_fma_f64 v[121:122], -v[121:122], v[129:130], v[101:102]
	v_fma_f64 v[119:120], v[119:120], v[129:130], v[99:100]
	v_fma_f64 v[117:118], -v[117:118], v[129:130], v[97:98]
	v_fma_f64 v[115:116], v[115:116], v[129:130], v[95:96]
	v_fma_f64 v[127:128], -v[113:114], v[129:130], v[109:110]
	v_fma_f64 v[129:130], v[111:112], v[129:130], v[107:108]
	s_clause 0x3
	global_load_b128 v[95:98], v[28:29], off offset:8304
	global_load_b128 v[99:102], v[28:29], off offset:8288
	global_load_b128 v[103:106], v[28:29], off offset:8272
	global_load_b128 v[107:110], v[28:29], off offset:8256
	global_load_b128 v[111:114], v[133:134], off offset:16
	s_wait_loadcnt 0x14
	v_fma_f64 v[125:126], v[21:22], v[30:31], v[125:126]
	v_fma_f64 v[123:124], v[23:24], v[30:31], v[123:124]
	v_fma_f64 v[121:122], v[17:18], v[30:31], v[121:122]
	v_fma_f64 v[119:120], v[19:20], v[30:31], v[119:120]
	v_fma_f64 v[117:118], v[13:14], v[30:31], v[117:118]
	v_fma_f64 v[115:116], v[15:16], v[30:31], v[115:116]
	v_fma_f64 v[127:128], v[9:10], v[30:31], v[127:128]
	v_fma_f64 v[30:31], v[11:12], v[30:31], v[129:130]
	v_fma_f64 v[125:126], -v[23:24], v[32:33], v[125:126]
	v_fma_f64 v[123:124], v[21:22], v[32:33], v[123:124]
	v_fma_f64 v[121:122], -v[19:20], v[32:33], v[121:122]
	v_fma_f64 v[119:120], v[17:18], v[32:33], v[119:120]
	v_fma_f64 v[117:118], -v[15:16], v[32:33], v[117:118]
	v_fma_f64 v[115:116], v[13:14], v[32:33], v[115:116]
	v_fma_f64 v[127:128], -v[11:12], v[32:33], v[127:128]
	v_fma_f64 v[129:130], v[9:10], v[32:33], v[30:31]
	s_clause 0x3
	global_load_b128 v[9:12], v[28:29], off offset:8368
	global_load_b128 v[13:16], v[28:29], off offset:8352
	global_load_b128 v[17:20], v[28:29], off offset:8336
	global_load_b128 v[21:24], v[28:29], off offset:8320
	global_load_b128 v[30:33], v[133:134], off offset:32
	;; [unrolled: 23-line block ×3, first 2 shown]
	s_wait_loadcnt 0x14
	v_fma_f64 v[131:132], v[67:68], v[71:72], v[125:126]
	v_fma_f64 v[133:134], v[69:70], v[71:72], v[123:124]
	;; [unrolled: 1-line block ×8, first 2 shown]
	s_clause 0x3
	global_load_b128 v[115:118], v[28:29], off offset:12336
	global_load_b128 v[119:122], v[28:29], off offset:12320
	;; [unrolled: 1-line block ×4, first 2 shown]
	v_fma_f64 v[69:70], -v[69:70], v[73:74], v[131:132]
	v_fma_f64 v[67:68], v[67:68], v[73:74], v[133:134]
	v_fma_f64 v[65:66], -v[65:66], v[73:74], v[135:136]
	v_fma_f64 v[63:64], v[63:64], v[73:74], v[137:138]
	;; [unrolled: 2-line block ×4, first 2 shown]
	v_lshlrev_b64_e32 v[55:56], 4, v[145:146]
	s_delay_alu instid0(VALU_DEP_1) | instskip(SKIP_1) | instid1(VALU_DEP_2)
	v_add_co_u32 v137, vcc_lo, s4, v55
	s_wait_alu 0xfffd
	v_add_co_ci_u32_e64 v138, null, s5, v56, vcc_lo
	s_clause 0x1
	global_load_b128 v[55:58], v[137:138], off
	global_load_b128 v[59:62], v[137:138], off offset:16
	v_cmp_ge_i32_e32 vcc_lo, v26, v50
	s_wait_alu 0xfffe
	s_or_b32 s7, vcc_lo, s7
	s_wait_loadcnt 0x15
	v_fma_f64 v[69:70], v[87:88], v[91:92], v[69:70]
	v_fma_f64 v[67:68], v[89:90], v[91:92], v[67:68]
	;; [unrolled: 1-line block ×8, first 2 shown]
	v_fma_f64 v[89:90], -v[89:90], v[93:94], v[69:70]
	v_fma_f64 v[87:88], v[87:88], v[93:94], v[67:68]
	v_fma_f64 v[85:86], -v[85:86], v[93:94], v[65:66]
	v_fma_f64 v[83:84], v[83:84], v[93:94], v[63:64]
	;; [unrolled: 2-line block ×4, first 2 shown]
	s_clause 0x3
	global_load_b128 v[63:66], v[28:29], off offset:12352
	global_load_b128 v[67:70], v[28:29], off offset:12368
	;; [unrolled: 1-line block ×4, first 2 shown]
	s_wait_loadcnt 0x14
	v_fma_f64 v[89:90], v[107:108], v[111:112], v[89:90]
	v_fma_f64 v[87:88], v[109:110], v[111:112], v[87:88]
	;; [unrolled: 1-line block ×8, first 2 shown]
	v_fma_f64 v[109:110], -v[109:110], v[113:114], v[89:90]
	v_fma_f64 v[107:108], v[107:108], v[113:114], v[87:88]
	v_fma_f64 v[105:106], -v[105:106], v[113:114], v[85:86]
	v_fma_f64 v[103:104], v[103:104], v[113:114], v[83:84]
	;; [unrolled: 2-line block ×4, first 2 shown]
	s_clause 0x3
	global_load_b128 v[79:82], v[28:29], off offset:12464
	global_load_b128 v[83:86], v[28:29], off offset:12448
	;; [unrolled: 1-line block ×4, first 2 shown]
	s_clause 0x1
	global_load_b128 v[95:98], v[137:138], off offset:32
	global_load_b128 v[99:102], v[137:138], off offset:48
	s_wait_loadcnt 0x15
	v_fma_f64 v[109:110], v[21:22], v[30:31], v[109:110]
	v_fma_f64 v[107:108], v[23:24], v[30:31], v[107:108]
	;; [unrolled: 1-line block ×8, first 2 shown]
	v_fma_f64 v[109:110], -v[23:24], v[32:33], v[109:110]
	v_fma_f64 v[107:108], v[21:22], v[32:33], v[107:108]
	v_fma_f64 v[105:106], -v[19:20], v[32:33], v[105:106]
	v_fma_f64 v[103:104], v[17:18], v[32:33], v[103:104]
	;; [unrolled: 2-line block ×4, first 2 shown]
	s_clause 0x3
	global_load_b128 v[9:12], v[28:29], off offset:12480
	global_load_b128 v[13:16], v[28:29], off offset:12496
	;; [unrolled: 1-line block ×4, first 2 shown]
	v_add_co_u32 v28, s2, 0x4000, v28
	s_wait_alu 0xf1ff
	v_add_co_ci_u32_e64 v29, null, 0, v29, s2
	s_wait_loadcnt 0x14
	v_fma_f64 v[32:33], v[46:47], v[51:52], v[109:110]
	v_fma_f64 v[107:108], v[48:49], v[51:52], v[107:108]
	;; [unrolled: 1-line block ×8, first 2 shown]
	v_fma_f64 v[32:33], -v[48:49], v[53:54], v[32:33]
	v_fma_f64 v[46:47], v[46:47], v[53:54], v[107:108]
	v_fma_f64 v[44:45], -v[44:45], v[53:54], v[105:106]
	v_fma_f64 v[42:43], v[42:43], v[53:54], v[103:104]
	;; [unrolled: 2-line block ×4, first 2 shown]
	s_wait_loadcnt 0xf
	v_fma_f64 v[32:33], v[127:128], v[55:56], v[32:33]
	v_fma_f64 v[34:35], v[129:130], v[55:56], v[46:47]
	;; [unrolled: 1-line block ×8, first 2 shown]
	v_fma_f64 v[32:33], -v[129:130], v[57:58], v[32:33]
	v_fma_f64 v[34:35], v[127:128], v[57:58], v[34:35]
	v_fma_f64 v[44:45], -v[125:126], v[57:58], v[44:45]
	v_fma_f64 v[42:43], v[123:124], v[57:58], v[42:43]
	;; [unrolled: 2-line block ×4, first 2 shown]
	s_wait_loadcnt 0xd
	v_fma_f64 v[32:33], v[63:64], v[59:60], v[32:33]
	v_fma_f64 v[34:35], v[65:66], v[59:60], v[34:35]
	s_wait_loadcnt 0xc
	v_fma_f64 v[44:45], v[67:68], v[59:60], v[44:45]
	v_fma_f64 v[42:43], v[69:70], v[59:60], v[42:43]
	;; [unrolled: 3-line block ×4, first 2 shown]
	v_fma_f64 v[32:33], -v[65:66], v[61:62], v[32:33]
	v_fma_f64 v[34:35], v[63:64], v[61:62], v[34:35]
	v_fma_f64 v[44:45], -v[69:70], v[61:62], v[44:45]
	v_fma_f64 v[42:43], v[67:68], v[61:62], v[42:43]
	;; [unrolled: 2-line block ×4, first 2 shown]
	s_wait_loadcnt 0x5
	v_fma_f64 v[32:33], v[91:92], v[95:96], v[32:33]
	v_fma_f64 v[34:35], v[93:94], v[95:96], v[34:35]
	;; [unrolled: 1-line block ×8, first 2 shown]
	v_fma_f64 v[32:33], -v[93:94], v[97:98], v[32:33]
	v_fma_f64 v[34:35], v[91:92], v[97:98], v[34:35]
	v_fma_f64 v[44:45], -v[89:90], v[97:98], v[44:45]
	v_fma_f64 v[42:43], v[87:88], v[97:98], v[42:43]
	;; [unrolled: 2-line block ×4, first 2 shown]
	s_wait_loadcnt 0x3
	v_fma_f64 v[32:33], v[9:10], v[99:100], v[32:33]
	v_fma_f64 v[34:35], v[11:12], v[99:100], v[34:35]
	s_wait_loadcnt 0x2
	v_fma_f64 v[44:45], v[13:14], v[99:100], v[44:45]
	v_fma_f64 v[42:43], v[15:16], v[99:100], v[42:43]
	s_wait_loadcnt 0x1
	v_fma_f64 v[40:41], v[17:18], v[99:100], v[40:41]
	v_fma_f64 v[46:47], v[19:20], v[99:100], v[38:39]
	s_wait_loadcnt 0x0
	v_fma_f64 v[48:49], v[21:22], v[99:100], v[36:37]
	v_fma_f64 v[30:31], v[23:24], v[99:100], v[30:31]
	v_fma_f64 v[38:39], -v[11:12], v[101:102], v[32:33]
	v_fma_f64 v[34:35], v[9:10], v[101:102], v[34:35]
	v_fma_f64 v[44:45], -v[15:16], v[101:102], v[44:45]
	v_fma_f64 v[36:37], v[13:14], v[101:102], v[42:43]
	;; [unrolled: 2-line block ×4, first 2 shown]
	s_wait_alu 0xfffe
	s_and_not1_b32 exec_lo, exec_lo, s7
	s_cbranch_execnz .LBB17_31
; %bb.32:
	s_or_b32 exec_lo, exec_lo, s7
.LBB17_33:
	s_wait_alu 0xfffe
	s_or_b32 exec_lo, exec_lo, s6
.LBB17_34:
	s_wait_alu 0xfffe
	s_or_b32 exec_lo, exec_lo, s3
.LBB17_35:
	v_mbcnt_lo_u32_b32 v46, -1, 0
	s_delay_alu instid0(VALU_DEP_1) | instskip(SKIP_1) | instid1(VALU_DEP_2)
	v_xor_b32_e32 v9, 8, v46
	v_xor_b32_e32 v26, 4, v46
	v_cmp_gt_i32_e32 vcc_lo, 32, v9
	s_wait_alu 0xfffd
	v_cndmask_b32_e32 v9, v46, v9, vcc_lo
	s_delay_alu instid0(VALU_DEP_3) | instskip(NEXT) | instid1(VALU_DEP_2)
	v_cmp_gt_i32_e32 vcc_lo, 32, v26
	v_lshlrev_b32_e32 v24, 2, v9
	s_wait_alu 0xfffd
	v_cndmask_b32_e32 v26, v46, v26, vcc_lo
	ds_bpermute_b32 v9, v24, v38
	ds_bpermute_b32 v10, v24, v39
	;; [unrolled: 1-line block ×16, first 2 shown]
	s_wait_dscnt 0xe
	v_add_f64_e32 v[9:10], v[38:39], v[9:10]
	s_wait_dscnt 0xc
	v_add_f64_e32 v[11:12], v[34:35], v[11:12]
	;; [unrolled: 2-line block ×5, first 2 shown]
	v_lshlrev_b32_e32 v41, 2, v26
	s_wait_dscnt 0x4
	v_add_f64_e32 v[19:20], v[42:43], v[19:20]
	s_wait_dscnt 0x2
	v_add_f64_e32 v[21:22], v[32:33], v[21:22]
	;; [unrolled: 2-line block ×3, first 2 shown]
	ds_bpermute_b32 v26, v41, v9
	ds_bpermute_b32 v27, v41, v10
	;; [unrolled: 1-line block ×16, first 2 shown]
	s_wait_dscnt 0xe
	v_add_f64_e32 v[9:10], v[9:10], v[26:27]
	s_wait_dscnt 0xc
	v_add_f64_e32 v[11:12], v[11:12], v[28:29]
	;; [unrolled: 2-line block ×8, first 2 shown]
	v_xor_b32_e32 v23, 2, v46
	s_delay_alu instid0(VALU_DEP_1) | instskip(SKIP_2) | instid1(VALU_DEP_1)
	v_cmp_gt_i32_e32 vcc_lo, 32, v23
	s_wait_alu 0xfffd
	v_cndmask_b32_e32 v23, v46, v23, vcc_lo
	v_lshlrev_b32_e32 v41, 2, v23
	ds_bpermute_b32 v23, v41, v9
	ds_bpermute_b32 v24, v41, v10
	;; [unrolled: 1-line block ×16, first 2 shown]
	s_wait_dscnt 0xe
	v_add_f64_e32 v[9:10], v[9:10], v[23:24]
	s_wait_dscnt 0xc
	v_add_f64_e32 v[28:29], v[11:12], v[28:29]
	;; [unrolled: 2-line block ×7, first 2 shown]
	v_xor_b32_e32 v21, 1, v46
	s_wait_dscnt 0x0
	v_add_f64_e32 v[17:18], v[26:27], v[40:41]
	s_delay_alu instid0(VALU_DEP_2) | instskip(SKIP_3) | instid1(VALU_DEP_2)
	v_cmp_gt_i32_e32 vcc_lo, 32, v21
	s_wait_alu 0xfffd
	v_cndmask_b32_e32 v21, v46, v21, vcc_lo
	v_cmp_eq_u32_e32 vcc_lo, 15, v0
	v_lshlrev_b32_e32 v35, 2, v21
	ds_bpermute_b32 v21, v35, v9
	ds_bpermute_b32 v22, v35, v10
	;; [unrolled: 1-line block ×16, first 2 shown]
	s_and_b32 exec_lo, exec_lo, vcc_lo
	s_cbranch_execz .LBB17_8
; %bb.36:
	s_wait_dscnt 0xc
	v_add_f64_e32 v[28:29], v[28:29], v[40:41]
	s_wait_dscnt 0x8
	v_add_f64_e32 v[23:24], v[23:24], v[38:39]
	;; [unrolled: 2-line block ×4, first 2 shown]
	v_add_f64_e32 v[9:10], v[9:10], v[21:22]
	v_add_f64_e32 v[11:12], v[11:12], v[26:27]
	;; [unrolled: 1-line block ×4, first 2 shown]
	v_cmp_eq_f64_e32 vcc_lo, 0, v[1:2]
	v_cmp_eq_f64_e64 s2, 0, v[3:4]
	s_load_b64 s[0:1], s[0:1], 0x60
	v_mul_f64_e64 v[13:14], v[28:29], -v[7:8]
	v_mul_f64_e32 v[15:16], v[5:6], v[28:29]
	v_mul_f64_e64 v[28:29], v[23:24], -v[7:8]
	v_mul_f64_e32 v[23:24], v[5:6], v[23:24]
	v_mul_f64_e64 v[30:31], v[19:20], -v[7:8]
	v_mul_f64_e32 v[32:33], v[5:6], v[19:20]
	v_mul_f64_e64 v[34:35], v[17:18], -v[7:8]
	v_mul_f64_e32 v[36:37], v[5:6], v[17:18]
	s_and_b32 s2, vcc_lo, s2
	v_fma_f64 v[17:18], v[5:6], v[9:10], v[13:14]
	v_fma_f64 v[19:20], v[7:8], v[9:10], v[15:16]
	v_fma_f64 v[13:14], v[5:6], v[11:12], v[28:29]
	v_fma_f64 v[15:16], v[7:8], v[11:12], v[23:24]
	v_fma_f64 v[9:10], v[5:6], v[21:22], v[30:31]
	v_fma_f64 v[11:12], v[7:8], v[21:22], v[32:33]
	v_fma_f64 v[5:6], v[5:6], v[26:27], v[34:35]
	v_fma_f64 v[7:8], v[7:8], v[26:27], v[36:37]
	v_lshlrev_b32_e32 v21, 2, v25
	s_wait_alu 0xfffe
	s_and_saveexec_b32 s3, s2
	s_wait_alu 0xfffe
	s_xor_b32 s2, exec_lo, s3
	s_cbranch_execz .LBB17_38
; %bb.37:
	v_ashrrev_i32_e32 v22, 31, v21
	s_delay_alu instid0(VALU_DEP_1) | instskip(SKIP_1) | instid1(VALU_DEP_1)
	v_lshlrev_b64_e32 v[0:1], 4, v[21:22]
                                        ; implicit-def: $vgpr21
	s_wait_kmcnt 0x0
	v_add_co_u32 v0, vcc_lo, s0, v0
	s_wait_alu 0xfffd
	s_delay_alu instid0(VALU_DEP_2)
	v_add_co_ci_u32_e64 v1, null, s1, v1, vcc_lo
	s_clause 0x3
	global_store_b128 v[0:1], v[17:20], off
	global_store_b128 v[0:1], v[13:16], off offset:16
	global_store_b128 v[0:1], v[9:12], off offset:32
	;; [unrolled: 1-line block ×3, first 2 shown]
                                        ; implicit-def: $vgpr3_vgpr4
                                        ; implicit-def: $vgpr17_vgpr18
                                        ; implicit-def: $vgpr13_vgpr14
                                        ; implicit-def: $vgpr9_vgpr10
                                        ; implicit-def: $vgpr5_vgpr6
.LBB17_38:
	s_wait_alu 0xfffe
	s_and_not1_saveexec_b32 s2, s2
	s_cbranch_execz .LBB17_8
; %bb.39:
	v_ashrrev_i32_e32 v22, 31, v21
	s_delay_alu instid0(VALU_DEP_1) | instskip(SKIP_1) | instid1(VALU_DEP_1)
	v_lshlrev_b64_e32 v[21:22], 4, v[21:22]
	s_wait_kmcnt 0x0
	v_add_co_u32 v37, vcc_lo, s0, v21
	s_wait_alu 0xfffd
	s_delay_alu instid0(VALU_DEP_2)
	v_add_co_ci_u32_e64 v38, null, s1, v22, vcc_lo
	s_clause 0x3
	global_load_b128 v[21:24], v[37:38], off
	global_load_b128 v[25:28], v[37:38], off offset:16
	global_load_b128 v[29:32], v[37:38], off offset:32
	;; [unrolled: 1-line block ×3, first 2 shown]
	s_wait_loadcnt 0x3
	v_fma_f64 v[17:18], v[1:2], v[21:22], v[17:18]
	v_fma_f64 v[19:20], v[3:4], v[21:22], v[19:20]
	s_wait_loadcnt 0x2
	v_fma_f64 v[13:14], v[1:2], v[25:26], v[13:14]
	v_fma_f64 v[15:16], v[3:4], v[25:26], v[15:16]
	;; [unrolled: 3-line block ×4, first 2 shown]
	v_fma_f64 v[5:6], -v[3:4], v[23:24], v[17:18]
	v_fma_f64 v[7:8], v[1:2], v[23:24], v[19:20]
	v_fma_f64 v[9:10], -v[3:4], v[27:28], v[13:14]
	v_fma_f64 v[11:12], v[1:2], v[27:28], v[15:16]
	;; [unrolled: 2-line block ×4, first 2 shown]
	s_clause 0x3
	global_store_b128 v[37:38], v[5:8], off
	global_store_b128 v[37:38], v[9:12], off offset:16
	global_store_b128 v[37:38], v[13:16], off offset:32
	;; [unrolled: 1-line block ×3, first 2 shown]
	s_nop 0
	s_sendmsg sendmsg(MSG_DEALLOC_VGPRS)
	s_endpgm
	.section	.rodata,"a",@progbits
	.p2align	6, 0x0
	.amdhsa_kernel _ZN9rocsparseL18bsrxmvn_4x4_kernelILj128ELj16E21rocsparse_complex_numIdEiiS2_S2_S2_EEvT3_20rocsparse_direction_NS_24const_host_device_scalarIT1_EES3_PKS3_PKT2_SC_S9_PKT4_PKT5_S7_PT6_21rocsparse_index_base_b
		.amdhsa_group_segment_fixed_size 0
		.amdhsa_private_segment_fixed_size 0
		.amdhsa_kernarg_size 112
		.amdhsa_user_sgpr_count 2
		.amdhsa_user_sgpr_dispatch_ptr 0
		.amdhsa_user_sgpr_queue_ptr 0
		.amdhsa_user_sgpr_kernarg_segment_ptr 1
		.amdhsa_user_sgpr_dispatch_id 0
		.amdhsa_user_sgpr_private_segment_size 0
		.amdhsa_wavefront_size32 1
		.amdhsa_uses_dynamic_stack 0
		.amdhsa_enable_private_segment 0
		.amdhsa_system_sgpr_workgroup_id_x 1
		.amdhsa_system_sgpr_workgroup_id_y 0
		.amdhsa_system_sgpr_workgroup_id_z 0
		.amdhsa_system_sgpr_workgroup_info 0
		.amdhsa_system_vgpr_workitem_id 0
		.amdhsa_next_free_vgpr 153
		.amdhsa_next_free_sgpr 14
		.amdhsa_reserve_vcc 1
		.amdhsa_float_round_mode_32 0
		.amdhsa_float_round_mode_16_64 0
		.amdhsa_float_denorm_mode_32 3
		.amdhsa_float_denorm_mode_16_64 3
		.amdhsa_fp16_overflow 0
		.amdhsa_workgroup_processor_mode 1
		.amdhsa_memory_ordered 1
		.amdhsa_forward_progress 1
		.amdhsa_inst_pref_size 92
		.amdhsa_round_robin_scheduling 0
		.amdhsa_exception_fp_ieee_invalid_op 0
		.amdhsa_exception_fp_denorm_src 0
		.amdhsa_exception_fp_ieee_div_zero 0
		.amdhsa_exception_fp_ieee_overflow 0
		.amdhsa_exception_fp_ieee_underflow 0
		.amdhsa_exception_fp_ieee_inexact 0
		.amdhsa_exception_int_div_zero 0
	.end_amdhsa_kernel
	.section	.text._ZN9rocsparseL18bsrxmvn_4x4_kernelILj128ELj16E21rocsparse_complex_numIdEiiS2_S2_S2_EEvT3_20rocsparse_direction_NS_24const_host_device_scalarIT1_EES3_PKS3_PKT2_SC_S9_PKT4_PKT5_S7_PT6_21rocsparse_index_base_b,"axG",@progbits,_ZN9rocsparseL18bsrxmvn_4x4_kernelILj128ELj16E21rocsparse_complex_numIdEiiS2_S2_S2_EEvT3_20rocsparse_direction_NS_24const_host_device_scalarIT1_EES3_PKS3_PKT2_SC_S9_PKT4_PKT5_S7_PT6_21rocsparse_index_base_b,comdat
.Lfunc_end17:
	.size	_ZN9rocsparseL18bsrxmvn_4x4_kernelILj128ELj16E21rocsparse_complex_numIdEiiS2_S2_S2_EEvT3_20rocsparse_direction_NS_24const_host_device_scalarIT1_EES3_PKS3_PKT2_SC_S9_PKT4_PKT5_S7_PT6_21rocsparse_index_base_b, .Lfunc_end17-_ZN9rocsparseL18bsrxmvn_4x4_kernelILj128ELj16E21rocsparse_complex_numIdEiiS2_S2_S2_EEvT3_20rocsparse_direction_NS_24const_host_device_scalarIT1_EES3_PKS3_PKT2_SC_S9_PKT4_PKT5_S7_PT6_21rocsparse_index_base_b
                                        ; -- End function
	.set _ZN9rocsparseL18bsrxmvn_4x4_kernelILj128ELj16E21rocsparse_complex_numIdEiiS2_S2_S2_EEvT3_20rocsparse_direction_NS_24const_host_device_scalarIT1_EES3_PKS3_PKT2_SC_S9_PKT4_PKT5_S7_PT6_21rocsparse_index_base_b.num_vgpr, 153
	.set _ZN9rocsparseL18bsrxmvn_4x4_kernelILj128ELj16E21rocsparse_complex_numIdEiiS2_S2_S2_EEvT3_20rocsparse_direction_NS_24const_host_device_scalarIT1_EES3_PKS3_PKT2_SC_S9_PKT4_PKT5_S7_PT6_21rocsparse_index_base_b.num_agpr, 0
	.set _ZN9rocsparseL18bsrxmvn_4x4_kernelILj128ELj16E21rocsparse_complex_numIdEiiS2_S2_S2_EEvT3_20rocsparse_direction_NS_24const_host_device_scalarIT1_EES3_PKS3_PKT2_SC_S9_PKT4_PKT5_S7_PT6_21rocsparse_index_base_b.numbered_sgpr, 14
	.set _ZN9rocsparseL18bsrxmvn_4x4_kernelILj128ELj16E21rocsparse_complex_numIdEiiS2_S2_S2_EEvT3_20rocsparse_direction_NS_24const_host_device_scalarIT1_EES3_PKS3_PKT2_SC_S9_PKT4_PKT5_S7_PT6_21rocsparse_index_base_b.num_named_barrier, 0
	.set _ZN9rocsparseL18bsrxmvn_4x4_kernelILj128ELj16E21rocsparse_complex_numIdEiiS2_S2_S2_EEvT3_20rocsparse_direction_NS_24const_host_device_scalarIT1_EES3_PKS3_PKT2_SC_S9_PKT4_PKT5_S7_PT6_21rocsparse_index_base_b.private_seg_size, 0
	.set _ZN9rocsparseL18bsrxmvn_4x4_kernelILj128ELj16E21rocsparse_complex_numIdEiiS2_S2_S2_EEvT3_20rocsparse_direction_NS_24const_host_device_scalarIT1_EES3_PKS3_PKT2_SC_S9_PKT4_PKT5_S7_PT6_21rocsparse_index_base_b.uses_vcc, 1
	.set _ZN9rocsparseL18bsrxmvn_4x4_kernelILj128ELj16E21rocsparse_complex_numIdEiiS2_S2_S2_EEvT3_20rocsparse_direction_NS_24const_host_device_scalarIT1_EES3_PKS3_PKT2_SC_S9_PKT4_PKT5_S7_PT6_21rocsparse_index_base_b.uses_flat_scratch, 0
	.set _ZN9rocsparseL18bsrxmvn_4x4_kernelILj128ELj16E21rocsparse_complex_numIdEiiS2_S2_S2_EEvT3_20rocsparse_direction_NS_24const_host_device_scalarIT1_EES3_PKS3_PKT2_SC_S9_PKT4_PKT5_S7_PT6_21rocsparse_index_base_b.has_dyn_sized_stack, 0
	.set _ZN9rocsparseL18bsrxmvn_4x4_kernelILj128ELj16E21rocsparse_complex_numIdEiiS2_S2_S2_EEvT3_20rocsparse_direction_NS_24const_host_device_scalarIT1_EES3_PKS3_PKT2_SC_S9_PKT4_PKT5_S7_PT6_21rocsparse_index_base_b.has_recursion, 0
	.set _ZN9rocsparseL18bsrxmvn_4x4_kernelILj128ELj16E21rocsparse_complex_numIdEiiS2_S2_S2_EEvT3_20rocsparse_direction_NS_24const_host_device_scalarIT1_EES3_PKS3_PKT2_SC_S9_PKT4_PKT5_S7_PT6_21rocsparse_index_base_b.has_indirect_call, 0
	.section	.AMDGPU.csdata,"",@progbits
; Kernel info:
; codeLenInByte = 11672
; TotalNumSgprs: 16
; NumVgprs: 153
; ScratchSize: 0
; MemoryBound: 1
; FloatMode: 240
; IeeeMode: 1
; LDSByteSize: 0 bytes/workgroup (compile time only)
; SGPRBlocks: 0
; VGPRBlocks: 19
; NumSGPRsForWavesPerEU: 16
; NumVGPRsForWavesPerEU: 153
; Occupancy: 9
; WaveLimiterHint : 1
; COMPUTE_PGM_RSRC2:SCRATCH_EN: 0
; COMPUTE_PGM_RSRC2:USER_SGPR: 2
; COMPUTE_PGM_RSRC2:TRAP_HANDLER: 0
; COMPUTE_PGM_RSRC2:TGID_X_EN: 1
; COMPUTE_PGM_RSRC2:TGID_Y_EN: 0
; COMPUTE_PGM_RSRC2:TGID_Z_EN: 0
; COMPUTE_PGM_RSRC2:TIDIG_COMP_CNT: 0
	.section	.text._ZN9rocsparseL18bsrxmvn_4x4_kernelILj128ELj32E21rocsparse_complex_numIdEiiS2_S2_S2_EEvT3_20rocsparse_direction_NS_24const_host_device_scalarIT1_EES3_PKS3_PKT2_SC_S9_PKT4_PKT5_S7_PT6_21rocsparse_index_base_b,"axG",@progbits,_ZN9rocsparseL18bsrxmvn_4x4_kernelILj128ELj32E21rocsparse_complex_numIdEiiS2_S2_S2_EEvT3_20rocsparse_direction_NS_24const_host_device_scalarIT1_EES3_PKS3_PKT2_SC_S9_PKT4_PKT5_S7_PT6_21rocsparse_index_base_b,comdat
	.globl	_ZN9rocsparseL18bsrxmvn_4x4_kernelILj128ELj32E21rocsparse_complex_numIdEiiS2_S2_S2_EEvT3_20rocsparse_direction_NS_24const_host_device_scalarIT1_EES3_PKS3_PKT2_SC_S9_PKT4_PKT5_S7_PT6_21rocsparse_index_base_b ; -- Begin function _ZN9rocsparseL18bsrxmvn_4x4_kernelILj128ELj32E21rocsparse_complex_numIdEiiS2_S2_S2_EEvT3_20rocsparse_direction_NS_24const_host_device_scalarIT1_EES3_PKS3_PKT2_SC_S9_PKT4_PKT5_S7_PT6_21rocsparse_index_base_b
	.p2align	8
	.type	_ZN9rocsparseL18bsrxmvn_4x4_kernelILj128ELj32E21rocsparse_complex_numIdEiiS2_S2_S2_EEvT3_20rocsparse_direction_NS_24const_host_device_scalarIT1_EES3_PKS3_PKT2_SC_S9_PKT4_PKT5_S7_PT6_21rocsparse_index_base_b,@function
_ZN9rocsparseL18bsrxmvn_4x4_kernelILj128ELj32E21rocsparse_complex_numIdEiiS2_S2_S2_EEvT3_20rocsparse_direction_NS_24const_host_device_scalarIT1_EES3_PKS3_PKT2_SC_S9_PKT4_PKT5_S7_PT6_21rocsparse_index_base_b: ; @_ZN9rocsparseL18bsrxmvn_4x4_kernelILj128ELj32E21rocsparse_complex_numIdEiiS2_S2_S2_EEvT3_20rocsparse_direction_NS_24const_host_device_scalarIT1_EES3_PKS3_PKT2_SC_S9_PKT4_PKT5_S7_PT6_21rocsparse_index_base_b
; %bb.0:
	s_clause 0x1
	s_load_b64 s[12:13], s[0:1], 0x68
	s_load_b64 s[2:3], s[0:1], 0x8
	s_add_nc_u64 s[4:5], s[0:1], 8
	s_load_b64 s[6:7], s[0:1], 0x50
	s_wait_kmcnt 0x0
	s_bitcmp1_b32 s13, 0
	s_cselect_b32 s2, s4, s2
	s_cselect_b32 s3, s5, s3
	s_delay_alu instid0(SALU_CYCLE_1)
	v_dual_mov_b32 v1, s2 :: v_dual_mov_b32 v2, s3
	s_add_nc_u64 s[2:3], s[0:1], 0x50
	s_wait_alu 0xfffe
	s_cselect_b32 s2, s2, s6
	s_cselect_b32 s3, s3, s7
	flat_load_b128 v[5:8], v[1:2]
	s_wait_alu 0xfffe
	v_dual_mov_b32 v1, s2 :: v_dual_mov_b32 v2, s3
	flat_load_b128 v[1:4], v[1:2]
	s_wait_loadcnt_dscnt 0x101
	v_cmp_eq_f64_e32 vcc_lo, 0, v[5:6]
	v_cmp_eq_f64_e64 s2, 0, v[7:8]
	s_and_b32 s4, vcc_lo, s2
	s_mov_b32 s2, -1
	s_and_saveexec_b32 s3, s4
	s_cbranch_execz .LBB18_2
; %bb.1:
	s_wait_loadcnt_dscnt 0x0
	v_cmp_neq_f64_e32 vcc_lo, 1.0, v[1:2]
	v_cmp_neq_f64_e64 s2, 0, v[3:4]
	s_wait_alu 0xfffe
	s_or_b32 s2, vcc_lo, s2
	s_wait_alu 0xfffe
	s_or_not1_b32 s2, s2, exec_lo
.LBB18_2:
	s_wait_alu 0xfffe
	s_or_b32 exec_lo, exec_lo, s3
	s_and_saveexec_b32 s3, s2
	s_cbranch_execz .LBB18_8
; %bb.3:
	s_clause 0x1
	s_load_b64 s[4:5], s[0:1], 0x20
	s_load_b64 s[2:3], s[0:1], 0x0
	v_lshrrev_b32_e32 v9, 5, v0
	s_delay_alu instid0(VALU_DEP_1)
	v_lshl_or_b32 v25, ttmp9, 2, v9
	s_wait_kmcnt 0x0
	s_cmp_lg_u64 s[4:5], 0
	s_cbranch_scc0 .LBB18_9
; %bb.4:
	s_load_b32 s6, s[0:1], 0x18
	s_mov_b32 s7, 0
                                        ; implicit-def: $vgpr9
	s_wait_kmcnt 0x0
	v_cmp_gt_i32_e32 vcc_lo, s6, v25
	s_mov_b32 s6, 0
	s_and_saveexec_b32 s8, vcc_lo
	s_delay_alu instid0(SALU_CYCLE_1)
	s_xor_b32 s8, exec_lo, s8
	s_cbranch_execz .LBB18_6
; %bb.5:
	v_ashrrev_i32_e32 v26, 31, v25
	s_mov_b32 s6, exec_lo
	s_delay_alu instid0(VALU_DEP_1) | instskip(NEXT) | instid1(VALU_DEP_1)
	v_lshlrev_b64_e32 v[9:10], 2, v[25:26]
	v_add_co_u32 v9, vcc_lo, s4, v9
	s_delay_alu instid0(VALU_DEP_1)
	v_add_co_ci_u32_e64 v10, null, s5, v10, vcc_lo
	global_load_b32 v9, v[9:10], off
	s_wait_loadcnt 0x0
	v_subrev_nc_u32_e32 v9, s12, v9
.LBB18_6:
	s_or_b32 exec_lo, exec_lo, s8
	s_delay_alu instid0(SALU_CYCLE_1)
	s_and_b32 vcc_lo, exec_lo, s7
	s_wait_alu 0xfffe
	s_cbranch_vccz .LBB18_10
.LBB18_7:
	v_cmp_gt_i32_e32 vcc_lo, s2, v25
	s_and_not1_b32 s2, s6, exec_lo
	s_and_b32 s4, vcc_lo, exec_lo
	s_wait_alu 0xfffe
	s_or_b32 s6, s2, s4
	s_wait_alu 0xfffe
	s_and_b32 exec_lo, exec_lo, s6
	s_cbranch_execnz .LBB18_11
.LBB18_8:
	s_nop 0
	s_sendmsg sendmsg(MSG_DEALLOC_VGPRS)
	s_endpgm
.LBB18_9:
	s_mov_b32 s6, 0
                                        ; implicit-def: $vgpr9
	s_cbranch_execnz .LBB18_7
.LBB18_10:
	v_mov_b32_e32 v25, v9
	s_and_b32 exec_lo, exec_lo, s6
	s_cbranch_execz .LBB18_8
.LBB18_11:
	s_load_b256 s[4:11], s[0:1], 0x28
	s_delay_alu instid0(VALU_DEP_1) | instskip(SKIP_1) | instid1(VALU_DEP_2)
	v_ashrrev_i32_e32 v26, 31, v25
	v_and_b32_e32 v0, 31, v0
	v_lshlrev_b64_e32 v[9:10], 2, v[25:26]
	s_wait_kmcnt 0x0
	s_delay_alu instid0(VALU_DEP_1) | instskip(SKIP_1) | instid1(VALU_DEP_2)
	v_add_co_u32 v11, vcc_lo, s4, v9
	s_wait_alu 0xfffd
	v_add_co_ci_u32_e64 v12, null, s5, v10, vcc_lo
	v_add_co_u32 v9, vcc_lo, s6, v9
	s_wait_alu 0xfffd
	v_add_co_ci_u32_e64 v10, null, s7, v10, vcc_lo
	global_load_b32 v51, v[11:12], off
	v_add_co_u32 v11, vcc_lo, v11, 4
	s_wait_alu 0xfffd
	v_add_co_ci_u32_e64 v12, null, 0, v12, vcc_lo
	s_cmp_eq_u64 s[6:7], 0
	s_load_b64 s[4:5], s[0:1], 0x48
	s_cselect_b32 vcc_lo, -1, 0
	s_cmp_eq_u32 s3, 1
	s_wait_alu 0xfffe
	v_dual_cndmask_b32 v10, v10, v12 :: v_dual_cndmask_b32 v9, v9, v11
	global_load_b32 v11, v[9:10], off
	s_wait_loadcnt 0x1
	v_subrev_nc_u32_e32 v9, s12, v51
	s_delay_alu instid0(VALU_DEP_1) | instskip(NEXT) | instid1(VALU_DEP_1)
	v_add_nc_u32_e32 v26, v9, v0
	v_ashrrev_i32_e32 v27, 31, v26
	s_wait_loadcnt 0x0
	v_subrev_nc_u32_e32 v50, s12, v11
	s_delay_alu instid0(VALU_DEP_2) | instskip(NEXT) | instid1(VALU_DEP_2)
	v_lshlrev_b64_e32 v[9:10], 8, v[26:27]
	v_cmp_lt_i32_e64 s2, v26, v50
	s_delay_alu instid0(VALU_DEP_2) | instskip(SKIP_1) | instid1(VALU_DEP_3)
	v_add_co_u32 v28, vcc_lo, s10, v9
	s_wait_alu 0xfffd
	v_add_co_ci_u32_e64 v29, null, s11, v10, vcc_lo
	s_cbranch_scc1 .LBB18_23
; %bb.12:
	v_mov_b32_e32 v34, 0
	v_mov_b32_e32 v32, 0
	;; [unrolled: 1-line block ×3, first 2 shown]
	v_dual_mov_b32 v44, 0 :: v_dual_mov_b32 v35, 0
	v_dual_mov_b32 v38, 0 :: v_dual_mov_b32 v33, 0
	v_dual_mov_b32 v30, 0 :: v_dual_mov_b32 v41, 0
	v_dual_mov_b32 v42, 0 :: v_dual_mov_b32 v45, 0
	v_dual_mov_b32 v36, 0 :: v_dual_mov_b32 v39, 0
	v_mov_b32_e32 v31, 0
	v_mov_b32_e32 v43, 0
	;; [unrolled: 1-line block ×3, first 2 shown]
	s_and_saveexec_b32 s6, s2
	s_cbranch_execz .LBB18_22
; %bb.13:
	v_dual_mov_b32 v36, 0 :: v_dual_add_nc_u32 v9, v51, v0
	v_not_b32_e32 v10, v51
	v_dual_mov_b32 v37, 0 :: v_dual_mov_b32 v42, 0
	s_delay_alu instid0(VALU_DEP_3) | instskip(SKIP_2) | instid1(VALU_DEP_3)
	v_subrev_nc_u32_e32 v9, s12, v9
	v_dual_mov_b32 v43, 0 :: v_dual_mov_b32 v30, 0
	v_dual_mov_b32 v31, 0 :: v_dual_mov_b32 v32, 0
	v_dual_mov_b32 v44, 0 :: v_dual_add_nc_u32 v9, 32, v9
	v_dual_mov_b32 v33, 0 :: v_dual_mov_b32 v38, 0
	v_dual_mov_b32 v45, 0 :: v_dual_mov_b32 v40, 0
	s_delay_alu instid0(VALU_DEP_3) | instskip(SKIP_2) | instid1(VALU_DEP_3)
	v_max_i32_e32 v9, v9, v50
	v_dual_mov_b32 v39, 0 :: v_dual_mov_b32 v34, 0
	v_dual_mov_b32 v49, v29 :: v_dual_mov_b32 v46, v26
	v_add3_u32 v9, s12, v9, v10
	v_dual_mov_b32 v35, 0 :: v_dual_mov_b32 v48, v28
	s_mov_b32 s3, exec_lo
	s_delay_alu instid0(VALU_DEP_2) | instskip(NEXT) | instid1(VALU_DEP_1)
	v_sub_nc_u32_e32 v9, v9, v0
	v_dual_mov_b32 v41, 0 :: v_dual_and_b32 v10, 0x60, v9
	s_delay_alu instid0(VALU_DEP_1)
	v_cmpx_ne_u32_e32 0x60, v10
	s_cbranch_execz .LBB18_17
; %bb.14:
	v_lshrrev_b32_e32 v10, 5, v9
	v_mov_b32_e32 v34, 0
	v_dual_mov_b32 v35, 0 :: v_dual_mov_b32 v38, 0
	v_mov_b32_e32 v32, 0
	s_delay_alu instid0(VALU_DEP_4) | instskip(SKIP_3) | instid1(VALU_DEP_4)
	v_add_nc_u32_e32 v10, 1, v10
	v_mov_b32_e32 v30, 0
	v_mov_b32_e32 v40, 0
	v_dual_mov_b32 v42, 0 :: v_dual_mov_b32 v49, v29
	v_and_b32_e32 v10, 3, v10
	v_mov_b32_e32 v44, 0
	v_mov_b32_e32 v36, 0
	v_dual_mov_b32 v46, v26 :: v_dual_mov_b32 v33, 0
	v_mov_b32_e32 v39, 0
	v_mov_b32_e32 v31, 0
	;; [unrolled: 1-line block ×6, first 2 shown]
	v_sub_nc_u32_e32 v10, 0, v10
	v_mov_b32_e32 v48, v28
	s_mov_b32 s7, 0
.LBB18_15:                              ; =>This Inner Loop Header: Depth=1
	v_ashrrev_i32_e32 v47, 31, v46
	s_delay_alu instid0(VALU_DEP_3) | instskip(SKIP_2) | instid1(VALU_DEP_2)
	v_add_co_u32 v10, s10, v10, 1
	s_wait_alu 0xfffe
	s_or_b32 s7, s10, s7
	v_lshlrev_b64_e32 v[11:12], 2, v[46:47]
	v_add_nc_u32_e32 v46, 32, v46
	s_delay_alu instid0(VALU_DEP_2) | instskip(SKIP_1) | instid1(VALU_DEP_3)
	v_add_co_u32 v11, vcc_lo, s8, v11
	s_wait_alu 0xfffd
	v_add_co_ci_u32_e64 v12, null, s9, v12, vcc_lo
	global_load_b32 v23, v[11:12], off
	s_clause 0x7
	global_load_b128 v[11:14], v[48:49], off offset:16
	global_load_b128 v[15:18], v[48:49], off
	global_load_b128 v[19:22], v[48:49], off offset:80
	global_load_b128 v[52:55], v[48:49], off offset:64
	;; [unrolled: 1-line block ×6, first 2 shown]
	s_wait_loadcnt 0x8
	v_subrev_nc_u32_e32 v23, s12, v23
	s_delay_alu instid0(VALU_DEP_1) | instskip(NEXT) | instid1(VALU_DEP_1)
	v_lshlrev_b32_e32 v23, 2, v23
	v_ashrrev_i32_e32 v24, 31, v23
	s_delay_alu instid0(VALU_DEP_1) | instskip(SKIP_1) | instid1(VALU_DEP_1)
	v_lshlrev_b64_e32 v[23:24], 4, v[23:24]
	s_wait_kmcnt 0x0
	v_add_co_u32 v23, vcc_lo, s4, v23
	s_wait_alu 0xfffd
	s_delay_alu instid0(VALU_DEP_2)
	v_add_co_ci_u32_e64 v24, null, s5, v24, vcc_lo
	s_clause 0x1
	global_load_b128 v[72:75], v[23:24], off
	global_load_b128 v[76:79], v[23:24], off offset:16
	s_clause 0x7
	global_load_b128 v[80:83], v[48:49], off offset:48
	global_load_b128 v[84:87], v[48:49], off offset:32
	;; [unrolled: 1-line block ×8, first 2 shown]
	s_clause 0x1
	global_load_b128 v[112:115], v[23:24], off offset:32
	global_load_b128 v[116:119], v[23:24], off offset:48
	v_add_co_u32 v48, vcc_lo, 0x2000, v48
	s_wait_alu 0xfffd
	v_add_co_ci_u32_e64 v49, null, 0, v49, vcc_lo
	s_wait_loadcnt 0xb
	v_fma_f64 v[23:24], v[15:16], v[72:73], v[38:39]
	v_fma_f64 v[34:35], v[17:18], v[72:73], v[34:35]
	v_fma_f64 v[38:39], v[52:53], v[72:73], v[44:45]
	v_fma_f64 v[36:37], v[54:55], v[72:73], v[36:37]
	v_fma_f64 v[40:41], v[60:61], v[72:73], v[40:41]
	v_fma_f64 v[42:43], v[62:63], v[72:73], v[42:43]
	v_fma_f64 v[32:33], v[68:69], v[72:73], v[32:33]
	v_fma_f64 v[30:31], v[70:71], v[72:73], v[30:31]
	v_fma_f64 v[17:18], -v[17:18], v[74:75], v[23:24]
	v_fma_f64 v[15:16], v[15:16], v[74:75], v[34:35]
	v_fma_f64 v[23:24], -v[54:55], v[74:75], v[38:39]
	v_fma_f64 v[34:35], v[52:53], v[74:75], v[36:37]
	v_fma_f64 v[36:37], -v[62:63], v[74:75], v[40:41]
	v_fma_f64 v[38:39], v[60:61], v[74:75], v[42:43]
	v_fma_f64 v[32:33], -v[70:71], v[74:75], v[32:33]
	v_fma_f64 v[30:31], v[68:69], v[74:75], v[30:31]
	s_wait_loadcnt 0xa
	v_fma_f64 v[17:18], v[11:12], v[76:77], v[17:18]
	v_fma_f64 v[15:16], v[13:14], v[76:77], v[15:16]
	v_fma_f64 v[23:24], v[19:20], v[76:77], v[23:24]
	v_fma_f64 v[34:35], v[21:22], v[76:77], v[34:35]
	v_fma_f64 v[36:37], v[56:57], v[76:77], v[36:37]
	v_fma_f64 v[38:39], v[58:59], v[76:77], v[38:39]
	v_fma_f64 v[32:33], v[64:65], v[76:77], v[32:33]
	v_fma_f64 v[30:31], v[66:67], v[76:77], v[30:31]
	v_fma_f64 v[13:14], -v[13:14], v[78:79], v[17:18]
	v_fma_f64 v[11:12], v[11:12], v[78:79], v[15:16]
	v_fma_f64 v[15:16], -v[21:22], v[78:79], v[23:24]
	v_fma_f64 v[17:18], v[19:20], v[78:79], v[34:35]
	v_fma_f64 v[19:20], -v[58:59], v[78:79], v[36:37]
	v_fma_f64 v[21:22], v[56:57], v[78:79], v[38:39]
	v_fma_f64 v[23:24], -v[66:67], v[78:79], v[32:33]
	v_fma_f64 v[30:31], v[64:65], v[78:79], v[30:31]
	;; [unrolled: 17-line block ×4, first 2 shown]
	s_wait_alu 0xfffe
	s_and_not1_b32 exec_lo, exec_lo, s7
	s_cbranch_execnz .LBB18_15
; %bb.16:
	s_or_b32 exec_lo, exec_lo, s7
.LBB18_17:
	s_wait_alu 0xfffe
	s_or_b32 exec_lo, exec_lo, s3
	s_delay_alu instid0(SALU_CYCLE_1)
	s_mov_b32 s7, exec_lo
	v_cmpx_lt_u32_e32 0x5f, v9
	s_cbranch_execz .LBB18_21
; %bb.18:
	s_mov_b32 s10, 0
.LBB18_19:                              ; =>This Inner Loop Header: Depth=1
	v_ashrrev_i32_e32 v47, 31, v46
	s_delay_alu instid0(VALU_DEP_1) | instskip(SKIP_1) | instid1(VALU_DEP_2)
	v_lshlrev_b64_e32 v[9:10], 2, v[46:47]
	v_add_nc_u32_e32 v46, 0x80, v46
	v_add_co_u32 v52, vcc_lo, s8, v9
	s_wait_alu 0xfffd
	s_delay_alu instid0(VALU_DEP_3)
	v_add_co_ci_u32_e64 v53, null, s9, v10, vcc_lo
	global_load_b32 v27, v[52:53], off
	s_clause 0x3
	global_load_b128 v[21:24], v[48:49], off
	global_load_b128 v[17:20], v[48:49], off offset:64
	global_load_b128 v[13:16], v[48:49], off offset:128
	;; [unrolled: 1-line block ×3, first 2 shown]
	s_clause 0x2
	global_load_b32 v47, v[52:53], off offset:128
	global_load_b32 v150, v[52:53], off offset:256
	;; [unrolled: 1-line block ×3, first 2 shown]
	s_wait_loadcnt 0x7
	v_subrev_nc_u32_e32 v27, s12, v27
	s_delay_alu instid0(VALU_DEP_1) | instskip(SKIP_2) | instid1(VALU_DEP_2)
	v_lshlrev_b32_e32 v52, 2, v27
	s_wait_loadcnt 0x2
	v_subrev_nc_u32_e32 v27, s12, v47
	v_ashrrev_i32_e32 v53, 31, v52
	s_delay_alu instid0(VALU_DEP_2) | instskip(SKIP_2) | instid1(VALU_DEP_3)
	v_lshlrev_b32_e32 v132, 2, v27
	s_wait_loadcnt 0x1
	v_subrev_nc_u32_e32 v27, s12, v150
	v_lshlrev_b64_e32 v[52:53], 4, v[52:53]
	s_delay_alu instid0(VALU_DEP_3) | instskip(NEXT) | instid1(VALU_DEP_3)
	v_ashrrev_i32_e32 v133, 31, v132
	v_lshlrev_b32_e32 v150, 2, v27
	s_wait_loadcnt 0x0
	v_subrev_nc_u32_e32 v27, s12, v152
	s_delay_alu instid0(VALU_DEP_3)
	v_lshlrev_b64_e32 v[132:133], 4, v[132:133]
	s_wait_kmcnt 0x0
	v_add_co_u32 v112, vcc_lo, s4, v52
	s_wait_alu 0xfffd
	v_add_co_ci_u32_e64 v113, null, s5, v53, vcc_lo
	v_ashrrev_i32_e32 v151, 31, v150
	v_add_co_u32 v136, vcc_lo, s4, v132
	global_load_b128 v[52:55], v[112:113], off
	s_clause 0x3
	global_load_b128 v[56:59], v[48:49], off offset:16
	global_load_b128 v[60:63], v[48:49], off offset:80
	global_load_b128 v[64:67], v[48:49], off offset:144
	global_load_b128 v[68:71], v[48:49], off offset:208
	global_load_b128 v[72:75], v[112:113], off offset:16
	s_clause 0x3
	global_load_b128 v[76:79], v[48:49], off offset:32
	global_load_b128 v[80:83], v[48:49], off offset:96
	global_load_b128 v[84:87], v[48:49], off offset:160
	global_load_b128 v[88:91], v[48:49], off offset:224
	global_load_b128 v[92:95], v[112:113], off offset:32
	;; [unrolled: 6-line block ×3, first 2 shown]
	s_clause 0x3
	global_load_b128 v[116:119], v[48:49], off offset:8192
	global_load_b128 v[120:123], v[48:49], off offset:8256
	;; [unrolled: 1-line block ×4, first 2 shown]
	s_wait_alu 0xfffd
	v_add_co_ci_u32_e64 v137, null, s5, v133, vcc_lo
	global_load_b128 v[132:135], v[136:137], off
	s_wait_loadcnt 0x14
	v_fma_f64 v[38:39], v[21:22], v[52:53], v[38:39]
	v_fma_f64 v[34:35], v[23:24], v[52:53], v[34:35]
	v_fma_f64 v[44:45], v[17:18], v[52:53], v[44:45]
	v_fma_f64 v[36:37], v[19:20], v[52:53], v[36:37]
	v_fma_f64 v[40:41], v[13:14], v[52:53], v[40:41]
	v_fma_f64 v[42:43], v[15:16], v[52:53], v[42:43]
	v_fma_f64 v[32:33], v[9:10], v[52:53], v[32:33]
	v_fma_f64 v[30:31], v[11:12], v[52:53], v[30:31]
	v_fma_f64 v[38:39], -v[23:24], v[54:55], v[38:39]
	v_fma_f64 v[34:35], v[21:22], v[54:55], v[34:35]
	v_fma_f64 v[44:45], -v[19:20], v[54:55], v[44:45]
	v_fma_f64 v[36:37], v[17:18], v[54:55], v[36:37]
	v_fma_f64 v[40:41], -v[15:16], v[54:55], v[40:41]
	v_fma_f64 v[42:43], v[13:14], v[54:55], v[42:43]
	v_fma_f64 v[52:53], -v[11:12], v[54:55], v[32:33]
	v_fma_f64 v[54:55], v[9:10], v[54:55], v[30:31]
	s_clause 0x3
	global_load_b128 v[9:12], v[48:49], off offset:8208
	global_load_b128 v[13:16], v[48:49], off offset:8272
	global_load_b128 v[17:20], v[48:49], off offset:8336
	global_load_b128 v[21:24], v[48:49], off offset:8400
	global_load_b128 v[30:33], v[136:137], off offset:16
	s_wait_loadcnt 0x14
	v_fma_f64 v[38:39], v[56:57], v[72:73], v[38:39]
	v_fma_f64 v[34:35], v[58:59], v[72:73], v[34:35]
	v_fma_f64 v[44:45], v[60:61], v[72:73], v[44:45]
	v_fma_f64 v[36:37], v[62:63], v[72:73], v[36:37]
	v_fma_f64 v[40:41], v[64:65], v[72:73], v[40:41]
	v_fma_f64 v[42:43], v[66:67], v[72:73], v[42:43]
	v_fma_f64 v[52:53], v[68:69], v[72:73], v[52:53]
	v_fma_f64 v[54:55], v[70:71], v[72:73], v[54:55]
	v_fma_f64 v[72:73], -v[58:59], v[74:75], v[38:39]
	v_fma_f64 v[138:139], v[56:57], v[74:75], v[34:35]
	v_fma_f64 v[62:63], -v[62:63], v[74:75], v[44:45]
	v_fma_f64 v[60:61], v[60:61], v[74:75], v[36:37]
	v_fma_f64 v[66:67], -v[66:67], v[74:75], v[40:41]
	v_fma_f64 v[64:65], v[64:65], v[74:75], v[42:43]
	v_fma_f64 v[70:71], -v[70:71], v[74:75], v[52:53]
	v_fma_f64 v[68:69], v[68:69], v[74:75], v[54:55]
	s_clause 0x3
	global_load_b128 v[34:37], v[48:49], off offset:8224
	global_load_b128 v[38:41], v[48:49], off offset:8288
	global_load_b128 v[42:45], v[48:49], off offset:8352
	global_load_b128 v[52:55], v[48:49], off offset:8416
	global_load_b128 v[56:59], v[136:137], off offset:32
	;; [unrolled: 23-line block ×3, first 2 shown]
	s_wait_loadcnt 0x14
	v_fma_f64 v[136:137], v[96:97], v[112:113], v[92:93]
	v_fma_f64 v[138:139], v[98:99], v[112:113], v[138:139]
	;; [unrolled: 1-line block ×8, first 2 shown]
	s_clause 0x3
	global_load_b128 v[80:83], v[48:49], off offset:16384
	global_load_b128 v[84:87], v[48:49], off offset:16448
	;; [unrolled: 1-line block ×4, first 2 shown]
	v_fma_f64 v[136:137], -v[98:99], v[114:115], v[136:137]
	v_fma_f64 v[138:139], v[96:97], v[114:115], v[138:139]
	v_fma_f64 v[102:103], -v[102:103], v[114:115], v[140:141]
	v_fma_f64 v[100:101], v[100:101], v[114:115], v[142:143]
	v_fma_f64 v[106:107], -v[106:107], v[114:115], v[144:145]
	v_fma_f64 v[104:105], v[104:105], v[114:115], v[146:147]
	v_fma_f64 v[110:111], -v[110:111], v[114:115], v[148:149]
	v_fma_f64 v[108:109], v[108:109], v[114:115], v[112:113]
	v_lshlrev_b64_e32 v[96:97], 4, v[150:151]
	v_lshlrev_b32_e32 v150, 2, v27
	s_delay_alu instid0(VALU_DEP_2) | instskip(SKIP_1) | instid1(VALU_DEP_3)
	v_add_co_u32 v140, vcc_lo, s4, v96
	s_wait_alu 0xfffd
	v_add_co_ci_u32_e64 v141, null, s5, v97, vcc_lo
	s_delay_alu instid0(VALU_DEP_3)
	v_ashrrev_i32_e32 v151, 31, v150
	global_load_b128 v[96:99], v[140:141], off
	s_wait_loadcnt 0x14
	v_fma_f64 v[112:113], v[116:117], v[132:133], v[136:137]
	v_fma_f64 v[114:115], v[118:119], v[132:133], v[138:139]
	v_fma_f64 v[102:103], v[120:121], v[132:133], v[102:103]
	v_fma_f64 v[100:101], v[122:123], v[132:133], v[100:101]
	v_fma_f64 v[106:107], v[124:125], v[132:133], v[106:107]
	v_fma_f64 v[104:105], v[126:127], v[132:133], v[104:105]
	v_fma_f64 v[110:111], v[128:129], v[132:133], v[110:111]
	v_fma_f64 v[108:109], v[130:131], v[132:133], v[108:109]
	v_fma_f64 v[132:133], -v[118:119], v[134:135], v[112:113]
	v_fma_f64 v[136:137], v[116:117], v[134:135], v[114:115]
	v_fma_f64 v[122:123], -v[122:123], v[134:135], v[102:103]
	v_fma_f64 v[120:121], v[120:121], v[134:135], v[100:101]
	v_fma_f64 v[126:127], -v[126:127], v[134:135], v[106:107]
	v_fma_f64 v[124:125], v[124:125], v[134:135], v[104:105]
	v_fma_f64 v[130:131], -v[130:131], v[134:135], v[110:111]
	v_fma_f64 v[128:129], v[128:129], v[134:135], v[108:109]
	s_clause 0x3
	global_load_b128 v[100:103], v[48:49], off offset:16400
	global_load_b128 v[104:107], v[48:49], off offset:16464
	global_load_b128 v[108:111], v[48:49], off offset:16528
	global_load_b128 v[112:115], v[48:49], off offset:16592
	global_load_b128 v[116:119], v[140:141], off offset:16
	s_wait_loadcnt 0x14
	v_fma_f64 v[132:133], v[9:10], v[30:31], v[132:133]
	v_fma_f64 v[134:135], v[11:12], v[30:31], v[136:137]
	v_fma_f64 v[122:123], v[13:14], v[30:31], v[122:123]
	v_fma_f64 v[120:121], v[15:16], v[30:31], v[120:121]
	v_fma_f64 v[126:127], v[17:18], v[30:31], v[126:127]
	v_fma_f64 v[124:125], v[19:20], v[30:31], v[124:125]
	v_fma_f64 v[130:131], v[21:22], v[30:31], v[130:131]
	v_fma_f64 v[30:31], v[23:24], v[30:31], v[128:129]
	v_fma_f64 v[128:129], -v[11:12], v[32:33], v[132:133]
	v_fma_f64 v[132:133], v[9:10], v[32:33], v[134:135]
	v_fma_f64 v[122:123], -v[15:16], v[32:33], v[122:123]
	v_fma_f64 v[120:121], v[13:14], v[32:33], v[120:121]
	v_fma_f64 v[126:127], -v[19:20], v[32:33], v[126:127]
	v_fma_f64 v[124:125], v[17:18], v[32:33], v[124:125]
	v_fma_f64 v[130:131], -v[23:24], v[32:33], v[130:131]
	v_fma_f64 v[134:135], v[21:22], v[32:33], v[30:31]
	s_clause 0x3
	global_load_b128 v[9:12], v[48:49], off offset:16416
	global_load_b128 v[13:16], v[48:49], off offset:16480
	global_load_b128 v[17:20], v[48:49], off offset:16544
	global_load_b128 v[21:24], v[48:49], off offset:16608
	global_load_b128 v[30:33], v[140:141], off offset:32
	;; [unrolled: 23-line block ×3, first 2 shown]
	s_wait_loadcnt 0x14
	v_fma_f64 v[136:137], v[60:61], v[76:77], v[128:129]
	v_fma_f64 v[138:139], v[62:63], v[76:77], v[132:133]
	;; [unrolled: 1-line block ×8, first 2 shown]
	s_clause 0x3
	global_load_b128 v[120:123], v[48:49], off offset:24576
	global_load_b128 v[124:127], v[48:49], off offset:24640
	;; [unrolled: 1-line block ×4, first 2 shown]
	v_fma_f64 v[136:137], -v[62:63], v[78:79], v[136:137]
	v_fma_f64 v[138:139], v[60:61], v[78:79], v[138:139]
	v_fma_f64 v[66:67], -v[66:67], v[78:79], v[140:141]
	v_fma_f64 v[64:65], v[64:65], v[78:79], v[142:143]
	;; [unrolled: 2-line block ×4, first 2 shown]
	v_lshlrev_b64_e32 v[60:61], 4, v[150:151]
	s_delay_alu instid0(VALU_DEP_1) | instskip(SKIP_1) | instid1(VALU_DEP_2)
	v_add_co_u32 v140, vcc_lo, s4, v60
	s_wait_alu 0xfffd
	v_add_co_ci_u32_e64 v141, null, s5, v61, vcc_lo
	v_cmp_ge_i32_e32 vcc_lo, v46, v50
	global_load_b128 v[60:63], v[140:141], off
	s_wait_alu 0xfffe
	s_or_b32 s10, vcc_lo, s10
	s_wait_loadcnt 0x14
	v_fma_f64 v[76:77], v[80:81], v[96:97], v[136:137]
	v_fma_f64 v[78:79], v[82:83], v[96:97], v[138:139]
	v_fma_f64 v[66:67], v[84:85], v[96:97], v[66:67]
	v_fma_f64 v[64:65], v[86:87], v[96:97], v[64:65]
	v_fma_f64 v[70:71], v[88:89], v[96:97], v[70:71]
	v_fma_f64 v[68:69], v[90:91], v[96:97], v[68:69]
	v_fma_f64 v[74:75], v[92:93], v[96:97], v[74:75]
	v_fma_f64 v[72:73], v[94:95], v[96:97], v[72:73]
	v_fma_f64 v[96:97], -v[82:83], v[98:99], v[76:77]
	v_fma_f64 v[136:137], v[80:81], v[98:99], v[78:79]
	v_fma_f64 v[86:87], -v[86:87], v[98:99], v[66:67]
	v_fma_f64 v[84:85], v[84:85], v[98:99], v[64:65]
	v_fma_f64 v[90:91], -v[90:91], v[98:99], v[70:71]
	v_fma_f64 v[88:89], v[88:89], v[98:99], v[68:69]
	v_fma_f64 v[94:95], -v[94:95], v[98:99], v[74:75]
	v_fma_f64 v[92:93], v[92:93], v[98:99], v[72:73]
	s_clause 0x3
	global_load_b128 v[64:67], v[48:49], off offset:24592
	global_load_b128 v[68:71], v[48:49], off offset:24656
	global_load_b128 v[72:75], v[48:49], off offset:24720
	global_load_b128 v[76:79], v[48:49], off offset:24784
	global_load_b128 v[80:83], v[140:141], off offset:16
	s_wait_loadcnt 0x14
	v_fma_f64 v[96:97], v[100:101], v[116:117], v[96:97]
	v_fma_f64 v[98:99], v[102:103], v[116:117], v[136:137]
	v_fma_f64 v[86:87], v[104:105], v[116:117], v[86:87]
	v_fma_f64 v[84:85], v[106:107], v[116:117], v[84:85]
	v_fma_f64 v[90:91], v[108:109], v[116:117], v[90:91]
	v_fma_f64 v[88:89], v[110:111], v[116:117], v[88:89]
	v_fma_f64 v[94:95], v[112:113], v[116:117], v[94:95]
	v_fma_f64 v[92:93], v[114:115], v[116:117], v[92:93]
	v_fma_f64 v[116:117], -v[102:103], v[118:119], v[96:97]
	v_fma_f64 v[136:137], v[100:101], v[118:119], v[98:99]
	v_fma_f64 v[106:107], -v[106:107], v[118:119], v[86:87]
	v_fma_f64 v[104:105], v[104:105], v[118:119], v[84:85]
	v_fma_f64 v[110:111], -v[110:111], v[118:119], v[90:91]
	v_fma_f64 v[108:109], v[108:109], v[118:119], v[88:89]
	v_fma_f64 v[114:115], -v[114:115], v[118:119], v[94:95]
	v_fma_f64 v[112:113], v[112:113], v[118:119], v[92:93]
	s_clause 0x3
	global_load_b128 v[84:87], v[48:49], off offset:24608
	global_load_b128 v[88:91], v[48:49], off offset:24672
	global_load_b128 v[92:95], v[48:49], off offset:24736
	global_load_b128 v[96:99], v[48:49], off offset:24800
	global_load_b128 v[100:103], v[140:141], off offset:32
	;; [unrolled: 23-line block ×3, first 2 shown]
	v_add_co_u32 v48, s3, 0x8000, v48
	s_wait_alu 0xf1ff
	v_add_co_ci_u32_e64 v49, null, 0, v49, s3
	s_wait_loadcnt 0x14
	v_fma_f64 v[32:33], v[34:35], v[56:57], v[112:113]
	v_fma_f64 v[112:113], v[36:37], v[56:57], v[116:117]
	v_fma_f64 v[116:117], v[38:39], v[56:57], v[118:119]
	v_fma_f64 v[118:119], v[40:41], v[56:57], v[136:137]
	v_fma_f64 v[110:111], v[42:43], v[56:57], v[110:111]
	v_fma_f64 v[108:109], v[44:45], v[56:57], v[108:109]
	v_fma_f64 v[114:115], v[52:53], v[56:57], v[114:115]
	v_fma_f64 v[30:31], v[54:55], v[56:57], v[30:31]
	v_fma_f64 v[32:33], -v[36:37], v[58:59], v[32:33]
	v_fma_f64 v[34:35], v[34:35], v[58:59], v[112:113]
	v_fma_f64 v[36:37], -v[40:41], v[58:59], v[116:117]
	v_fma_f64 v[38:39], v[38:39], v[58:59], v[118:119]
	v_fma_f64 v[40:41], -v[44:45], v[58:59], v[110:111]
	v_fma_f64 v[42:43], v[42:43], v[58:59], v[108:109]
	v_fma_f64 v[44:45], -v[54:55], v[58:59], v[114:115]
	v_fma_f64 v[30:31], v[52:53], v[58:59], v[30:31]
	s_wait_loadcnt 0xf
	v_fma_f64 v[32:33], v[120:121], v[60:61], v[32:33]
	v_fma_f64 v[34:35], v[122:123], v[60:61], v[34:35]
	v_fma_f64 v[36:37], v[124:125], v[60:61], v[36:37]
	v_fma_f64 v[38:39], v[126:127], v[60:61], v[38:39]
	v_fma_f64 v[40:41], v[128:129], v[60:61], v[40:41]
	v_fma_f64 v[42:43], v[130:131], v[60:61], v[42:43]
	v_fma_f64 v[44:45], v[132:133], v[60:61], v[44:45]
	v_fma_f64 v[30:31], v[134:135], v[60:61], v[30:31]
	v_fma_f64 v[32:33], -v[122:123], v[62:63], v[32:33]
	v_fma_f64 v[34:35], v[120:121], v[62:63], v[34:35]
	v_fma_f64 v[36:37], -v[126:127], v[62:63], v[36:37]
	v_fma_f64 v[38:39], v[124:125], v[62:63], v[38:39]
	v_fma_f64 v[40:41], -v[130:131], v[62:63], v[40:41]
	v_fma_f64 v[42:43], v[128:129], v[62:63], v[42:43]
	v_fma_f64 v[44:45], -v[134:135], v[62:63], v[44:45]
	v_fma_f64 v[30:31], v[132:133], v[62:63], v[30:31]
	s_wait_loadcnt 0xa
	v_fma_f64 v[32:33], v[64:65], v[80:81], v[32:33]
	v_fma_f64 v[34:35], v[66:67], v[80:81], v[34:35]
	v_fma_f64 v[36:37], v[68:69], v[80:81], v[36:37]
	v_fma_f64 v[38:39], v[70:71], v[80:81], v[38:39]
	v_fma_f64 v[40:41], v[72:73], v[80:81], v[40:41]
	v_fma_f64 v[42:43], v[74:75], v[80:81], v[42:43]
	v_fma_f64 v[44:45], v[76:77], v[80:81], v[44:45]
	v_fma_f64 v[30:31], v[78:79], v[80:81], v[30:31]
	v_fma_f64 v[32:33], -v[66:67], v[82:83], v[32:33]
	v_fma_f64 v[34:35], v[64:65], v[82:83], v[34:35]
	v_fma_f64 v[36:37], -v[70:71], v[82:83], v[36:37]
	v_fma_f64 v[38:39], v[68:69], v[82:83], v[38:39]
	v_fma_f64 v[40:41], -v[74:75], v[82:83], v[40:41]
	v_fma_f64 v[42:43], v[72:73], v[82:83], v[42:43]
	v_fma_f64 v[44:45], -v[78:79], v[82:83], v[44:45]
	v_fma_f64 v[30:31], v[76:77], v[82:83], v[30:31]
	s_wait_loadcnt 0x5
	v_fma_f64 v[32:33], v[84:85], v[100:101], v[32:33]
	v_fma_f64 v[34:35], v[86:87], v[100:101], v[34:35]
	v_fma_f64 v[36:37], v[88:89], v[100:101], v[36:37]
	v_fma_f64 v[38:39], v[90:91], v[100:101], v[38:39]
	v_fma_f64 v[40:41], v[92:93], v[100:101], v[40:41]
	v_fma_f64 v[42:43], v[94:95], v[100:101], v[42:43]
	v_fma_f64 v[44:45], v[96:97], v[100:101], v[44:45]
	v_fma_f64 v[30:31], v[98:99], v[100:101], v[30:31]
	v_fma_f64 v[32:33], -v[86:87], v[102:103], v[32:33]
	v_fma_f64 v[34:35], v[84:85], v[102:103], v[34:35]
	v_fma_f64 v[36:37], -v[90:91], v[102:103], v[36:37]
	v_fma_f64 v[38:39], v[88:89], v[102:103], v[38:39]
	v_fma_f64 v[40:41], -v[94:95], v[102:103], v[40:41]
	v_fma_f64 v[42:43], v[92:93], v[102:103], v[42:43]
	v_fma_f64 v[44:45], -v[98:99], v[102:103], v[44:45]
	v_fma_f64 v[30:31], v[96:97], v[102:103], v[30:31]
	s_wait_loadcnt 0x0
	v_fma_f64 v[32:33], v[9:10], v[104:105], v[32:33]
	v_fma_f64 v[34:35], v[11:12], v[104:105], v[34:35]
	v_fma_f64 v[36:37], v[13:14], v[104:105], v[36:37]
	v_fma_f64 v[52:53], v[15:16], v[104:105], v[38:39]
	v_fma_f64 v[40:41], v[17:18], v[104:105], v[40:41]
	v_fma_f64 v[42:43], v[19:20], v[104:105], v[42:43]
	v_fma_f64 v[54:55], v[21:22], v[104:105], v[44:45]
	v_fma_f64 v[30:31], v[23:24], v[104:105], v[30:31]
	v_fma_f64 v[38:39], -v[11:12], v[106:107], v[32:33]
	v_fma_f64 v[34:35], v[9:10], v[106:107], v[34:35]
	v_fma_f64 v[44:45], -v[15:16], v[106:107], v[36:37]
	v_fma_f64 v[36:37], v[13:14], v[106:107], v[52:53]
	v_fma_f64 v[40:41], -v[19:20], v[106:107], v[40:41]
	v_fma_f64 v[42:43], v[17:18], v[106:107], v[42:43]
	v_fma_f64 v[32:33], -v[23:24], v[106:107], v[54:55]
	v_fma_f64 v[30:31], v[21:22], v[106:107], v[30:31]
	s_wait_alu 0xfffe
	s_and_not1_b32 exec_lo, exec_lo, s10
	s_cbranch_execnz .LBB18_19
; %bb.20:
	s_or_b32 exec_lo, exec_lo, s10
.LBB18_21:
	s_wait_alu 0xfffe
	s_or_b32 exec_lo, exec_lo, s7
.LBB18_22:
	s_wait_alu 0xfffe
	s_or_b32 exec_lo, exec_lo, s6
	s_cbranch_execz .LBB18_24
	s_branch .LBB18_35
.LBB18_23:
                                        ; implicit-def: $vgpr34_vgpr35
                                        ; implicit-def: $vgpr38_vgpr39
                                        ; implicit-def: $vgpr32_vgpr33
                                        ; implicit-def: $vgpr30_vgpr31
                                        ; implicit-def: $vgpr40_vgpr41
                                        ; implicit-def: $vgpr42_vgpr43
                                        ; implicit-def: $vgpr44_vgpr45
                                        ; implicit-def: $vgpr36_vgpr37
.LBB18_24:
	v_mov_b32_e32 v34, 0
	v_mov_b32_e32 v32, 0
	;; [unrolled: 1-line block ×3, first 2 shown]
	v_dual_mov_b32 v44, 0 :: v_dual_mov_b32 v35, 0
	v_dual_mov_b32 v38, 0 :: v_dual_mov_b32 v33, 0
	v_dual_mov_b32 v30, 0 :: v_dual_mov_b32 v41, 0
	v_dual_mov_b32 v42, 0 :: v_dual_mov_b32 v45, 0
	v_dual_mov_b32 v36, 0 :: v_dual_mov_b32 v39, 0
	v_mov_b32_e32 v31, 0
	v_mov_b32_e32 v43, 0
	;; [unrolled: 1-line block ×3, first 2 shown]
	s_and_saveexec_b32 s3, s2
	s_cbranch_execz .LBB18_34
; %bb.25:
	v_dual_mov_b32 v36, 0 :: v_dual_add_nc_u32 v9, v51, v0
	v_not_b32_e32 v10, v51
	v_dual_mov_b32 v37, 0 :: v_dual_mov_b32 v42, 0
	s_delay_alu instid0(VALU_DEP_3) | instskip(SKIP_2) | instid1(VALU_DEP_3)
	v_subrev_nc_u32_e32 v9, s12, v9
	v_dual_mov_b32 v43, 0 :: v_dual_mov_b32 v40, 0
	v_dual_mov_b32 v41, 0 :: v_dual_mov_b32 v30, 0
	v_dual_mov_b32 v44, 0 :: v_dual_add_nc_u32 v9, 32, v9
	v_dual_mov_b32 v31, 0 :: v_dual_mov_b32 v32, 0
	v_dual_mov_b32 v33, 0 :: v_dual_mov_b32 v38, 0
	s_delay_alu instid0(VALU_DEP_3) | instskip(SKIP_3) | instid1(VALU_DEP_3)
	v_max_i32_e32 v9, v9, v50
	v_dual_mov_b32 v39, 0 :: v_dual_mov_b32 v34, 0
	v_mov_b32_e32 v35, 0
	s_mov_b32 s2, exec_lo
	v_add3_u32 v9, s12, v9, v10
	s_delay_alu instid0(VALU_DEP_1) | instskip(NEXT) | instid1(VALU_DEP_1)
	v_sub_nc_u32_e32 v9, v9, v0
	v_dual_mov_b32 v45, 0 :: v_dual_and_b32 v10, 0x60, v9
	s_delay_alu instid0(VALU_DEP_1)
	v_cmpx_ne_u32_e32 0x60, v10
	s_cbranch_execz .LBB18_29
; %bb.26:
	v_lshrrev_b32_e32 v10, 5, v9
	v_mov_b32_e32 v34, 0
	v_mov_b32_e32 v38, 0
	;; [unrolled: 1-line block ×4, first 2 shown]
	v_dual_mov_b32 v35, 0 :: v_dual_add_nc_u32 v10, 1, v10
	v_mov_b32_e32 v40, 0
	v_mov_b32_e32 v42, 0
	;; [unrolled: 1-line block ×3, first 2 shown]
	s_delay_alu instid0(VALU_DEP_4)
	v_dual_mov_b32 v41, 0 :: v_dual_and_b32 v10, 3, v10
	v_dual_mov_b32 v36, 0 :: v_dual_mov_b32 v39, 0
	v_mov_b32_e32 v33, 0
	v_mov_b32_e32 v31, 0
	;; [unrolled: 1-line block ×5, first 2 shown]
	v_sub_nc_u32_e32 v10, 0, v10
	s_mov_b32 s6, 0
.LBB18_27:                              ; =>This Inner Loop Header: Depth=1
	v_ashrrev_i32_e32 v27, 31, v26
	s_delay_alu instid0(VALU_DEP_2) | instskip(SKIP_2) | instid1(VALU_DEP_2)
	v_add_co_u32 v10, s7, v10, 1
	s_wait_alu 0xfffe
	s_or_b32 s6, s7, s6
	v_lshlrev_b64_e32 v[11:12], 2, v[26:27]
	v_add_nc_u32_e32 v26, 32, v26
	s_delay_alu instid0(VALU_DEP_2) | instskip(SKIP_1) | instid1(VALU_DEP_3)
	v_add_co_u32 v11, vcc_lo, s8, v11
	s_wait_alu 0xfffd
	v_add_co_ci_u32_e64 v12, null, s9, v12, vcc_lo
	global_load_b32 v23, v[11:12], off
	s_clause 0x3
	global_load_b128 v[11:14], v[28:29], off offset:48
	global_load_b128 v[15:18], v[28:29], off offset:32
	;; [unrolled: 1-line block ×3, first 2 shown]
	global_load_b128 v[46:49], v[28:29], off
	s_wait_loadcnt 0x4
	v_subrev_nc_u32_e32 v23, s12, v23
	s_delay_alu instid0(VALU_DEP_1) | instskip(NEXT) | instid1(VALU_DEP_1)
	v_lshlrev_b32_e32 v23, 2, v23
	v_ashrrev_i32_e32 v24, 31, v23
	s_delay_alu instid0(VALU_DEP_1) | instskip(SKIP_1) | instid1(VALU_DEP_1)
	v_lshlrev_b64_e32 v[23:24], 4, v[23:24]
	s_wait_kmcnt 0x0
	v_add_co_u32 v23, vcc_lo, s4, v23
	s_wait_alu 0xfffd
	s_delay_alu instid0(VALU_DEP_2)
	v_add_co_ci_u32_e64 v24, null, s5, v24, vcc_lo
	s_clause 0x1
	global_load_b128 v[51:54], v[23:24], off
	global_load_b128 v[55:58], v[23:24], off offset:16
	s_clause 0x7
	global_load_b128 v[59:62], v[28:29], off offset:64
	global_load_b128 v[63:66], v[28:29], off offset:80
	;; [unrolled: 1-line block ×8, first 2 shown]
	s_clause 0x1
	global_load_b128 v[91:94], v[23:24], off offset:32
	global_load_b128 v[95:98], v[23:24], off offset:48
	s_clause 0x3
	global_load_b128 v[99:102], v[28:29], off offset:192
	global_load_b128 v[103:106], v[28:29], off offset:208
	;; [unrolled: 1-line block ×4, first 2 shown]
	v_add_co_u32 v28, vcc_lo, 0x2000, v28
	s_wait_alu 0xfffd
	v_add_co_ci_u32_e64 v29, null, 0, v29, vcc_lo
	s_wait_loadcnt 0xf
	v_fma_f64 v[23:24], v[46:47], v[51:52], v[38:39]
	v_fma_f64 v[34:35], v[48:49], v[51:52], v[34:35]
	;; [unrolled: 1-line block ×8, first 2 shown]
	v_fma_f64 v[23:24], -v[48:49], v[53:54], v[23:24]
	v_fma_f64 v[34:35], v[46:47], v[53:54], v[34:35]
	v_fma_f64 v[21:22], -v[21:22], v[53:54], v[38:39]
	v_fma_f64 v[19:20], v[19:20], v[53:54], v[36:37]
	;; [unrolled: 2-line block ×4, first 2 shown]
	s_wait_loadcnt 0xd
	v_fma_f64 v[23:24], v[59:60], v[55:56], v[23:24]
	v_fma_f64 v[30:31], v[61:62], v[55:56], v[34:35]
	s_wait_loadcnt 0xc
	v_fma_f64 v[21:22], v[63:64], v[55:56], v[21:22]
	v_fma_f64 v[19:20], v[65:66], v[55:56], v[19:20]
	s_wait_loadcnt 0xb
	v_fma_f64 v[17:18], v[67:68], v[55:56], v[17:18]
	v_fma_f64 v[15:16], v[69:70], v[55:56], v[15:16]
	s_wait_loadcnt 0xa
	v_fma_f64 v[13:14], v[71:72], v[55:56], v[13:14]
	v_fma_f64 v[11:12], v[73:74], v[55:56], v[11:12]
	v_fma_f64 v[23:24], -v[61:62], v[57:58], v[23:24]
	v_fma_f64 v[30:31], v[59:60], v[57:58], v[30:31]
	v_fma_f64 v[21:22], -v[65:66], v[57:58], v[21:22]
	v_fma_f64 v[19:20], v[63:64], v[57:58], v[19:20]
	;; [unrolled: 2-line block ×4, first 2 shown]
	s_wait_loadcnt 0x5
	v_fma_f64 v[23:24], v[87:88], v[91:92], v[23:24]
	v_fma_f64 v[30:31], v[89:90], v[91:92], v[30:31]
	;; [unrolled: 1-line block ×8, first 2 shown]
	v_fma_f64 v[23:24], -v[89:90], v[93:94], v[23:24]
	v_fma_f64 v[30:31], v[87:88], v[93:94], v[30:31]
	v_fma_f64 v[21:22], -v[85:86], v[93:94], v[21:22]
	v_fma_f64 v[19:20], v[83:84], v[93:94], v[19:20]
	;; [unrolled: 2-line block ×4, first 2 shown]
	s_wait_loadcnt 0x3
	v_fma_f64 v[23:24], v[99:100], v[95:96], v[23:24]
	v_fma_f64 v[30:31], v[101:102], v[95:96], v[30:31]
	s_wait_loadcnt 0x2
	v_fma_f64 v[21:22], v[103:104], v[95:96], v[21:22]
	v_fma_f64 v[19:20], v[105:106], v[95:96], v[19:20]
	s_wait_loadcnt 0x1
	v_fma_f64 v[17:18], v[107:108], v[95:96], v[17:18]
	v_fma_f64 v[15:16], v[109:110], v[95:96], v[15:16]
	s_wait_loadcnt 0x0
	v_fma_f64 v[13:14], v[111:112], v[95:96], v[13:14]
	v_fma_f64 v[11:12], v[113:114], v[95:96], v[11:12]
	v_fma_f64 v[38:39], -v[101:102], v[97:98], v[23:24]
	v_fma_f64 v[34:35], v[99:100], v[97:98], v[30:31]
	v_fma_f64 v[44:45], -v[105:106], v[97:98], v[21:22]
	v_fma_f64 v[36:37], v[103:104], v[97:98], v[19:20]
	;; [unrolled: 2-line block ×4, first 2 shown]
	s_wait_alu 0xfffe
	s_and_not1_b32 exec_lo, exec_lo, s6
	s_cbranch_execnz .LBB18_27
; %bb.28:
	s_or_b32 exec_lo, exec_lo, s6
.LBB18_29:
	s_wait_alu 0xfffe
	s_or_b32 exec_lo, exec_lo, s2
	s_delay_alu instid0(SALU_CYCLE_1)
	s_mov_b32 s6, exec_lo
	v_cmpx_lt_u32_e32 0x5f, v9
	s_cbranch_execz .LBB18_33
; %bb.30:
	s_mov_b32 s7, 0
.LBB18_31:                              ; =>This Inner Loop Header: Depth=1
	v_ashrrev_i32_e32 v27, 31, v26
	s_delay_alu instid0(VALU_DEP_1) | instskip(SKIP_1) | instid1(VALU_DEP_2)
	v_lshlrev_b64_e32 v[9:10], 2, v[26:27]
	v_add_nc_u32_e32 v26, 0x80, v26
	v_add_co_u32 v46, vcc_lo, s8, v9
	s_wait_alu 0xfffd
	s_delay_alu instid0(VALU_DEP_3)
	v_add_co_ci_u32_e64 v47, null, s9, v10, vcc_lo
	global_load_b32 v27, v[46:47], off
	s_clause 0x3
	global_load_b128 v[9:12], v[28:29], off offset:48
	global_load_b128 v[13:16], v[28:29], off offset:32
	global_load_b128 v[17:20], v[28:29], off offset:16
	global_load_b128 v[21:24], v[28:29], off
	s_clause 0x2
	global_load_b32 v127, v[46:47], off offset:128
	global_load_b32 v145, v[46:47], off offset:256
	;; [unrolled: 1-line block ×3, first 2 shown]
	s_wait_loadcnt 0x7
	v_subrev_nc_u32_e32 v27, s12, v27
	s_delay_alu instid0(VALU_DEP_1) | instskip(SKIP_2) | instid1(VALU_DEP_2)
	v_lshlrev_b32_e32 v46, 2, v27
	s_wait_loadcnt 0x2
	v_subrev_nc_u32_e32 v27, s12, v127
	v_ashrrev_i32_e32 v47, 31, v46
	s_delay_alu instid0(VALU_DEP_2) | instskip(SKIP_2) | instid1(VALU_DEP_3)
	v_lshlrev_b32_e32 v127, 2, v27
	s_wait_loadcnt 0x1
	v_subrev_nc_u32_e32 v27, s12, v145
	v_lshlrev_b64_e32 v[46:47], 4, v[46:47]
	s_delay_alu instid0(VALU_DEP_3) | instskip(NEXT) | instid1(VALU_DEP_3)
	v_ashrrev_i32_e32 v128, 31, v127
	v_lshlrev_b32_e32 v145, 2, v27
	s_wait_loadcnt 0x0
	v_subrev_nc_u32_e32 v27, s12, v147
	s_delay_alu instid0(VALU_DEP_3)
	v_lshlrev_b64_e32 v[127:128], 4, v[127:128]
	s_wait_kmcnt 0x0
	v_add_co_u32 v107, vcc_lo, s4, v46
	s_wait_alu 0xfffd
	v_add_co_ci_u32_e64 v108, null, s5, v47, vcc_lo
	v_ashrrev_i32_e32 v146, 31, v145
	v_add_co_u32 v131, vcc_lo, s4, v127
	global_load_b128 v[46:49], v[107:108], off
	s_clause 0x3
	global_load_b128 v[51:54], v[28:29], off offset:112
	global_load_b128 v[55:58], v[28:29], off offset:96
	global_load_b128 v[59:62], v[28:29], off offset:80
	global_load_b128 v[63:66], v[28:29], off offset:64
	global_load_b128 v[67:70], v[107:108], off offset:16
	s_clause 0x3
	global_load_b128 v[71:74], v[28:29], off offset:176
	global_load_b128 v[75:78], v[28:29], off offset:160
	global_load_b128 v[79:82], v[28:29], off offset:144
	global_load_b128 v[83:86], v[28:29], off offset:128
	global_load_b128 v[87:90], v[107:108], off offset:32
	;; [unrolled: 6-line block ×3, first 2 shown]
	s_clause 0x3
	global_load_b128 v[111:114], v[28:29], off offset:8240
	global_load_b128 v[115:118], v[28:29], off offset:8224
	;; [unrolled: 1-line block ×4, first 2 shown]
	s_wait_alu 0xfffd
	v_add_co_ci_u32_e64 v132, null, s5, v128, vcc_lo
	global_load_b128 v[127:130], v[131:132], off
	s_wait_loadcnt 0x14
	v_fma_f64 v[38:39], v[21:22], v[46:47], v[38:39]
	v_fma_f64 v[34:35], v[23:24], v[46:47], v[34:35]
	v_fma_f64 v[44:45], v[17:18], v[46:47], v[44:45]
	v_fma_f64 v[36:37], v[19:20], v[46:47], v[36:37]
	v_fma_f64 v[40:41], v[13:14], v[46:47], v[40:41]
	v_fma_f64 v[42:43], v[15:16], v[46:47], v[42:43]
	v_fma_f64 v[32:33], v[9:10], v[46:47], v[32:33]
	v_fma_f64 v[30:31], v[11:12], v[46:47], v[30:31]
	v_fma_f64 v[38:39], -v[23:24], v[48:49], v[38:39]
	v_fma_f64 v[34:35], v[21:22], v[48:49], v[34:35]
	v_fma_f64 v[44:45], -v[19:20], v[48:49], v[44:45]
	v_fma_f64 v[36:37], v[17:18], v[48:49], v[36:37]
	v_fma_f64 v[40:41], -v[15:16], v[48:49], v[40:41]
	v_fma_f64 v[42:43], v[13:14], v[48:49], v[42:43]
	v_fma_f64 v[46:47], -v[11:12], v[48:49], v[32:33]
	v_fma_f64 v[48:49], v[9:10], v[48:49], v[30:31]
	s_clause 0x3
	global_load_b128 v[9:12], v[28:29], off offset:8304
	global_load_b128 v[13:16], v[28:29], off offset:8288
	global_load_b128 v[17:20], v[28:29], off offset:8272
	global_load_b128 v[21:24], v[28:29], off offset:8256
	global_load_b128 v[30:33], v[131:132], off offset:16
	s_wait_loadcnt 0x14
	v_fma_f64 v[38:39], v[63:64], v[67:68], v[38:39]
	v_fma_f64 v[34:35], v[65:66], v[67:68], v[34:35]
	v_fma_f64 v[44:45], v[59:60], v[67:68], v[44:45]
	v_fma_f64 v[36:37], v[61:62], v[67:68], v[36:37]
	v_fma_f64 v[40:41], v[55:56], v[67:68], v[40:41]
	v_fma_f64 v[42:43], v[57:58], v[67:68], v[42:43]
	v_fma_f64 v[46:47], v[51:52], v[67:68], v[46:47]
	v_fma_f64 v[48:49], v[53:54], v[67:68], v[48:49]
	v_fma_f64 v[65:66], -v[65:66], v[69:70], v[38:39]
	v_fma_f64 v[63:64], v[63:64], v[69:70], v[34:35]
	v_fma_f64 v[61:62], -v[61:62], v[69:70], v[44:45]
	v_fma_f64 v[59:60], v[59:60], v[69:70], v[36:37]
	v_fma_f64 v[57:58], -v[57:58], v[69:70], v[40:41]
	v_fma_f64 v[55:56], v[55:56], v[69:70], v[42:43]
	v_fma_f64 v[67:68], -v[53:54], v[69:70], v[46:47]
	v_fma_f64 v[69:70], v[51:52], v[69:70], v[48:49]
	s_clause 0x3
	global_load_b128 v[34:37], v[28:29], off offset:8368
	global_load_b128 v[38:41], v[28:29], off offset:8352
	global_load_b128 v[42:45], v[28:29], off offset:8336
	global_load_b128 v[46:49], v[28:29], off offset:8320
	global_load_b128 v[51:54], v[131:132], off offset:32
	;; [unrolled: 23-line block ×3, first 2 shown]
	s_wait_loadcnt 0x14
	v_fma_f64 v[131:132], v[103:104], v[107:108], v[85:86]
	v_fma_f64 v[133:134], v[105:106], v[107:108], v[83:84]
	;; [unrolled: 1-line block ×8, first 2 shown]
	s_clause 0x3
	global_load_b128 v[75:78], v[28:29], off offset:16432
	global_load_b128 v[79:82], v[28:29], off offset:16416
	;; [unrolled: 1-line block ×4, first 2 shown]
	v_fma_f64 v[105:106], -v[105:106], v[109:110], v[131:132]
	v_fma_f64 v[103:104], v[103:104], v[109:110], v[133:134]
	v_fma_f64 v[101:102], -v[101:102], v[109:110], v[135:136]
	v_fma_f64 v[99:100], v[99:100], v[109:110], v[137:138]
	;; [unrolled: 2-line block ×4, first 2 shown]
	v_lshlrev_b64_e32 v[91:92], 4, v[145:146]
	v_lshlrev_b32_e32 v145, 2, v27
	s_delay_alu instid0(VALU_DEP_2) | instskip(SKIP_1) | instid1(VALU_DEP_3)
	v_add_co_u32 v133, vcc_lo, s4, v91
	s_wait_alu 0xfffd
	v_add_co_ci_u32_e64 v134, null, s5, v92, vcc_lo
	s_delay_alu instid0(VALU_DEP_3)
	v_ashrrev_i32_e32 v146, 31, v145
	global_load_b128 v[91:94], v[133:134], off
	s_wait_loadcnt 0x14
	v_fma_f64 v[105:106], v[123:124], v[127:128], v[105:106]
	v_fma_f64 v[103:104], v[125:126], v[127:128], v[103:104]
	v_fma_f64 v[101:102], v[119:120], v[127:128], v[101:102]
	v_fma_f64 v[99:100], v[121:122], v[127:128], v[99:100]
	v_fma_f64 v[97:98], v[115:116], v[127:128], v[97:98]
	v_fma_f64 v[95:96], v[117:118], v[127:128], v[95:96]
	v_fma_f64 v[109:110], v[111:112], v[127:128], v[131:132]
	v_fma_f64 v[107:108], v[113:114], v[127:128], v[107:108]
	v_fma_f64 v[125:126], -v[125:126], v[129:130], v[105:106]
	v_fma_f64 v[123:124], v[123:124], v[129:130], v[103:104]
	v_fma_f64 v[121:122], -v[121:122], v[129:130], v[101:102]
	v_fma_f64 v[119:120], v[119:120], v[129:130], v[99:100]
	v_fma_f64 v[117:118], -v[117:118], v[129:130], v[97:98]
	v_fma_f64 v[115:116], v[115:116], v[129:130], v[95:96]
	v_fma_f64 v[127:128], -v[113:114], v[129:130], v[109:110]
	v_fma_f64 v[129:130], v[111:112], v[129:130], v[107:108]
	s_clause 0x3
	global_load_b128 v[95:98], v[28:29], off offset:16496
	global_load_b128 v[99:102], v[28:29], off offset:16480
	global_load_b128 v[103:106], v[28:29], off offset:16464
	global_load_b128 v[107:110], v[28:29], off offset:16448
	global_load_b128 v[111:114], v[133:134], off offset:16
	s_wait_loadcnt 0x14
	v_fma_f64 v[125:126], v[21:22], v[30:31], v[125:126]
	v_fma_f64 v[123:124], v[23:24], v[30:31], v[123:124]
	v_fma_f64 v[121:122], v[17:18], v[30:31], v[121:122]
	v_fma_f64 v[119:120], v[19:20], v[30:31], v[119:120]
	v_fma_f64 v[117:118], v[13:14], v[30:31], v[117:118]
	v_fma_f64 v[115:116], v[15:16], v[30:31], v[115:116]
	v_fma_f64 v[127:128], v[9:10], v[30:31], v[127:128]
	v_fma_f64 v[30:31], v[11:12], v[30:31], v[129:130]
	v_fma_f64 v[125:126], -v[23:24], v[32:33], v[125:126]
	v_fma_f64 v[123:124], v[21:22], v[32:33], v[123:124]
	v_fma_f64 v[121:122], -v[19:20], v[32:33], v[121:122]
	v_fma_f64 v[119:120], v[17:18], v[32:33], v[119:120]
	v_fma_f64 v[117:118], -v[15:16], v[32:33], v[117:118]
	v_fma_f64 v[115:116], v[13:14], v[32:33], v[115:116]
	v_fma_f64 v[127:128], -v[11:12], v[32:33], v[127:128]
	v_fma_f64 v[129:130], v[9:10], v[32:33], v[30:31]
	s_clause 0x3
	global_load_b128 v[9:12], v[28:29], off offset:16560
	global_load_b128 v[13:16], v[28:29], off offset:16544
	global_load_b128 v[17:20], v[28:29], off offset:16528
	global_load_b128 v[21:24], v[28:29], off offset:16512
	global_load_b128 v[30:33], v[133:134], off offset:32
	s_wait_loadcnt 0x14
	v_fma_f64 v[125:126], v[46:47], v[51:52], v[125:126]
	v_fma_f64 v[123:124], v[48:49], v[51:52], v[123:124]
	v_fma_f64 v[121:122], v[42:43], v[51:52], v[121:122]
	v_fma_f64 v[119:120], v[44:45], v[51:52], v[119:120]
	v_fma_f64 v[117:118], v[38:39], v[51:52], v[117:118]
	v_fma_f64 v[115:116], v[40:41], v[51:52], v[115:116]
	v_fma_f64 v[127:128], v[34:35], v[51:52], v[127:128]
	v_fma_f64 v[51:52], v[36:37], v[51:52], v[129:130]
	v_fma_f64 v[125:126], -v[48:49], v[53:54], v[125:126]
	v_fma_f64 v[123:124], v[46:47], v[53:54], v[123:124]
	v_fma_f64 v[121:122], -v[44:45], v[53:54], v[121:122]
	v_fma_f64 v[119:120], v[42:43], v[53:54], v[119:120]
	v_fma_f64 v[117:118], -v[40:41], v[53:54], v[117:118]
	v_fma_f64 v[115:116], v[38:39], v[53:54], v[115:116]
	v_fma_f64 v[127:128], -v[36:37], v[53:54], v[127:128]
	v_fma_f64 v[129:130], v[34:35], v[53:54], v[51:52]
	s_clause 0x3
	global_load_b128 v[34:37], v[28:29], off offset:16624
	global_load_b128 v[38:41], v[28:29], off offset:16608
	global_load_b128 v[42:45], v[28:29], off offset:16592
	global_load_b128 v[46:49], v[28:29], off offset:16576
	global_load_b128 v[51:54], v[133:134], off offset:48
	s_wait_loadcnt 0x14
	v_fma_f64 v[131:132], v[67:68], v[71:72], v[125:126]
	v_fma_f64 v[133:134], v[69:70], v[71:72], v[123:124]
	;; [unrolled: 1-line block ×8, first 2 shown]
	s_clause 0x3
	global_load_b128 v[115:118], v[28:29], off offset:24624
	global_load_b128 v[119:122], v[28:29], off offset:24608
	;; [unrolled: 1-line block ×4, first 2 shown]
	v_fma_f64 v[69:70], -v[69:70], v[73:74], v[131:132]
	v_fma_f64 v[67:68], v[67:68], v[73:74], v[133:134]
	v_fma_f64 v[65:66], -v[65:66], v[73:74], v[135:136]
	v_fma_f64 v[63:64], v[63:64], v[73:74], v[137:138]
	;; [unrolled: 2-line block ×4, first 2 shown]
	v_lshlrev_b64_e32 v[55:56], 4, v[145:146]
	s_delay_alu instid0(VALU_DEP_1) | instskip(SKIP_1) | instid1(VALU_DEP_2)
	v_add_co_u32 v137, vcc_lo, s4, v55
	s_wait_alu 0xfffd
	v_add_co_ci_u32_e64 v138, null, s5, v56, vcc_lo
	s_clause 0x1
	global_load_b128 v[55:58], v[137:138], off
	global_load_b128 v[59:62], v[137:138], off offset:16
	v_cmp_ge_i32_e32 vcc_lo, v26, v50
	s_wait_alu 0xfffe
	s_or_b32 s7, vcc_lo, s7
	s_wait_loadcnt 0x15
	v_fma_f64 v[69:70], v[87:88], v[91:92], v[69:70]
	v_fma_f64 v[67:68], v[89:90], v[91:92], v[67:68]
	;; [unrolled: 1-line block ×8, first 2 shown]
	v_fma_f64 v[89:90], -v[89:90], v[93:94], v[69:70]
	v_fma_f64 v[87:88], v[87:88], v[93:94], v[67:68]
	v_fma_f64 v[85:86], -v[85:86], v[93:94], v[65:66]
	v_fma_f64 v[83:84], v[83:84], v[93:94], v[63:64]
	;; [unrolled: 2-line block ×4, first 2 shown]
	s_clause 0x3
	global_load_b128 v[63:66], v[28:29], off offset:24640
	global_load_b128 v[67:70], v[28:29], off offset:24656
	global_load_b128 v[71:74], v[28:29], off offset:24672
	global_load_b128 v[75:78], v[28:29], off offset:24688
	s_wait_loadcnt 0x14
	v_fma_f64 v[89:90], v[107:108], v[111:112], v[89:90]
	v_fma_f64 v[87:88], v[109:110], v[111:112], v[87:88]
	;; [unrolled: 1-line block ×8, first 2 shown]
	v_fma_f64 v[109:110], -v[109:110], v[113:114], v[89:90]
	v_fma_f64 v[107:108], v[107:108], v[113:114], v[87:88]
	v_fma_f64 v[105:106], -v[105:106], v[113:114], v[85:86]
	v_fma_f64 v[103:104], v[103:104], v[113:114], v[83:84]
	v_fma_f64 v[111:112], -v[101:102], v[113:114], v[81:82]
	v_fma_f64 v[131:132], v[99:100], v[113:114], v[79:80]
	v_fma_f64 v[133:134], -v[97:98], v[113:114], v[91:92]
	v_fma_f64 v[113:114], v[95:96], v[113:114], v[93:94]
	s_clause 0x3
	global_load_b128 v[79:82], v[28:29], off offset:24752
	global_load_b128 v[83:86], v[28:29], off offset:24736
	;; [unrolled: 1-line block ×4, first 2 shown]
	s_clause 0x1
	global_load_b128 v[95:98], v[137:138], off offset:32
	global_load_b128 v[99:102], v[137:138], off offset:48
	s_wait_loadcnt 0x15
	v_fma_f64 v[109:110], v[21:22], v[30:31], v[109:110]
	v_fma_f64 v[107:108], v[23:24], v[30:31], v[107:108]
	;; [unrolled: 1-line block ×8, first 2 shown]
	v_fma_f64 v[109:110], -v[23:24], v[32:33], v[109:110]
	v_fma_f64 v[107:108], v[21:22], v[32:33], v[107:108]
	v_fma_f64 v[105:106], -v[19:20], v[32:33], v[105:106]
	v_fma_f64 v[103:104], v[17:18], v[32:33], v[103:104]
	;; [unrolled: 2-line block ×4, first 2 shown]
	s_clause 0x3
	global_load_b128 v[9:12], v[28:29], off offset:24768
	global_load_b128 v[13:16], v[28:29], off offset:24784
	global_load_b128 v[17:20], v[28:29], off offset:24800
	global_load_b128 v[21:24], v[28:29], off offset:24816
	v_add_co_u32 v28, s2, 0x8000, v28
	s_wait_alu 0xf1ff
	v_add_co_ci_u32_e64 v29, null, 0, v29, s2
	s_wait_loadcnt 0x14
	v_fma_f64 v[32:33], v[46:47], v[51:52], v[109:110]
	v_fma_f64 v[107:108], v[48:49], v[51:52], v[107:108]
	;; [unrolled: 1-line block ×8, first 2 shown]
	v_fma_f64 v[32:33], -v[48:49], v[53:54], v[32:33]
	v_fma_f64 v[46:47], v[46:47], v[53:54], v[107:108]
	v_fma_f64 v[44:45], -v[44:45], v[53:54], v[105:106]
	v_fma_f64 v[42:43], v[42:43], v[53:54], v[103:104]
	;; [unrolled: 2-line block ×4, first 2 shown]
	s_wait_loadcnt 0xf
	v_fma_f64 v[32:33], v[127:128], v[55:56], v[32:33]
	v_fma_f64 v[34:35], v[129:130], v[55:56], v[46:47]
	;; [unrolled: 1-line block ×8, first 2 shown]
	v_fma_f64 v[32:33], -v[129:130], v[57:58], v[32:33]
	v_fma_f64 v[34:35], v[127:128], v[57:58], v[34:35]
	v_fma_f64 v[44:45], -v[125:126], v[57:58], v[44:45]
	v_fma_f64 v[42:43], v[123:124], v[57:58], v[42:43]
	;; [unrolled: 2-line block ×4, first 2 shown]
	s_wait_loadcnt 0xd
	v_fma_f64 v[32:33], v[63:64], v[59:60], v[32:33]
	v_fma_f64 v[34:35], v[65:66], v[59:60], v[34:35]
	s_wait_loadcnt 0xc
	v_fma_f64 v[44:45], v[67:68], v[59:60], v[44:45]
	v_fma_f64 v[42:43], v[69:70], v[59:60], v[42:43]
	;; [unrolled: 3-line block ×4, first 2 shown]
	v_fma_f64 v[32:33], -v[65:66], v[61:62], v[32:33]
	v_fma_f64 v[34:35], v[63:64], v[61:62], v[34:35]
	v_fma_f64 v[44:45], -v[69:70], v[61:62], v[44:45]
	v_fma_f64 v[42:43], v[67:68], v[61:62], v[42:43]
	;; [unrolled: 2-line block ×4, first 2 shown]
	s_wait_loadcnt 0x5
	v_fma_f64 v[32:33], v[91:92], v[95:96], v[32:33]
	v_fma_f64 v[34:35], v[93:94], v[95:96], v[34:35]
	v_fma_f64 v[44:45], v[87:88], v[95:96], v[44:45]
	v_fma_f64 v[42:43], v[89:90], v[95:96], v[42:43]
	v_fma_f64 v[40:41], v[83:84], v[95:96], v[40:41]
	v_fma_f64 v[38:39], v[85:86], v[95:96], v[38:39]
	v_fma_f64 v[36:37], v[79:80], v[95:96], v[36:37]
	v_fma_f64 v[30:31], v[81:82], v[95:96], v[30:31]
	v_fma_f64 v[32:33], -v[93:94], v[97:98], v[32:33]
	v_fma_f64 v[34:35], v[91:92], v[97:98], v[34:35]
	v_fma_f64 v[44:45], -v[89:90], v[97:98], v[44:45]
	v_fma_f64 v[42:43], v[87:88], v[97:98], v[42:43]
	;; [unrolled: 2-line block ×4, first 2 shown]
	s_wait_loadcnt 0x3
	v_fma_f64 v[32:33], v[9:10], v[99:100], v[32:33]
	v_fma_f64 v[34:35], v[11:12], v[99:100], v[34:35]
	s_wait_loadcnt 0x2
	v_fma_f64 v[44:45], v[13:14], v[99:100], v[44:45]
	v_fma_f64 v[42:43], v[15:16], v[99:100], v[42:43]
	;; [unrolled: 3-line block ×4, first 2 shown]
	v_fma_f64 v[38:39], -v[11:12], v[101:102], v[32:33]
	v_fma_f64 v[34:35], v[9:10], v[101:102], v[34:35]
	v_fma_f64 v[44:45], -v[15:16], v[101:102], v[44:45]
	v_fma_f64 v[36:37], v[13:14], v[101:102], v[42:43]
	;; [unrolled: 2-line block ×4, first 2 shown]
	s_wait_alu 0xfffe
	s_and_not1_b32 exec_lo, exec_lo, s7
	s_cbranch_execnz .LBB18_31
; %bb.32:
	s_or_b32 exec_lo, exec_lo, s7
.LBB18_33:
	s_wait_alu 0xfffe
	s_or_b32 exec_lo, exec_lo, s6
.LBB18_34:
	s_wait_alu 0xfffe
	s_or_b32 exec_lo, exec_lo, s3
.LBB18_35:
	v_mbcnt_lo_u32_b32 v46, -1, 0
	s_delay_alu instid0(VALU_DEP_1) | instskip(SKIP_1) | instid1(VALU_DEP_2)
	v_xor_b32_e32 v9, 16, v46
	v_xor_b32_e32 v26, 8, v46
	v_cmp_gt_i32_e32 vcc_lo, 32, v9
	s_wait_alu 0xfffd
	v_cndmask_b32_e32 v9, v46, v9, vcc_lo
	s_delay_alu instid0(VALU_DEP_3) | instskip(NEXT) | instid1(VALU_DEP_2)
	v_cmp_gt_i32_e32 vcc_lo, 32, v26
	v_lshlrev_b32_e32 v24, 2, v9
	s_wait_alu 0xfffd
	v_cndmask_b32_e32 v26, v46, v26, vcc_lo
	ds_bpermute_b32 v9, v24, v38
	ds_bpermute_b32 v10, v24, v39
	;; [unrolled: 1-line block ×16, first 2 shown]
	s_wait_dscnt 0xe
	v_add_f64_e32 v[9:10], v[38:39], v[9:10]
	s_wait_dscnt 0xc
	v_add_f64_e32 v[11:12], v[34:35], v[11:12]
	;; [unrolled: 2-line block ×5, first 2 shown]
	v_lshlrev_b32_e32 v41, 2, v26
	s_wait_dscnt 0x4
	v_add_f64_e32 v[19:20], v[42:43], v[19:20]
	s_wait_dscnt 0x2
	v_add_f64_e32 v[21:22], v[32:33], v[21:22]
	;; [unrolled: 2-line block ×3, first 2 shown]
	ds_bpermute_b32 v26, v41, v9
	ds_bpermute_b32 v27, v41, v10
	;; [unrolled: 1-line block ×16, first 2 shown]
	s_wait_dscnt 0xe
	v_add_f64_e32 v[9:10], v[9:10], v[26:27]
	v_xor_b32_e32 v26, 4, v46
	s_wait_dscnt 0xc
	v_add_f64_e32 v[11:12], v[11:12], v[28:29]
	s_wait_dscnt 0xa
	v_add_f64_e32 v[13:14], v[13:14], v[30:31]
	;; [unrolled: 2-line block ×3, first 2 shown]
	v_cmp_gt_i32_e32 vcc_lo, 32, v26
	s_wait_dscnt 0x6
	v_add_f64_e32 v[17:18], v[17:18], v[34:35]
	s_wait_dscnt 0x4
	v_add_f64_e32 v[19:20], v[19:20], v[36:37]
	;; [unrolled: 2-line block ×3, first 2 shown]
	s_wait_alu 0xfffd
	v_cndmask_b32_e32 v26, v46, v26, vcc_lo
	s_wait_dscnt 0x0
	v_add_f64_e32 v[23:24], v[23:24], v[40:41]
	s_delay_alu instid0(VALU_DEP_2)
	v_lshlrev_b32_e32 v41, 2, v26
	ds_bpermute_b32 v26, v41, v9
	ds_bpermute_b32 v27, v41, v10
	;; [unrolled: 1-line block ×16, first 2 shown]
	s_wait_dscnt 0xe
	v_add_f64_e32 v[9:10], v[9:10], v[26:27]
	s_wait_dscnt 0xc
	v_add_f64_e32 v[11:12], v[11:12], v[28:29]
	;; [unrolled: 2-line block ×8, first 2 shown]
	v_xor_b32_e32 v23, 2, v46
	s_delay_alu instid0(VALU_DEP_1) | instskip(SKIP_2) | instid1(VALU_DEP_1)
	v_cmp_gt_i32_e32 vcc_lo, 32, v23
	s_wait_alu 0xfffd
	v_cndmask_b32_e32 v23, v46, v23, vcc_lo
	v_lshlrev_b32_e32 v41, 2, v23
	ds_bpermute_b32 v23, v41, v9
	ds_bpermute_b32 v24, v41, v10
	;; [unrolled: 1-line block ×16, first 2 shown]
	s_wait_dscnt 0xe
	v_add_f64_e32 v[9:10], v[9:10], v[23:24]
	s_wait_dscnt 0xc
	v_add_f64_e32 v[28:29], v[11:12], v[28:29]
	;; [unrolled: 2-line block ×7, first 2 shown]
	v_xor_b32_e32 v21, 1, v46
	s_wait_dscnt 0x0
	v_add_f64_e32 v[17:18], v[26:27], v[40:41]
	s_delay_alu instid0(VALU_DEP_2) | instskip(SKIP_3) | instid1(VALU_DEP_2)
	v_cmp_gt_i32_e32 vcc_lo, 32, v21
	s_wait_alu 0xfffd
	v_cndmask_b32_e32 v21, v46, v21, vcc_lo
	v_cmp_eq_u32_e32 vcc_lo, 31, v0
	v_lshlrev_b32_e32 v35, 2, v21
	ds_bpermute_b32 v21, v35, v9
	ds_bpermute_b32 v22, v35, v10
	;; [unrolled: 1-line block ×16, first 2 shown]
	s_and_b32 exec_lo, exec_lo, vcc_lo
	s_cbranch_execz .LBB18_8
; %bb.36:
	s_wait_dscnt 0xc
	v_add_f64_e32 v[28:29], v[28:29], v[40:41]
	s_wait_dscnt 0x8
	v_add_f64_e32 v[23:24], v[23:24], v[38:39]
	;; [unrolled: 2-line block ×4, first 2 shown]
	v_add_f64_e32 v[9:10], v[9:10], v[21:22]
	v_add_f64_e32 v[11:12], v[11:12], v[26:27]
	;; [unrolled: 1-line block ×4, first 2 shown]
	v_cmp_eq_f64_e32 vcc_lo, 0, v[1:2]
	v_cmp_eq_f64_e64 s2, 0, v[3:4]
	s_load_b64 s[0:1], s[0:1], 0x60
	v_mul_f64_e64 v[13:14], v[28:29], -v[7:8]
	v_mul_f64_e32 v[15:16], v[5:6], v[28:29]
	v_mul_f64_e64 v[28:29], v[23:24], -v[7:8]
	v_mul_f64_e32 v[23:24], v[5:6], v[23:24]
	;; [unrolled: 2-line block ×4, first 2 shown]
	s_and_b32 s2, vcc_lo, s2
	v_fma_f64 v[17:18], v[5:6], v[9:10], v[13:14]
	v_fma_f64 v[19:20], v[7:8], v[9:10], v[15:16]
	;; [unrolled: 1-line block ×8, first 2 shown]
	v_lshlrev_b32_e32 v21, 2, v25
	s_wait_alu 0xfffe
	s_and_saveexec_b32 s3, s2
	s_wait_alu 0xfffe
	s_xor_b32 s2, exec_lo, s3
	s_cbranch_execz .LBB18_38
; %bb.37:
	v_ashrrev_i32_e32 v22, 31, v21
	s_delay_alu instid0(VALU_DEP_1) | instskip(SKIP_1) | instid1(VALU_DEP_1)
	v_lshlrev_b64_e32 v[0:1], 4, v[21:22]
                                        ; implicit-def: $vgpr21
	s_wait_kmcnt 0x0
	v_add_co_u32 v0, vcc_lo, s0, v0
	s_wait_alu 0xfffd
	s_delay_alu instid0(VALU_DEP_2)
	v_add_co_ci_u32_e64 v1, null, s1, v1, vcc_lo
	s_clause 0x3
	global_store_b128 v[0:1], v[17:20], off
	global_store_b128 v[0:1], v[13:16], off offset:16
	global_store_b128 v[0:1], v[9:12], off offset:32
	;; [unrolled: 1-line block ×3, first 2 shown]
                                        ; implicit-def: $vgpr3_vgpr4
                                        ; implicit-def: $vgpr17_vgpr18
                                        ; implicit-def: $vgpr13_vgpr14
                                        ; implicit-def: $vgpr9_vgpr10
                                        ; implicit-def: $vgpr5_vgpr6
.LBB18_38:
	s_wait_alu 0xfffe
	s_and_not1_saveexec_b32 s2, s2
	s_cbranch_execz .LBB18_8
; %bb.39:
	v_ashrrev_i32_e32 v22, 31, v21
	s_delay_alu instid0(VALU_DEP_1) | instskip(SKIP_1) | instid1(VALU_DEP_1)
	v_lshlrev_b64_e32 v[21:22], 4, v[21:22]
	s_wait_kmcnt 0x0
	v_add_co_u32 v37, vcc_lo, s0, v21
	s_wait_alu 0xfffd
	s_delay_alu instid0(VALU_DEP_2)
	v_add_co_ci_u32_e64 v38, null, s1, v22, vcc_lo
	s_clause 0x3
	global_load_b128 v[21:24], v[37:38], off
	global_load_b128 v[25:28], v[37:38], off offset:16
	global_load_b128 v[29:32], v[37:38], off offset:32
	;; [unrolled: 1-line block ×3, first 2 shown]
	s_wait_loadcnt 0x3
	v_fma_f64 v[17:18], v[1:2], v[21:22], v[17:18]
	v_fma_f64 v[19:20], v[3:4], v[21:22], v[19:20]
	s_wait_loadcnt 0x2
	v_fma_f64 v[13:14], v[1:2], v[25:26], v[13:14]
	v_fma_f64 v[15:16], v[3:4], v[25:26], v[15:16]
	;; [unrolled: 3-line block ×4, first 2 shown]
	v_fma_f64 v[5:6], -v[3:4], v[23:24], v[17:18]
	v_fma_f64 v[7:8], v[1:2], v[23:24], v[19:20]
	v_fma_f64 v[9:10], -v[3:4], v[27:28], v[13:14]
	v_fma_f64 v[11:12], v[1:2], v[27:28], v[15:16]
	;; [unrolled: 2-line block ×4, first 2 shown]
	s_clause 0x3
	global_store_b128 v[37:38], v[5:8], off
	global_store_b128 v[37:38], v[9:12], off offset:16
	global_store_b128 v[37:38], v[13:16], off offset:32
	;; [unrolled: 1-line block ×3, first 2 shown]
	s_nop 0
	s_sendmsg sendmsg(MSG_DEALLOC_VGPRS)
	s_endpgm
	.section	.rodata,"a",@progbits
	.p2align	6, 0x0
	.amdhsa_kernel _ZN9rocsparseL18bsrxmvn_4x4_kernelILj128ELj32E21rocsparse_complex_numIdEiiS2_S2_S2_EEvT3_20rocsparse_direction_NS_24const_host_device_scalarIT1_EES3_PKS3_PKT2_SC_S9_PKT4_PKT5_S7_PT6_21rocsparse_index_base_b
		.amdhsa_group_segment_fixed_size 0
		.amdhsa_private_segment_fixed_size 0
		.amdhsa_kernarg_size 112
		.amdhsa_user_sgpr_count 2
		.amdhsa_user_sgpr_dispatch_ptr 0
		.amdhsa_user_sgpr_queue_ptr 0
		.amdhsa_user_sgpr_kernarg_segment_ptr 1
		.amdhsa_user_sgpr_dispatch_id 0
		.amdhsa_user_sgpr_private_segment_size 0
		.amdhsa_wavefront_size32 1
		.amdhsa_uses_dynamic_stack 0
		.amdhsa_enable_private_segment 0
		.amdhsa_system_sgpr_workgroup_id_x 1
		.amdhsa_system_sgpr_workgroup_id_y 0
		.amdhsa_system_sgpr_workgroup_id_z 0
		.amdhsa_system_sgpr_workgroup_info 0
		.amdhsa_system_vgpr_workitem_id 0
		.amdhsa_next_free_vgpr 153
		.amdhsa_next_free_sgpr 14
		.amdhsa_reserve_vcc 1
		.amdhsa_float_round_mode_32 0
		.amdhsa_float_round_mode_16_64 0
		.amdhsa_float_denorm_mode_32 3
		.amdhsa_float_denorm_mode_16_64 3
		.amdhsa_fp16_overflow 0
		.amdhsa_workgroup_processor_mode 1
		.amdhsa_memory_ordered 1
		.amdhsa_forward_progress 1
		.amdhsa_inst_pref_size 94
		.amdhsa_round_robin_scheduling 0
		.amdhsa_exception_fp_ieee_invalid_op 0
		.amdhsa_exception_fp_denorm_src 0
		.amdhsa_exception_fp_ieee_div_zero 0
		.amdhsa_exception_fp_ieee_overflow 0
		.amdhsa_exception_fp_ieee_underflow 0
		.amdhsa_exception_fp_ieee_inexact 0
		.amdhsa_exception_int_div_zero 0
	.end_amdhsa_kernel
	.section	.text._ZN9rocsparseL18bsrxmvn_4x4_kernelILj128ELj32E21rocsparse_complex_numIdEiiS2_S2_S2_EEvT3_20rocsparse_direction_NS_24const_host_device_scalarIT1_EES3_PKS3_PKT2_SC_S9_PKT4_PKT5_S7_PT6_21rocsparse_index_base_b,"axG",@progbits,_ZN9rocsparseL18bsrxmvn_4x4_kernelILj128ELj32E21rocsparse_complex_numIdEiiS2_S2_S2_EEvT3_20rocsparse_direction_NS_24const_host_device_scalarIT1_EES3_PKS3_PKT2_SC_S9_PKT4_PKT5_S7_PT6_21rocsparse_index_base_b,comdat
.Lfunc_end18:
	.size	_ZN9rocsparseL18bsrxmvn_4x4_kernelILj128ELj32E21rocsparse_complex_numIdEiiS2_S2_S2_EEvT3_20rocsparse_direction_NS_24const_host_device_scalarIT1_EES3_PKS3_PKT2_SC_S9_PKT4_PKT5_S7_PT6_21rocsparse_index_base_b, .Lfunc_end18-_ZN9rocsparseL18bsrxmvn_4x4_kernelILj128ELj32E21rocsparse_complex_numIdEiiS2_S2_S2_EEvT3_20rocsparse_direction_NS_24const_host_device_scalarIT1_EES3_PKS3_PKT2_SC_S9_PKT4_PKT5_S7_PT6_21rocsparse_index_base_b
                                        ; -- End function
	.set _ZN9rocsparseL18bsrxmvn_4x4_kernelILj128ELj32E21rocsparse_complex_numIdEiiS2_S2_S2_EEvT3_20rocsparse_direction_NS_24const_host_device_scalarIT1_EES3_PKS3_PKT2_SC_S9_PKT4_PKT5_S7_PT6_21rocsparse_index_base_b.num_vgpr, 153
	.set _ZN9rocsparseL18bsrxmvn_4x4_kernelILj128ELj32E21rocsparse_complex_numIdEiiS2_S2_S2_EEvT3_20rocsparse_direction_NS_24const_host_device_scalarIT1_EES3_PKS3_PKT2_SC_S9_PKT4_PKT5_S7_PT6_21rocsparse_index_base_b.num_agpr, 0
	.set _ZN9rocsparseL18bsrxmvn_4x4_kernelILj128ELj32E21rocsparse_complex_numIdEiiS2_S2_S2_EEvT3_20rocsparse_direction_NS_24const_host_device_scalarIT1_EES3_PKS3_PKT2_SC_S9_PKT4_PKT5_S7_PT6_21rocsparse_index_base_b.numbered_sgpr, 14
	.set _ZN9rocsparseL18bsrxmvn_4x4_kernelILj128ELj32E21rocsparse_complex_numIdEiiS2_S2_S2_EEvT3_20rocsparse_direction_NS_24const_host_device_scalarIT1_EES3_PKS3_PKT2_SC_S9_PKT4_PKT5_S7_PT6_21rocsparse_index_base_b.num_named_barrier, 0
	.set _ZN9rocsparseL18bsrxmvn_4x4_kernelILj128ELj32E21rocsparse_complex_numIdEiiS2_S2_S2_EEvT3_20rocsparse_direction_NS_24const_host_device_scalarIT1_EES3_PKS3_PKT2_SC_S9_PKT4_PKT5_S7_PT6_21rocsparse_index_base_b.private_seg_size, 0
	.set _ZN9rocsparseL18bsrxmvn_4x4_kernelILj128ELj32E21rocsparse_complex_numIdEiiS2_S2_S2_EEvT3_20rocsparse_direction_NS_24const_host_device_scalarIT1_EES3_PKS3_PKT2_SC_S9_PKT4_PKT5_S7_PT6_21rocsparse_index_base_b.uses_vcc, 1
	.set _ZN9rocsparseL18bsrxmvn_4x4_kernelILj128ELj32E21rocsparse_complex_numIdEiiS2_S2_S2_EEvT3_20rocsparse_direction_NS_24const_host_device_scalarIT1_EES3_PKS3_PKT2_SC_S9_PKT4_PKT5_S7_PT6_21rocsparse_index_base_b.uses_flat_scratch, 0
	.set _ZN9rocsparseL18bsrxmvn_4x4_kernelILj128ELj32E21rocsparse_complex_numIdEiiS2_S2_S2_EEvT3_20rocsparse_direction_NS_24const_host_device_scalarIT1_EES3_PKS3_PKT2_SC_S9_PKT4_PKT5_S7_PT6_21rocsparse_index_base_b.has_dyn_sized_stack, 0
	.set _ZN9rocsparseL18bsrxmvn_4x4_kernelILj128ELj32E21rocsparse_complex_numIdEiiS2_S2_S2_EEvT3_20rocsparse_direction_NS_24const_host_device_scalarIT1_EES3_PKS3_PKT2_SC_S9_PKT4_PKT5_S7_PT6_21rocsparse_index_base_b.has_recursion, 0
	.set _ZN9rocsparseL18bsrxmvn_4x4_kernelILj128ELj32E21rocsparse_complex_numIdEiiS2_S2_S2_EEvT3_20rocsparse_direction_NS_24const_host_device_scalarIT1_EES3_PKS3_PKT2_SC_S9_PKT4_PKT5_S7_PT6_21rocsparse_index_base_b.has_indirect_call, 0
	.section	.AMDGPU.csdata,"",@progbits
; Kernel info:
; codeLenInByte = 11920
; TotalNumSgprs: 16
; NumVgprs: 153
; ScratchSize: 0
; MemoryBound: 1
; FloatMode: 240
; IeeeMode: 1
; LDSByteSize: 0 bytes/workgroup (compile time only)
; SGPRBlocks: 0
; VGPRBlocks: 19
; NumSGPRsForWavesPerEU: 16
; NumVGPRsForWavesPerEU: 153
; Occupancy: 9
; WaveLimiterHint : 1
; COMPUTE_PGM_RSRC2:SCRATCH_EN: 0
; COMPUTE_PGM_RSRC2:USER_SGPR: 2
; COMPUTE_PGM_RSRC2:TRAP_HANDLER: 0
; COMPUTE_PGM_RSRC2:TGID_X_EN: 1
; COMPUTE_PGM_RSRC2:TGID_Y_EN: 0
; COMPUTE_PGM_RSRC2:TGID_Z_EN: 0
; COMPUTE_PGM_RSRC2:TIDIG_COMP_CNT: 0
	.section	.text._ZN9rocsparseL18bsrxmvn_4x4_kernelILj128ELj64E21rocsparse_complex_numIdEiiS2_S2_S2_EEvT3_20rocsparse_direction_NS_24const_host_device_scalarIT1_EES3_PKS3_PKT2_SC_S9_PKT4_PKT5_S7_PT6_21rocsparse_index_base_b,"axG",@progbits,_ZN9rocsparseL18bsrxmvn_4x4_kernelILj128ELj64E21rocsparse_complex_numIdEiiS2_S2_S2_EEvT3_20rocsparse_direction_NS_24const_host_device_scalarIT1_EES3_PKS3_PKT2_SC_S9_PKT4_PKT5_S7_PT6_21rocsparse_index_base_b,comdat
	.globl	_ZN9rocsparseL18bsrxmvn_4x4_kernelILj128ELj64E21rocsparse_complex_numIdEiiS2_S2_S2_EEvT3_20rocsparse_direction_NS_24const_host_device_scalarIT1_EES3_PKS3_PKT2_SC_S9_PKT4_PKT5_S7_PT6_21rocsparse_index_base_b ; -- Begin function _ZN9rocsparseL18bsrxmvn_4x4_kernelILj128ELj64E21rocsparse_complex_numIdEiiS2_S2_S2_EEvT3_20rocsparse_direction_NS_24const_host_device_scalarIT1_EES3_PKS3_PKT2_SC_S9_PKT4_PKT5_S7_PT6_21rocsparse_index_base_b
	.p2align	8
	.type	_ZN9rocsparseL18bsrxmvn_4x4_kernelILj128ELj64E21rocsparse_complex_numIdEiiS2_S2_S2_EEvT3_20rocsparse_direction_NS_24const_host_device_scalarIT1_EES3_PKS3_PKT2_SC_S9_PKT4_PKT5_S7_PT6_21rocsparse_index_base_b,@function
_ZN9rocsparseL18bsrxmvn_4x4_kernelILj128ELj64E21rocsparse_complex_numIdEiiS2_S2_S2_EEvT3_20rocsparse_direction_NS_24const_host_device_scalarIT1_EES3_PKS3_PKT2_SC_S9_PKT4_PKT5_S7_PT6_21rocsparse_index_base_b: ; @_ZN9rocsparseL18bsrxmvn_4x4_kernelILj128ELj64E21rocsparse_complex_numIdEiiS2_S2_S2_EEvT3_20rocsparse_direction_NS_24const_host_device_scalarIT1_EES3_PKS3_PKT2_SC_S9_PKT4_PKT5_S7_PT6_21rocsparse_index_base_b
; %bb.0:
	s_clause 0x1
	s_load_b64 s[12:13], s[0:1], 0x68
	s_load_b64 s[2:3], s[0:1], 0x8
	s_add_nc_u64 s[4:5], s[0:1], 8
	s_load_b64 s[6:7], s[0:1], 0x50
	s_wait_kmcnt 0x0
	s_bitcmp1_b32 s13, 0
	s_cselect_b32 s2, s4, s2
	s_cselect_b32 s3, s5, s3
	s_delay_alu instid0(SALU_CYCLE_1)
	v_dual_mov_b32 v1, s2 :: v_dual_mov_b32 v2, s3
	s_add_nc_u64 s[2:3], s[0:1], 0x50
	s_wait_alu 0xfffe
	s_cselect_b32 s2, s2, s6
	s_cselect_b32 s3, s3, s7
	flat_load_b128 v[5:8], v[1:2]
	s_wait_alu 0xfffe
	v_dual_mov_b32 v1, s2 :: v_dual_mov_b32 v2, s3
	flat_load_b128 v[1:4], v[1:2]
	s_wait_loadcnt_dscnt 0x101
	v_cmp_eq_f64_e32 vcc_lo, 0, v[5:6]
	v_cmp_eq_f64_e64 s2, 0, v[7:8]
	s_and_b32 s4, vcc_lo, s2
	s_mov_b32 s2, -1
	s_and_saveexec_b32 s3, s4
	s_cbranch_execz .LBB19_2
; %bb.1:
	s_wait_loadcnt_dscnt 0x0
	v_cmp_neq_f64_e32 vcc_lo, 1.0, v[1:2]
	v_cmp_neq_f64_e64 s2, 0, v[3:4]
	s_wait_alu 0xfffe
	s_or_b32 s2, vcc_lo, s2
	s_wait_alu 0xfffe
	s_or_not1_b32 s2, s2, exec_lo
.LBB19_2:
	s_wait_alu 0xfffe
	s_or_b32 exec_lo, exec_lo, s3
	s_and_saveexec_b32 s3, s2
	s_cbranch_execz .LBB19_8
; %bb.3:
	s_clause 0x1
	s_load_b64 s[4:5], s[0:1], 0x20
	s_load_b64 s[2:3], s[0:1], 0x0
	v_lshrrev_b32_e32 v9, 6, v0
	s_delay_alu instid0(VALU_DEP_1)
	v_lshl_or_b32 v25, ttmp9, 1, v9
	s_wait_kmcnt 0x0
	s_cmp_lg_u64 s[4:5], 0
	s_cbranch_scc0 .LBB19_9
; %bb.4:
	s_load_b32 s6, s[0:1], 0x18
	s_mov_b32 s7, 0
                                        ; implicit-def: $vgpr9
	s_wait_kmcnt 0x0
	v_cmp_gt_i32_e32 vcc_lo, s6, v25
	s_mov_b32 s6, 0
	s_and_saveexec_b32 s8, vcc_lo
	s_delay_alu instid0(SALU_CYCLE_1)
	s_xor_b32 s8, exec_lo, s8
	s_cbranch_execz .LBB19_6
; %bb.5:
	v_ashrrev_i32_e32 v26, 31, v25
	s_mov_b32 s6, exec_lo
	s_delay_alu instid0(VALU_DEP_1) | instskip(NEXT) | instid1(VALU_DEP_1)
	v_lshlrev_b64_e32 v[9:10], 2, v[25:26]
	v_add_co_u32 v9, vcc_lo, s4, v9
	s_delay_alu instid0(VALU_DEP_1)
	v_add_co_ci_u32_e64 v10, null, s5, v10, vcc_lo
	global_load_b32 v9, v[9:10], off
	s_wait_loadcnt 0x0
	v_subrev_nc_u32_e32 v9, s12, v9
.LBB19_6:
	s_or_b32 exec_lo, exec_lo, s8
	s_delay_alu instid0(SALU_CYCLE_1)
	s_and_b32 vcc_lo, exec_lo, s7
	s_wait_alu 0xfffe
	s_cbranch_vccz .LBB19_10
.LBB19_7:
	v_cmp_gt_i32_e32 vcc_lo, s2, v25
	s_and_not1_b32 s2, s6, exec_lo
	s_and_b32 s4, vcc_lo, exec_lo
	s_wait_alu 0xfffe
	s_or_b32 s6, s2, s4
	s_wait_alu 0xfffe
	s_and_b32 exec_lo, exec_lo, s6
	s_cbranch_execnz .LBB19_11
.LBB19_8:
	s_nop 0
	s_sendmsg sendmsg(MSG_DEALLOC_VGPRS)
	s_endpgm
.LBB19_9:
	s_mov_b32 s6, 0
                                        ; implicit-def: $vgpr9
	s_cbranch_execnz .LBB19_7
.LBB19_10:
	v_mov_b32_e32 v25, v9
	s_and_b32 exec_lo, exec_lo, s6
	s_cbranch_execz .LBB19_8
.LBB19_11:
	s_load_b256 s[4:11], s[0:1], 0x28
	s_delay_alu instid0(VALU_DEP_1) | instskip(SKIP_1) | instid1(VALU_DEP_2)
	v_ashrrev_i32_e32 v26, 31, v25
	v_and_b32_e32 v0, 63, v0
	v_lshlrev_b64_e32 v[9:10], 2, v[25:26]
	s_wait_kmcnt 0x0
	s_delay_alu instid0(VALU_DEP_1) | instskip(SKIP_1) | instid1(VALU_DEP_2)
	v_add_co_u32 v11, vcc_lo, s4, v9
	s_wait_alu 0xfffd
	v_add_co_ci_u32_e64 v12, null, s5, v10, vcc_lo
	v_add_co_u32 v9, vcc_lo, s6, v9
	s_wait_alu 0xfffd
	v_add_co_ci_u32_e64 v10, null, s7, v10, vcc_lo
	global_load_b32 v51, v[11:12], off
	v_add_co_u32 v11, vcc_lo, v11, 4
	s_wait_alu 0xfffd
	v_add_co_ci_u32_e64 v12, null, 0, v12, vcc_lo
	s_cmp_eq_u64 s[6:7], 0
	s_load_b64 s[4:5], s[0:1], 0x48
	s_cselect_b32 vcc_lo, -1, 0
	s_cmp_eq_u32 s3, 1
	s_wait_alu 0xfffe
	v_dual_cndmask_b32 v10, v10, v12 :: v_dual_cndmask_b32 v9, v9, v11
	global_load_b32 v11, v[9:10], off
	s_wait_loadcnt 0x1
	v_subrev_nc_u32_e32 v9, s12, v51
	s_delay_alu instid0(VALU_DEP_1) | instskip(NEXT) | instid1(VALU_DEP_1)
	v_add_nc_u32_e32 v26, v9, v0
	v_ashrrev_i32_e32 v27, 31, v26
	s_wait_loadcnt 0x0
	v_subrev_nc_u32_e32 v50, s12, v11
	s_delay_alu instid0(VALU_DEP_2) | instskip(NEXT) | instid1(VALU_DEP_2)
	v_lshlrev_b64_e32 v[9:10], 8, v[26:27]
	v_cmp_lt_i32_e64 s2, v26, v50
	s_delay_alu instid0(VALU_DEP_2) | instskip(SKIP_1) | instid1(VALU_DEP_3)
	v_add_co_u32 v28, vcc_lo, s10, v9
	s_wait_alu 0xfffd
	v_add_co_ci_u32_e64 v29, null, s11, v10, vcc_lo
	s_cbranch_scc1 .LBB19_23
; %bb.12:
	v_mov_b32_e32 v34, 0
	v_mov_b32_e32 v32, 0
	;; [unrolled: 1-line block ×3, first 2 shown]
	v_dual_mov_b32 v44, 0 :: v_dual_mov_b32 v35, 0
	v_dual_mov_b32 v38, 0 :: v_dual_mov_b32 v33, 0
	;; [unrolled: 1-line block ×5, first 2 shown]
	v_mov_b32_e32 v31, 0
	v_mov_b32_e32 v43, 0
	;; [unrolled: 1-line block ×3, first 2 shown]
	s_and_saveexec_b32 s6, s2
	s_cbranch_execz .LBB19_22
; %bb.13:
	v_dual_mov_b32 v36, 0 :: v_dual_add_nc_u32 v9, v51, v0
	v_not_b32_e32 v10, v51
	v_dual_mov_b32 v37, 0 :: v_dual_mov_b32 v42, 0
	s_delay_alu instid0(VALU_DEP_3) | instskip(SKIP_2) | instid1(VALU_DEP_3)
	v_subrev_nc_u32_e32 v9, s12, v9
	v_dual_mov_b32 v43, 0 :: v_dual_mov_b32 v30, 0
	v_dual_mov_b32 v31, 0 :: v_dual_mov_b32 v32, 0
	v_dual_mov_b32 v44, 0 :: v_dual_add_nc_u32 v9, 64, v9
	v_dual_mov_b32 v33, 0 :: v_dual_mov_b32 v38, 0
	v_dual_mov_b32 v45, 0 :: v_dual_mov_b32 v40, 0
	s_delay_alu instid0(VALU_DEP_3) | instskip(SKIP_2) | instid1(VALU_DEP_3)
	v_max_i32_e32 v9, v9, v50
	v_dual_mov_b32 v39, 0 :: v_dual_mov_b32 v34, 0
	v_dual_mov_b32 v49, v29 :: v_dual_mov_b32 v46, v26
	v_add3_u32 v9, s12, v9, v10
	v_dual_mov_b32 v35, 0 :: v_dual_mov_b32 v48, v28
	s_mov_b32 s3, exec_lo
	s_delay_alu instid0(VALU_DEP_2) | instskip(NEXT) | instid1(VALU_DEP_1)
	v_sub_nc_u32_e32 v9, v9, v0
	v_dual_mov_b32 v41, 0 :: v_dual_and_b32 v10, 0xc0, v9
	s_delay_alu instid0(VALU_DEP_1)
	v_cmpx_ne_u32_e32 0xc0, v10
	s_cbranch_execz .LBB19_17
; %bb.14:
	v_lshrrev_b32_e32 v10, 6, v9
	v_mov_b32_e32 v34, 0
	v_dual_mov_b32 v35, 0 :: v_dual_mov_b32 v38, 0
	v_mov_b32_e32 v32, 0
	s_delay_alu instid0(VALU_DEP_4) | instskip(SKIP_3) | instid1(VALU_DEP_4)
	v_add_nc_u32_e32 v10, 1, v10
	v_mov_b32_e32 v30, 0
	v_mov_b32_e32 v40, 0
	v_dual_mov_b32 v42, 0 :: v_dual_mov_b32 v49, v29
	v_and_b32_e32 v10, 3, v10
	v_mov_b32_e32 v44, 0
	v_mov_b32_e32 v36, 0
	v_dual_mov_b32 v46, v26 :: v_dual_mov_b32 v33, 0
	v_mov_b32_e32 v39, 0
	v_mov_b32_e32 v31, 0
	;; [unrolled: 1-line block ×6, first 2 shown]
	v_sub_nc_u32_e32 v10, 0, v10
	v_mov_b32_e32 v48, v28
	s_mov_b32 s7, 0
.LBB19_15:                              ; =>This Inner Loop Header: Depth=1
	v_ashrrev_i32_e32 v47, 31, v46
	s_delay_alu instid0(VALU_DEP_3) | instskip(SKIP_2) | instid1(VALU_DEP_2)
	v_add_co_u32 v10, s10, v10, 1
	s_wait_alu 0xfffe
	s_or_b32 s7, s10, s7
	v_lshlrev_b64_e32 v[11:12], 2, v[46:47]
	v_add_nc_u32_e32 v46, 64, v46
	s_delay_alu instid0(VALU_DEP_2) | instskip(SKIP_1) | instid1(VALU_DEP_3)
	v_add_co_u32 v11, vcc_lo, s8, v11
	s_wait_alu 0xfffd
	v_add_co_ci_u32_e64 v12, null, s9, v12, vcc_lo
	global_load_b32 v23, v[11:12], off
	s_clause 0x7
	global_load_b128 v[11:14], v[48:49], off offset:16
	global_load_b128 v[15:18], v[48:49], off
	global_load_b128 v[19:22], v[48:49], off offset:80
	global_load_b128 v[52:55], v[48:49], off offset:64
	;; [unrolled: 1-line block ×6, first 2 shown]
	s_wait_loadcnt 0x8
	v_subrev_nc_u32_e32 v23, s12, v23
	s_delay_alu instid0(VALU_DEP_1) | instskip(NEXT) | instid1(VALU_DEP_1)
	v_lshlrev_b32_e32 v23, 2, v23
	v_ashrrev_i32_e32 v24, 31, v23
	s_delay_alu instid0(VALU_DEP_1) | instskip(SKIP_1) | instid1(VALU_DEP_1)
	v_lshlrev_b64_e32 v[23:24], 4, v[23:24]
	s_wait_kmcnt 0x0
	v_add_co_u32 v23, vcc_lo, s4, v23
	s_wait_alu 0xfffd
	s_delay_alu instid0(VALU_DEP_2)
	v_add_co_ci_u32_e64 v24, null, s5, v24, vcc_lo
	s_clause 0x1
	global_load_b128 v[72:75], v[23:24], off
	global_load_b128 v[76:79], v[23:24], off offset:16
	s_clause 0x7
	global_load_b128 v[80:83], v[48:49], off offset:48
	global_load_b128 v[84:87], v[48:49], off offset:32
	;; [unrolled: 1-line block ×8, first 2 shown]
	s_clause 0x1
	global_load_b128 v[112:115], v[23:24], off offset:32
	global_load_b128 v[116:119], v[23:24], off offset:48
	v_add_co_u32 v48, vcc_lo, 0x4000, v48
	s_wait_alu 0xfffd
	v_add_co_ci_u32_e64 v49, null, 0, v49, vcc_lo
	s_wait_loadcnt 0xb
	v_fma_f64 v[23:24], v[15:16], v[72:73], v[38:39]
	v_fma_f64 v[34:35], v[17:18], v[72:73], v[34:35]
	v_fma_f64 v[38:39], v[52:53], v[72:73], v[44:45]
	v_fma_f64 v[36:37], v[54:55], v[72:73], v[36:37]
	v_fma_f64 v[40:41], v[60:61], v[72:73], v[40:41]
	v_fma_f64 v[42:43], v[62:63], v[72:73], v[42:43]
	v_fma_f64 v[32:33], v[68:69], v[72:73], v[32:33]
	v_fma_f64 v[30:31], v[70:71], v[72:73], v[30:31]
	v_fma_f64 v[17:18], -v[17:18], v[74:75], v[23:24]
	v_fma_f64 v[15:16], v[15:16], v[74:75], v[34:35]
	v_fma_f64 v[23:24], -v[54:55], v[74:75], v[38:39]
	v_fma_f64 v[34:35], v[52:53], v[74:75], v[36:37]
	v_fma_f64 v[36:37], -v[62:63], v[74:75], v[40:41]
	v_fma_f64 v[38:39], v[60:61], v[74:75], v[42:43]
	v_fma_f64 v[32:33], -v[70:71], v[74:75], v[32:33]
	v_fma_f64 v[30:31], v[68:69], v[74:75], v[30:31]
	s_wait_loadcnt 0xa
	v_fma_f64 v[17:18], v[11:12], v[76:77], v[17:18]
	v_fma_f64 v[15:16], v[13:14], v[76:77], v[15:16]
	v_fma_f64 v[23:24], v[19:20], v[76:77], v[23:24]
	v_fma_f64 v[34:35], v[21:22], v[76:77], v[34:35]
	v_fma_f64 v[36:37], v[56:57], v[76:77], v[36:37]
	v_fma_f64 v[38:39], v[58:59], v[76:77], v[38:39]
	v_fma_f64 v[32:33], v[64:65], v[76:77], v[32:33]
	v_fma_f64 v[30:31], v[66:67], v[76:77], v[30:31]
	v_fma_f64 v[13:14], -v[13:14], v[78:79], v[17:18]
	v_fma_f64 v[11:12], v[11:12], v[78:79], v[15:16]
	v_fma_f64 v[15:16], -v[21:22], v[78:79], v[23:24]
	v_fma_f64 v[17:18], v[19:20], v[78:79], v[34:35]
	v_fma_f64 v[19:20], -v[58:59], v[78:79], v[36:37]
	v_fma_f64 v[21:22], v[56:57], v[78:79], v[38:39]
	v_fma_f64 v[23:24], -v[66:67], v[78:79], v[32:33]
	v_fma_f64 v[30:31], v[64:65], v[78:79], v[30:31]
	;; [unrolled: 17-line block ×4, first 2 shown]
	s_wait_alu 0xfffe
	s_and_not1_b32 exec_lo, exec_lo, s7
	s_cbranch_execnz .LBB19_15
; %bb.16:
	s_or_b32 exec_lo, exec_lo, s7
.LBB19_17:
	s_wait_alu 0xfffe
	s_or_b32 exec_lo, exec_lo, s3
	s_delay_alu instid0(SALU_CYCLE_1)
	s_mov_b32 s7, exec_lo
	v_cmpx_lt_u32_e32 0xbf, v9
	s_cbranch_execz .LBB19_21
; %bb.18:
	s_mov_b32 s10, 0
.LBB19_19:                              ; =>This Inner Loop Header: Depth=1
	v_ashrrev_i32_e32 v47, 31, v46
	s_delay_alu instid0(VALU_DEP_1) | instskip(SKIP_1) | instid1(VALU_DEP_2)
	v_lshlrev_b64_e32 v[9:10], 2, v[46:47]
	v_add_nc_u32_e32 v46, 0x100, v46
	v_add_co_u32 v52, vcc_lo, s8, v9
	s_wait_alu 0xfffd
	s_delay_alu instid0(VALU_DEP_3)
	v_add_co_ci_u32_e64 v53, null, s9, v10, vcc_lo
	global_load_b32 v27, v[52:53], off
	s_clause 0x3
	global_load_b128 v[21:24], v[48:49], off
	global_load_b128 v[17:20], v[48:49], off offset:64
	global_load_b128 v[13:16], v[48:49], off offset:128
	global_load_b128 v[9:12], v[48:49], off offset:192
	s_clause 0x2
	global_load_b32 v47, v[52:53], off offset:256
	global_load_b32 v150, v[52:53], off offset:512
	;; [unrolled: 1-line block ×3, first 2 shown]
	s_wait_loadcnt 0x7
	v_subrev_nc_u32_e32 v27, s12, v27
	s_delay_alu instid0(VALU_DEP_1) | instskip(SKIP_2) | instid1(VALU_DEP_2)
	v_lshlrev_b32_e32 v52, 2, v27
	s_wait_loadcnt 0x2
	v_subrev_nc_u32_e32 v27, s12, v47
	v_ashrrev_i32_e32 v53, 31, v52
	s_delay_alu instid0(VALU_DEP_2) | instskip(SKIP_2) | instid1(VALU_DEP_3)
	v_lshlrev_b32_e32 v132, 2, v27
	s_wait_loadcnt 0x1
	v_subrev_nc_u32_e32 v27, s12, v150
	v_lshlrev_b64_e32 v[52:53], 4, v[52:53]
	s_delay_alu instid0(VALU_DEP_3) | instskip(NEXT) | instid1(VALU_DEP_3)
	v_ashrrev_i32_e32 v133, 31, v132
	v_lshlrev_b32_e32 v150, 2, v27
	s_wait_loadcnt 0x0
	v_subrev_nc_u32_e32 v27, s12, v152
	s_delay_alu instid0(VALU_DEP_3)
	v_lshlrev_b64_e32 v[132:133], 4, v[132:133]
	s_wait_kmcnt 0x0
	v_add_co_u32 v112, vcc_lo, s4, v52
	s_wait_alu 0xfffd
	v_add_co_ci_u32_e64 v113, null, s5, v53, vcc_lo
	v_ashrrev_i32_e32 v151, 31, v150
	v_add_co_u32 v136, vcc_lo, s4, v132
	global_load_b128 v[52:55], v[112:113], off
	s_clause 0x3
	global_load_b128 v[56:59], v[48:49], off offset:16
	global_load_b128 v[60:63], v[48:49], off offset:80
	global_load_b128 v[64:67], v[48:49], off offset:144
	global_load_b128 v[68:71], v[48:49], off offset:208
	global_load_b128 v[72:75], v[112:113], off offset:16
	s_clause 0x3
	global_load_b128 v[76:79], v[48:49], off offset:32
	global_load_b128 v[80:83], v[48:49], off offset:96
	global_load_b128 v[84:87], v[48:49], off offset:160
	global_load_b128 v[88:91], v[48:49], off offset:224
	global_load_b128 v[92:95], v[112:113], off offset:32
	;; [unrolled: 6-line block ×3, first 2 shown]
	s_clause 0x3
	global_load_b128 v[116:119], v[48:49], off offset:16384
	global_load_b128 v[120:123], v[48:49], off offset:16448
	;; [unrolled: 1-line block ×4, first 2 shown]
	s_wait_alu 0xfffd
	v_add_co_ci_u32_e64 v137, null, s5, v133, vcc_lo
	global_load_b128 v[132:135], v[136:137], off
	s_wait_loadcnt 0x14
	v_fma_f64 v[38:39], v[21:22], v[52:53], v[38:39]
	v_fma_f64 v[34:35], v[23:24], v[52:53], v[34:35]
	v_fma_f64 v[44:45], v[17:18], v[52:53], v[44:45]
	v_fma_f64 v[36:37], v[19:20], v[52:53], v[36:37]
	v_fma_f64 v[40:41], v[13:14], v[52:53], v[40:41]
	v_fma_f64 v[42:43], v[15:16], v[52:53], v[42:43]
	v_fma_f64 v[32:33], v[9:10], v[52:53], v[32:33]
	v_fma_f64 v[30:31], v[11:12], v[52:53], v[30:31]
	v_fma_f64 v[38:39], -v[23:24], v[54:55], v[38:39]
	v_fma_f64 v[34:35], v[21:22], v[54:55], v[34:35]
	v_fma_f64 v[44:45], -v[19:20], v[54:55], v[44:45]
	v_fma_f64 v[36:37], v[17:18], v[54:55], v[36:37]
	v_fma_f64 v[40:41], -v[15:16], v[54:55], v[40:41]
	v_fma_f64 v[42:43], v[13:14], v[54:55], v[42:43]
	v_fma_f64 v[52:53], -v[11:12], v[54:55], v[32:33]
	v_fma_f64 v[54:55], v[9:10], v[54:55], v[30:31]
	s_clause 0x3
	global_load_b128 v[9:12], v[48:49], off offset:16400
	global_load_b128 v[13:16], v[48:49], off offset:16464
	global_load_b128 v[17:20], v[48:49], off offset:16528
	global_load_b128 v[21:24], v[48:49], off offset:16592
	global_load_b128 v[30:33], v[136:137], off offset:16
	s_wait_loadcnt 0x14
	v_fma_f64 v[38:39], v[56:57], v[72:73], v[38:39]
	v_fma_f64 v[34:35], v[58:59], v[72:73], v[34:35]
	v_fma_f64 v[44:45], v[60:61], v[72:73], v[44:45]
	v_fma_f64 v[36:37], v[62:63], v[72:73], v[36:37]
	v_fma_f64 v[40:41], v[64:65], v[72:73], v[40:41]
	v_fma_f64 v[42:43], v[66:67], v[72:73], v[42:43]
	v_fma_f64 v[52:53], v[68:69], v[72:73], v[52:53]
	v_fma_f64 v[54:55], v[70:71], v[72:73], v[54:55]
	v_fma_f64 v[72:73], -v[58:59], v[74:75], v[38:39]
	v_fma_f64 v[138:139], v[56:57], v[74:75], v[34:35]
	v_fma_f64 v[62:63], -v[62:63], v[74:75], v[44:45]
	v_fma_f64 v[60:61], v[60:61], v[74:75], v[36:37]
	v_fma_f64 v[66:67], -v[66:67], v[74:75], v[40:41]
	v_fma_f64 v[64:65], v[64:65], v[74:75], v[42:43]
	v_fma_f64 v[70:71], -v[70:71], v[74:75], v[52:53]
	v_fma_f64 v[68:69], v[68:69], v[74:75], v[54:55]
	s_clause 0x3
	global_load_b128 v[34:37], v[48:49], off offset:16416
	global_load_b128 v[38:41], v[48:49], off offset:16480
	global_load_b128 v[42:45], v[48:49], off offset:16544
	global_load_b128 v[52:55], v[48:49], off offset:16608
	global_load_b128 v[56:59], v[136:137], off offset:32
	s_wait_loadcnt 0x14
	v_fma_f64 v[72:73], v[76:77], v[92:93], v[72:73]
	v_fma_f64 v[74:75], v[78:79], v[92:93], v[138:139]
	v_fma_f64 v[62:63], v[80:81], v[92:93], v[62:63]
	v_fma_f64 v[60:61], v[82:83], v[92:93], v[60:61]
	v_fma_f64 v[66:67], v[84:85], v[92:93], v[66:67]
	v_fma_f64 v[64:65], v[86:87], v[92:93], v[64:65]
	v_fma_f64 v[70:71], v[88:89], v[92:93], v[70:71]
	v_fma_f64 v[68:69], v[90:91], v[92:93], v[68:69]
	v_fma_f64 v[92:93], -v[78:79], v[94:95], v[72:73]
	v_fma_f64 v[138:139], v[76:77], v[94:95], v[74:75]
	v_fma_f64 v[82:83], -v[82:83], v[94:95], v[62:63]
	v_fma_f64 v[80:81], v[80:81], v[94:95], v[60:61]
	v_fma_f64 v[86:87], -v[86:87], v[94:95], v[66:67]
	v_fma_f64 v[84:85], v[84:85], v[94:95], v[64:65]
	v_fma_f64 v[90:91], -v[90:91], v[94:95], v[70:71]
	v_fma_f64 v[88:89], v[88:89], v[94:95], v[68:69]
	s_clause 0x3
	global_load_b128 v[60:63], v[48:49], off offset:16432
	global_load_b128 v[64:67], v[48:49], off offset:16496
	global_load_b128 v[68:71], v[48:49], off offset:16560
	global_load_b128 v[72:75], v[48:49], off offset:16624
	global_load_b128 v[76:79], v[136:137], off offset:48
	s_wait_loadcnt 0x14
	v_fma_f64 v[136:137], v[96:97], v[112:113], v[92:93]
	v_fma_f64 v[138:139], v[98:99], v[112:113], v[138:139]
	;; [unrolled: 1-line block ×8, first 2 shown]
	s_clause 0x3
	global_load_b128 v[80:83], v[48:49], off offset:32768
	global_load_b128 v[84:87], v[48:49], off offset:32832
	;; [unrolled: 1-line block ×4, first 2 shown]
	v_fma_f64 v[136:137], -v[98:99], v[114:115], v[136:137]
	v_fma_f64 v[138:139], v[96:97], v[114:115], v[138:139]
	v_fma_f64 v[102:103], -v[102:103], v[114:115], v[140:141]
	v_fma_f64 v[100:101], v[100:101], v[114:115], v[142:143]
	;; [unrolled: 2-line block ×4, first 2 shown]
	v_lshlrev_b64_e32 v[96:97], 4, v[150:151]
	v_lshlrev_b32_e32 v150, 2, v27
	s_delay_alu instid0(VALU_DEP_2) | instskip(SKIP_1) | instid1(VALU_DEP_3)
	v_add_co_u32 v140, vcc_lo, s4, v96
	s_wait_alu 0xfffd
	v_add_co_ci_u32_e64 v141, null, s5, v97, vcc_lo
	s_delay_alu instid0(VALU_DEP_3)
	v_ashrrev_i32_e32 v151, 31, v150
	global_load_b128 v[96:99], v[140:141], off
	s_wait_loadcnt 0x14
	v_fma_f64 v[112:113], v[116:117], v[132:133], v[136:137]
	v_fma_f64 v[114:115], v[118:119], v[132:133], v[138:139]
	v_fma_f64 v[102:103], v[120:121], v[132:133], v[102:103]
	v_fma_f64 v[100:101], v[122:123], v[132:133], v[100:101]
	v_fma_f64 v[106:107], v[124:125], v[132:133], v[106:107]
	v_fma_f64 v[104:105], v[126:127], v[132:133], v[104:105]
	v_fma_f64 v[110:111], v[128:129], v[132:133], v[110:111]
	v_fma_f64 v[108:109], v[130:131], v[132:133], v[108:109]
	v_fma_f64 v[132:133], -v[118:119], v[134:135], v[112:113]
	v_fma_f64 v[136:137], v[116:117], v[134:135], v[114:115]
	v_fma_f64 v[122:123], -v[122:123], v[134:135], v[102:103]
	v_fma_f64 v[120:121], v[120:121], v[134:135], v[100:101]
	v_fma_f64 v[126:127], -v[126:127], v[134:135], v[106:107]
	v_fma_f64 v[124:125], v[124:125], v[134:135], v[104:105]
	v_fma_f64 v[130:131], -v[130:131], v[134:135], v[110:111]
	v_fma_f64 v[128:129], v[128:129], v[134:135], v[108:109]
	s_clause 0x3
	global_load_b128 v[100:103], v[48:49], off offset:32784
	global_load_b128 v[104:107], v[48:49], off offset:32848
	global_load_b128 v[108:111], v[48:49], off offset:32912
	global_load_b128 v[112:115], v[48:49], off offset:32976
	global_load_b128 v[116:119], v[140:141], off offset:16
	s_wait_loadcnt 0x14
	v_fma_f64 v[132:133], v[9:10], v[30:31], v[132:133]
	v_fma_f64 v[134:135], v[11:12], v[30:31], v[136:137]
	v_fma_f64 v[122:123], v[13:14], v[30:31], v[122:123]
	v_fma_f64 v[120:121], v[15:16], v[30:31], v[120:121]
	v_fma_f64 v[126:127], v[17:18], v[30:31], v[126:127]
	v_fma_f64 v[124:125], v[19:20], v[30:31], v[124:125]
	v_fma_f64 v[130:131], v[21:22], v[30:31], v[130:131]
	v_fma_f64 v[30:31], v[23:24], v[30:31], v[128:129]
	v_fma_f64 v[128:129], -v[11:12], v[32:33], v[132:133]
	v_fma_f64 v[132:133], v[9:10], v[32:33], v[134:135]
	v_fma_f64 v[122:123], -v[15:16], v[32:33], v[122:123]
	v_fma_f64 v[120:121], v[13:14], v[32:33], v[120:121]
	v_fma_f64 v[126:127], -v[19:20], v[32:33], v[126:127]
	v_fma_f64 v[124:125], v[17:18], v[32:33], v[124:125]
	v_fma_f64 v[130:131], -v[23:24], v[32:33], v[130:131]
	v_fma_f64 v[134:135], v[21:22], v[32:33], v[30:31]
	s_clause 0x3
	global_load_b128 v[9:12], v[48:49], off offset:32800
	global_load_b128 v[13:16], v[48:49], off offset:32864
	global_load_b128 v[17:20], v[48:49], off offset:32928
	global_load_b128 v[21:24], v[48:49], off offset:32992
	global_load_b128 v[30:33], v[140:141], off offset:32
	;; [unrolled: 23-line block ×3, first 2 shown]
	s_wait_loadcnt 0x14
	v_fma_f64 v[136:137], v[60:61], v[76:77], v[128:129]
	v_fma_f64 v[138:139], v[62:63], v[76:77], v[132:133]
	;; [unrolled: 1-line block ×8, first 2 shown]
	s_clause 0x3
	global_load_b128 v[120:123], v[48:49], off offset:49152
	global_load_b128 v[124:127], v[48:49], off offset:49216
	;; [unrolled: 1-line block ×4, first 2 shown]
	v_fma_f64 v[136:137], -v[62:63], v[78:79], v[136:137]
	v_fma_f64 v[138:139], v[60:61], v[78:79], v[138:139]
	v_fma_f64 v[66:67], -v[66:67], v[78:79], v[140:141]
	v_fma_f64 v[64:65], v[64:65], v[78:79], v[142:143]
	v_fma_f64 v[70:71], -v[70:71], v[78:79], v[144:145]
	v_fma_f64 v[68:69], v[68:69], v[78:79], v[146:147]
	v_fma_f64 v[74:75], -v[74:75], v[78:79], v[148:149]
	v_fma_f64 v[72:73], v[72:73], v[78:79], v[76:77]
	v_lshlrev_b64_e32 v[60:61], 4, v[150:151]
	s_delay_alu instid0(VALU_DEP_1) | instskip(SKIP_1) | instid1(VALU_DEP_2)
	v_add_co_u32 v140, vcc_lo, s4, v60
	s_wait_alu 0xfffd
	v_add_co_ci_u32_e64 v141, null, s5, v61, vcc_lo
	v_cmp_ge_i32_e32 vcc_lo, v46, v50
	global_load_b128 v[60:63], v[140:141], off
	s_wait_alu 0xfffe
	s_or_b32 s10, vcc_lo, s10
	s_wait_loadcnt 0x14
	v_fma_f64 v[76:77], v[80:81], v[96:97], v[136:137]
	v_fma_f64 v[78:79], v[82:83], v[96:97], v[138:139]
	v_fma_f64 v[66:67], v[84:85], v[96:97], v[66:67]
	v_fma_f64 v[64:65], v[86:87], v[96:97], v[64:65]
	v_fma_f64 v[70:71], v[88:89], v[96:97], v[70:71]
	v_fma_f64 v[68:69], v[90:91], v[96:97], v[68:69]
	v_fma_f64 v[74:75], v[92:93], v[96:97], v[74:75]
	v_fma_f64 v[72:73], v[94:95], v[96:97], v[72:73]
	v_fma_f64 v[96:97], -v[82:83], v[98:99], v[76:77]
	v_fma_f64 v[136:137], v[80:81], v[98:99], v[78:79]
	v_fma_f64 v[86:87], -v[86:87], v[98:99], v[66:67]
	v_fma_f64 v[84:85], v[84:85], v[98:99], v[64:65]
	v_fma_f64 v[90:91], -v[90:91], v[98:99], v[70:71]
	v_fma_f64 v[88:89], v[88:89], v[98:99], v[68:69]
	v_fma_f64 v[94:95], -v[94:95], v[98:99], v[74:75]
	v_fma_f64 v[92:93], v[92:93], v[98:99], v[72:73]
	s_clause 0x3
	global_load_b128 v[64:67], v[48:49], off offset:49168
	global_load_b128 v[68:71], v[48:49], off offset:49232
	global_load_b128 v[72:75], v[48:49], off offset:49296
	global_load_b128 v[76:79], v[48:49], off offset:49360
	global_load_b128 v[80:83], v[140:141], off offset:16
	s_wait_loadcnt 0x14
	v_fma_f64 v[96:97], v[100:101], v[116:117], v[96:97]
	v_fma_f64 v[98:99], v[102:103], v[116:117], v[136:137]
	v_fma_f64 v[86:87], v[104:105], v[116:117], v[86:87]
	v_fma_f64 v[84:85], v[106:107], v[116:117], v[84:85]
	v_fma_f64 v[90:91], v[108:109], v[116:117], v[90:91]
	v_fma_f64 v[88:89], v[110:111], v[116:117], v[88:89]
	v_fma_f64 v[94:95], v[112:113], v[116:117], v[94:95]
	v_fma_f64 v[92:93], v[114:115], v[116:117], v[92:93]
	v_fma_f64 v[116:117], -v[102:103], v[118:119], v[96:97]
	v_fma_f64 v[136:137], v[100:101], v[118:119], v[98:99]
	v_fma_f64 v[106:107], -v[106:107], v[118:119], v[86:87]
	v_fma_f64 v[104:105], v[104:105], v[118:119], v[84:85]
	v_fma_f64 v[110:111], -v[110:111], v[118:119], v[90:91]
	v_fma_f64 v[108:109], v[108:109], v[118:119], v[88:89]
	v_fma_f64 v[114:115], -v[114:115], v[118:119], v[94:95]
	v_fma_f64 v[112:113], v[112:113], v[118:119], v[92:93]
	s_clause 0x3
	global_load_b128 v[84:87], v[48:49], off offset:49184
	global_load_b128 v[88:91], v[48:49], off offset:49248
	global_load_b128 v[92:95], v[48:49], off offset:49312
	global_load_b128 v[96:99], v[48:49], off offset:49376
	global_load_b128 v[100:103], v[140:141], off offset:32
	;; [unrolled: 23-line block ×3, first 2 shown]
	v_add_co_u32 v48, s3, 0x10000, v48
	s_wait_alu 0xf1ff
	v_add_co_ci_u32_e64 v49, null, 0, v49, s3
	s_wait_loadcnt 0x14
	v_fma_f64 v[32:33], v[34:35], v[56:57], v[112:113]
	v_fma_f64 v[112:113], v[36:37], v[56:57], v[116:117]
	v_fma_f64 v[116:117], v[38:39], v[56:57], v[118:119]
	v_fma_f64 v[118:119], v[40:41], v[56:57], v[136:137]
	v_fma_f64 v[110:111], v[42:43], v[56:57], v[110:111]
	v_fma_f64 v[108:109], v[44:45], v[56:57], v[108:109]
	v_fma_f64 v[114:115], v[52:53], v[56:57], v[114:115]
	v_fma_f64 v[30:31], v[54:55], v[56:57], v[30:31]
	v_fma_f64 v[32:33], -v[36:37], v[58:59], v[32:33]
	v_fma_f64 v[34:35], v[34:35], v[58:59], v[112:113]
	v_fma_f64 v[36:37], -v[40:41], v[58:59], v[116:117]
	v_fma_f64 v[38:39], v[38:39], v[58:59], v[118:119]
	v_fma_f64 v[40:41], -v[44:45], v[58:59], v[110:111]
	v_fma_f64 v[42:43], v[42:43], v[58:59], v[108:109]
	v_fma_f64 v[44:45], -v[54:55], v[58:59], v[114:115]
	v_fma_f64 v[30:31], v[52:53], v[58:59], v[30:31]
	s_wait_loadcnt 0xf
	v_fma_f64 v[32:33], v[120:121], v[60:61], v[32:33]
	v_fma_f64 v[34:35], v[122:123], v[60:61], v[34:35]
	v_fma_f64 v[36:37], v[124:125], v[60:61], v[36:37]
	v_fma_f64 v[38:39], v[126:127], v[60:61], v[38:39]
	v_fma_f64 v[40:41], v[128:129], v[60:61], v[40:41]
	v_fma_f64 v[42:43], v[130:131], v[60:61], v[42:43]
	v_fma_f64 v[44:45], v[132:133], v[60:61], v[44:45]
	v_fma_f64 v[30:31], v[134:135], v[60:61], v[30:31]
	v_fma_f64 v[32:33], -v[122:123], v[62:63], v[32:33]
	v_fma_f64 v[34:35], v[120:121], v[62:63], v[34:35]
	v_fma_f64 v[36:37], -v[126:127], v[62:63], v[36:37]
	v_fma_f64 v[38:39], v[124:125], v[62:63], v[38:39]
	v_fma_f64 v[40:41], -v[130:131], v[62:63], v[40:41]
	v_fma_f64 v[42:43], v[128:129], v[62:63], v[42:43]
	v_fma_f64 v[44:45], -v[134:135], v[62:63], v[44:45]
	v_fma_f64 v[30:31], v[132:133], v[62:63], v[30:31]
	;; [unrolled: 17-line block ×5, first 2 shown]
	s_wait_alu 0xfffe
	s_and_not1_b32 exec_lo, exec_lo, s10
	s_cbranch_execnz .LBB19_19
; %bb.20:
	s_or_b32 exec_lo, exec_lo, s10
.LBB19_21:
	s_wait_alu 0xfffe
	s_or_b32 exec_lo, exec_lo, s7
.LBB19_22:
	s_wait_alu 0xfffe
	s_or_b32 exec_lo, exec_lo, s6
	s_cbranch_execz .LBB19_24
	s_branch .LBB19_35
.LBB19_23:
                                        ; implicit-def: $vgpr34_vgpr35
                                        ; implicit-def: $vgpr38_vgpr39
                                        ; implicit-def: $vgpr32_vgpr33
                                        ; implicit-def: $vgpr30_vgpr31
                                        ; implicit-def: $vgpr40_vgpr41
                                        ; implicit-def: $vgpr42_vgpr43
                                        ; implicit-def: $vgpr44_vgpr45
                                        ; implicit-def: $vgpr36_vgpr37
.LBB19_24:
	v_mov_b32_e32 v34, 0
	v_mov_b32_e32 v32, 0
	;; [unrolled: 1-line block ×3, first 2 shown]
	v_dual_mov_b32 v44, 0 :: v_dual_mov_b32 v35, 0
	v_dual_mov_b32 v38, 0 :: v_dual_mov_b32 v33, 0
	;; [unrolled: 1-line block ×5, first 2 shown]
	v_mov_b32_e32 v31, 0
	v_mov_b32_e32 v43, 0
	;; [unrolled: 1-line block ×3, first 2 shown]
	s_and_saveexec_b32 s3, s2
	s_cbranch_execz .LBB19_34
; %bb.25:
	v_dual_mov_b32 v36, 0 :: v_dual_add_nc_u32 v9, v51, v0
	v_not_b32_e32 v10, v51
	v_dual_mov_b32 v37, 0 :: v_dual_mov_b32 v42, 0
	s_delay_alu instid0(VALU_DEP_3) | instskip(SKIP_2) | instid1(VALU_DEP_3)
	v_subrev_nc_u32_e32 v9, s12, v9
	v_dual_mov_b32 v43, 0 :: v_dual_mov_b32 v40, 0
	v_dual_mov_b32 v41, 0 :: v_dual_mov_b32 v30, 0
	v_dual_mov_b32 v44, 0 :: v_dual_add_nc_u32 v9, 64, v9
	v_dual_mov_b32 v31, 0 :: v_dual_mov_b32 v32, 0
	v_dual_mov_b32 v33, 0 :: v_dual_mov_b32 v38, 0
	s_delay_alu instid0(VALU_DEP_3) | instskip(SKIP_3) | instid1(VALU_DEP_3)
	v_max_i32_e32 v9, v9, v50
	v_dual_mov_b32 v39, 0 :: v_dual_mov_b32 v34, 0
	v_mov_b32_e32 v35, 0
	s_mov_b32 s2, exec_lo
	v_add3_u32 v9, s12, v9, v10
	s_delay_alu instid0(VALU_DEP_1) | instskip(NEXT) | instid1(VALU_DEP_1)
	v_sub_nc_u32_e32 v9, v9, v0
	v_dual_mov_b32 v45, 0 :: v_dual_and_b32 v10, 0xc0, v9
	s_delay_alu instid0(VALU_DEP_1)
	v_cmpx_ne_u32_e32 0xc0, v10
	s_cbranch_execz .LBB19_29
; %bb.26:
	v_lshrrev_b32_e32 v10, 6, v9
	v_mov_b32_e32 v34, 0
	v_mov_b32_e32 v38, 0
	;; [unrolled: 1-line block ×4, first 2 shown]
	v_dual_mov_b32 v35, 0 :: v_dual_add_nc_u32 v10, 1, v10
	v_mov_b32_e32 v40, 0
	v_mov_b32_e32 v42, 0
	;; [unrolled: 1-line block ×3, first 2 shown]
	s_delay_alu instid0(VALU_DEP_4)
	v_dual_mov_b32 v41, 0 :: v_dual_and_b32 v10, 3, v10
	v_dual_mov_b32 v36, 0 :: v_dual_mov_b32 v39, 0
	v_mov_b32_e32 v33, 0
	v_mov_b32_e32 v31, 0
	;; [unrolled: 1-line block ×5, first 2 shown]
	v_sub_nc_u32_e32 v10, 0, v10
	s_mov_b32 s6, 0
.LBB19_27:                              ; =>This Inner Loop Header: Depth=1
	v_ashrrev_i32_e32 v27, 31, v26
	s_delay_alu instid0(VALU_DEP_2) | instskip(SKIP_2) | instid1(VALU_DEP_2)
	v_add_co_u32 v10, s7, v10, 1
	s_wait_alu 0xfffe
	s_or_b32 s6, s7, s6
	v_lshlrev_b64_e32 v[11:12], 2, v[26:27]
	v_add_nc_u32_e32 v26, 64, v26
	s_delay_alu instid0(VALU_DEP_2) | instskip(SKIP_1) | instid1(VALU_DEP_3)
	v_add_co_u32 v11, vcc_lo, s8, v11
	s_wait_alu 0xfffd
	v_add_co_ci_u32_e64 v12, null, s9, v12, vcc_lo
	global_load_b32 v23, v[11:12], off
	s_clause 0x3
	global_load_b128 v[11:14], v[28:29], off offset:48
	global_load_b128 v[15:18], v[28:29], off offset:32
	;; [unrolled: 1-line block ×3, first 2 shown]
	global_load_b128 v[46:49], v[28:29], off
	s_wait_loadcnt 0x4
	v_subrev_nc_u32_e32 v23, s12, v23
	s_delay_alu instid0(VALU_DEP_1) | instskip(NEXT) | instid1(VALU_DEP_1)
	v_lshlrev_b32_e32 v23, 2, v23
	v_ashrrev_i32_e32 v24, 31, v23
	s_delay_alu instid0(VALU_DEP_1) | instskip(SKIP_1) | instid1(VALU_DEP_1)
	v_lshlrev_b64_e32 v[23:24], 4, v[23:24]
	s_wait_kmcnt 0x0
	v_add_co_u32 v23, vcc_lo, s4, v23
	s_wait_alu 0xfffd
	s_delay_alu instid0(VALU_DEP_2)
	v_add_co_ci_u32_e64 v24, null, s5, v24, vcc_lo
	s_clause 0x1
	global_load_b128 v[51:54], v[23:24], off
	global_load_b128 v[55:58], v[23:24], off offset:16
	s_clause 0x7
	global_load_b128 v[59:62], v[28:29], off offset:64
	global_load_b128 v[63:66], v[28:29], off offset:80
	;; [unrolled: 1-line block ×8, first 2 shown]
	s_clause 0x1
	global_load_b128 v[91:94], v[23:24], off offset:32
	global_load_b128 v[95:98], v[23:24], off offset:48
	s_clause 0x3
	global_load_b128 v[99:102], v[28:29], off offset:192
	global_load_b128 v[103:106], v[28:29], off offset:208
	;; [unrolled: 1-line block ×4, first 2 shown]
	v_add_co_u32 v28, vcc_lo, 0x4000, v28
	s_wait_alu 0xfffd
	v_add_co_ci_u32_e64 v29, null, 0, v29, vcc_lo
	s_wait_loadcnt 0xf
	v_fma_f64 v[23:24], v[46:47], v[51:52], v[38:39]
	v_fma_f64 v[34:35], v[48:49], v[51:52], v[34:35]
	;; [unrolled: 1-line block ×8, first 2 shown]
	v_fma_f64 v[23:24], -v[48:49], v[53:54], v[23:24]
	v_fma_f64 v[34:35], v[46:47], v[53:54], v[34:35]
	v_fma_f64 v[21:22], -v[21:22], v[53:54], v[38:39]
	v_fma_f64 v[19:20], v[19:20], v[53:54], v[36:37]
	;; [unrolled: 2-line block ×4, first 2 shown]
	s_wait_loadcnt 0xd
	v_fma_f64 v[23:24], v[59:60], v[55:56], v[23:24]
	v_fma_f64 v[30:31], v[61:62], v[55:56], v[34:35]
	s_wait_loadcnt 0xc
	v_fma_f64 v[21:22], v[63:64], v[55:56], v[21:22]
	v_fma_f64 v[19:20], v[65:66], v[55:56], v[19:20]
	;; [unrolled: 3-line block ×4, first 2 shown]
	v_fma_f64 v[23:24], -v[61:62], v[57:58], v[23:24]
	v_fma_f64 v[30:31], v[59:60], v[57:58], v[30:31]
	v_fma_f64 v[21:22], -v[65:66], v[57:58], v[21:22]
	v_fma_f64 v[19:20], v[63:64], v[57:58], v[19:20]
	;; [unrolled: 2-line block ×4, first 2 shown]
	s_wait_loadcnt 0x5
	v_fma_f64 v[23:24], v[87:88], v[91:92], v[23:24]
	v_fma_f64 v[30:31], v[89:90], v[91:92], v[30:31]
	;; [unrolled: 1-line block ×8, first 2 shown]
	v_fma_f64 v[23:24], -v[89:90], v[93:94], v[23:24]
	v_fma_f64 v[30:31], v[87:88], v[93:94], v[30:31]
	v_fma_f64 v[21:22], -v[85:86], v[93:94], v[21:22]
	v_fma_f64 v[19:20], v[83:84], v[93:94], v[19:20]
	;; [unrolled: 2-line block ×4, first 2 shown]
	s_wait_loadcnt 0x3
	v_fma_f64 v[23:24], v[99:100], v[95:96], v[23:24]
	v_fma_f64 v[30:31], v[101:102], v[95:96], v[30:31]
	s_wait_loadcnt 0x2
	v_fma_f64 v[21:22], v[103:104], v[95:96], v[21:22]
	v_fma_f64 v[19:20], v[105:106], v[95:96], v[19:20]
	;; [unrolled: 3-line block ×4, first 2 shown]
	v_fma_f64 v[38:39], -v[101:102], v[97:98], v[23:24]
	v_fma_f64 v[34:35], v[99:100], v[97:98], v[30:31]
	v_fma_f64 v[44:45], -v[105:106], v[97:98], v[21:22]
	v_fma_f64 v[36:37], v[103:104], v[97:98], v[19:20]
	;; [unrolled: 2-line block ×4, first 2 shown]
	s_wait_alu 0xfffe
	s_and_not1_b32 exec_lo, exec_lo, s6
	s_cbranch_execnz .LBB19_27
; %bb.28:
	s_or_b32 exec_lo, exec_lo, s6
.LBB19_29:
	s_wait_alu 0xfffe
	s_or_b32 exec_lo, exec_lo, s2
	s_delay_alu instid0(SALU_CYCLE_1)
	s_mov_b32 s6, exec_lo
	v_cmpx_lt_u32_e32 0xbf, v9
	s_cbranch_execz .LBB19_33
; %bb.30:
	s_mov_b32 s7, 0
.LBB19_31:                              ; =>This Inner Loop Header: Depth=1
	v_ashrrev_i32_e32 v27, 31, v26
	s_delay_alu instid0(VALU_DEP_1) | instskip(SKIP_1) | instid1(VALU_DEP_2)
	v_lshlrev_b64_e32 v[9:10], 2, v[26:27]
	v_add_nc_u32_e32 v26, 0x100, v26
	v_add_co_u32 v46, vcc_lo, s8, v9
	s_wait_alu 0xfffd
	s_delay_alu instid0(VALU_DEP_3)
	v_add_co_ci_u32_e64 v47, null, s9, v10, vcc_lo
	global_load_b32 v27, v[46:47], off
	s_clause 0x3
	global_load_b128 v[9:12], v[28:29], off offset:48
	global_load_b128 v[13:16], v[28:29], off offset:32
	;; [unrolled: 1-line block ×3, first 2 shown]
	global_load_b128 v[21:24], v[28:29], off
	s_clause 0x2
	global_load_b32 v127, v[46:47], off offset:256
	global_load_b32 v145, v[46:47], off offset:512
	;; [unrolled: 1-line block ×3, first 2 shown]
	s_wait_loadcnt 0x7
	v_subrev_nc_u32_e32 v27, s12, v27
	s_delay_alu instid0(VALU_DEP_1) | instskip(SKIP_2) | instid1(VALU_DEP_2)
	v_lshlrev_b32_e32 v46, 2, v27
	s_wait_loadcnt 0x2
	v_subrev_nc_u32_e32 v27, s12, v127
	v_ashrrev_i32_e32 v47, 31, v46
	s_delay_alu instid0(VALU_DEP_2) | instskip(SKIP_2) | instid1(VALU_DEP_3)
	v_lshlrev_b32_e32 v127, 2, v27
	s_wait_loadcnt 0x1
	v_subrev_nc_u32_e32 v27, s12, v145
	v_lshlrev_b64_e32 v[46:47], 4, v[46:47]
	s_delay_alu instid0(VALU_DEP_3) | instskip(NEXT) | instid1(VALU_DEP_3)
	v_ashrrev_i32_e32 v128, 31, v127
	v_lshlrev_b32_e32 v145, 2, v27
	s_wait_loadcnt 0x0
	v_subrev_nc_u32_e32 v27, s12, v147
	s_delay_alu instid0(VALU_DEP_3)
	v_lshlrev_b64_e32 v[127:128], 4, v[127:128]
	s_wait_kmcnt 0x0
	v_add_co_u32 v107, vcc_lo, s4, v46
	s_wait_alu 0xfffd
	v_add_co_ci_u32_e64 v108, null, s5, v47, vcc_lo
	v_ashrrev_i32_e32 v146, 31, v145
	v_add_co_u32 v131, vcc_lo, s4, v127
	global_load_b128 v[46:49], v[107:108], off
	s_clause 0x3
	global_load_b128 v[51:54], v[28:29], off offset:112
	global_load_b128 v[55:58], v[28:29], off offset:96
	global_load_b128 v[59:62], v[28:29], off offset:80
	global_load_b128 v[63:66], v[28:29], off offset:64
	global_load_b128 v[67:70], v[107:108], off offset:16
	s_clause 0x3
	global_load_b128 v[71:74], v[28:29], off offset:176
	global_load_b128 v[75:78], v[28:29], off offset:160
	global_load_b128 v[79:82], v[28:29], off offset:144
	global_load_b128 v[83:86], v[28:29], off offset:128
	global_load_b128 v[87:90], v[107:108], off offset:32
	s_clause 0x3
	global_load_b128 v[91:94], v[28:29], off offset:240
	global_load_b128 v[95:98], v[28:29], off offset:224
	global_load_b128 v[99:102], v[28:29], off offset:208
	global_load_b128 v[103:106], v[28:29], off offset:192
	global_load_b128 v[107:110], v[107:108], off offset:48
	s_clause 0x3
	global_load_b128 v[111:114], v[28:29], off offset:16432
	global_load_b128 v[115:118], v[28:29], off offset:16416
	;; [unrolled: 1-line block ×4, first 2 shown]
	s_wait_alu 0xfffd
	v_add_co_ci_u32_e64 v132, null, s5, v128, vcc_lo
	global_load_b128 v[127:130], v[131:132], off
	s_wait_loadcnt 0x14
	v_fma_f64 v[38:39], v[21:22], v[46:47], v[38:39]
	v_fma_f64 v[34:35], v[23:24], v[46:47], v[34:35]
	v_fma_f64 v[44:45], v[17:18], v[46:47], v[44:45]
	v_fma_f64 v[36:37], v[19:20], v[46:47], v[36:37]
	v_fma_f64 v[40:41], v[13:14], v[46:47], v[40:41]
	v_fma_f64 v[42:43], v[15:16], v[46:47], v[42:43]
	v_fma_f64 v[32:33], v[9:10], v[46:47], v[32:33]
	v_fma_f64 v[30:31], v[11:12], v[46:47], v[30:31]
	v_fma_f64 v[38:39], -v[23:24], v[48:49], v[38:39]
	v_fma_f64 v[34:35], v[21:22], v[48:49], v[34:35]
	v_fma_f64 v[44:45], -v[19:20], v[48:49], v[44:45]
	v_fma_f64 v[36:37], v[17:18], v[48:49], v[36:37]
	v_fma_f64 v[40:41], -v[15:16], v[48:49], v[40:41]
	v_fma_f64 v[42:43], v[13:14], v[48:49], v[42:43]
	v_fma_f64 v[46:47], -v[11:12], v[48:49], v[32:33]
	v_fma_f64 v[48:49], v[9:10], v[48:49], v[30:31]
	s_clause 0x3
	global_load_b128 v[9:12], v[28:29], off offset:16496
	global_load_b128 v[13:16], v[28:29], off offset:16480
	global_load_b128 v[17:20], v[28:29], off offset:16464
	global_load_b128 v[21:24], v[28:29], off offset:16448
	global_load_b128 v[30:33], v[131:132], off offset:16
	s_wait_loadcnt 0x14
	v_fma_f64 v[38:39], v[63:64], v[67:68], v[38:39]
	v_fma_f64 v[34:35], v[65:66], v[67:68], v[34:35]
	v_fma_f64 v[44:45], v[59:60], v[67:68], v[44:45]
	v_fma_f64 v[36:37], v[61:62], v[67:68], v[36:37]
	v_fma_f64 v[40:41], v[55:56], v[67:68], v[40:41]
	v_fma_f64 v[42:43], v[57:58], v[67:68], v[42:43]
	v_fma_f64 v[46:47], v[51:52], v[67:68], v[46:47]
	v_fma_f64 v[48:49], v[53:54], v[67:68], v[48:49]
	v_fma_f64 v[65:66], -v[65:66], v[69:70], v[38:39]
	v_fma_f64 v[63:64], v[63:64], v[69:70], v[34:35]
	v_fma_f64 v[61:62], -v[61:62], v[69:70], v[44:45]
	v_fma_f64 v[59:60], v[59:60], v[69:70], v[36:37]
	v_fma_f64 v[57:58], -v[57:58], v[69:70], v[40:41]
	v_fma_f64 v[55:56], v[55:56], v[69:70], v[42:43]
	v_fma_f64 v[67:68], -v[53:54], v[69:70], v[46:47]
	v_fma_f64 v[69:70], v[51:52], v[69:70], v[48:49]
	s_clause 0x3
	global_load_b128 v[34:37], v[28:29], off offset:16560
	global_load_b128 v[38:41], v[28:29], off offset:16544
	global_load_b128 v[42:45], v[28:29], off offset:16528
	global_load_b128 v[46:49], v[28:29], off offset:16512
	global_load_b128 v[51:54], v[131:132], off offset:32
	;; [unrolled: 23-line block ×3, first 2 shown]
	s_wait_loadcnt 0x14
	v_fma_f64 v[131:132], v[103:104], v[107:108], v[85:86]
	v_fma_f64 v[133:134], v[105:106], v[107:108], v[83:84]
	;; [unrolled: 1-line block ×8, first 2 shown]
	s_clause 0x3
	global_load_b128 v[75:78], v[28:29], off offset:32816
	global_load_b128 v[79:82], v[28:29], off offset:32800
	;; [unrolled: 1-line block ×4, first 2 shown]
	v_fma_f64 v[105:106], -v[105:106], v[109:110], v[131:132]
	v_fma_f64 v[103:104], v[103:104], v[109:110], v[133:134]
	v_fma_f64 v[101:102], -v[101:102], v[109:110], v[135:136]
	v_fma_f64 v[99:100], v[99:100], v[109:110], v[137:138]
	;; [unrolled: 2-line block ×4, first 2 shown]
	v_lshlrev_b64_e32 v[91:92], 4, v[145:146]
	v_lshlrev_b32_e32 v145, 2, v27
	s_delay_alu instid0(VALU_DEP_2) | instskip(SKIP_1) | instid1(VALU_DEP_3)
	v_add_co_u32 v133, vcc_lo, s4, v91
	s_wait_alu 0xfffd
	v_add_co_ci_u32_e64 v134, null, s5, v92, vcc_lo
	s_delay_alu instid0(VALU_DEP_3)
	v_ashrrev_i32_e32 v146, 31, v145
	global_load_b128 v[91:94], v[133:134], off
	s_wait_loadcnt 0x14
	v_fma_f64 v[105:106], v[123:124], v[127:128], v[105:106]
	v_fma_f64 v[103:104], v[125:126], v[127:128], v[103:104]
	v_fma_f64 v[101:102], v[119:120], v[127:128], v[101:102]
	v_fma_f64 v[99:100], v[121:122], v[127:128], v[99:100]
	v_fma_f64 v[97:98], v[115:116], v[127:128], v[97:98]
	v_fma_f64 v[95:96], v[117:118], v[127:128], v[95:96]
	v_fma_f64 v[109:110], v[111:112], v[127:128], v[131:132]
	v_fma_f64 v[107:108], v[113:114], v[127:128], v[107:108]
	v_fma_f64 v[125:126], -v[125:126], v[129:130], v[105:106]
	v_fma_f64 v[123:124], v[123:124], v[129:130], v[103:104]
	v_fma_f64 v[121:122], -v[121:122], v[129:130], v[101:102]
	v_fma_f64 v[119:120], v[119:120], v[129:130], v[99:100]
	v_fma_f64 v[117:118], -v[117:118], v[129:130], v[97:98]
	v_fma_f64 v[115:116], v[115:116], v[129:130], v[95:96]
	v_fma_f64 v[127:128], -v[113:114], v[129:130], v[109:110]
	v_fma_f64 v[129:130], v[111:112], v[129:130], v[107:108]
	s_clause 0x3
	global_load_b128 v[95:98], v[28:29], off offset:32880
	global_load_b128 v[99:102], v[28:29], off offset:32864
	global_load_b128 v[103:106], v[28:29], off offset:32848
	global_load_b128 v[107:110], v[28:29], off offset:32832
	global_load_b128 v[111:114], v[133:134], off offset:16
	s_wait_loadcnt 0x14
	v_fma_f64 v[125:126], v[21:22], v[30:31], v[125:126]
	v_fma_f64 v[123:124], v[23:24], v[30:31], v[123:124]
	v_fma_f64 v[121:122], v[17:18], v[30:31], v[121:122]
	v_fma_f64 v[119:120], v[19:20], v[30:31], v[119:120]
	v_fma_f64 v[117:118], v[13:14], v[30:31], v[117:118]
	v_fma_f64 v[115:116], v[15:16], v[30:31], v[115:116]
	v_fma_f64 v[127:128], v[9:10], v[30:31], v[127:128]
	v_fma_f64 v[30:31], v[11:12], v[30:31], v[129:130]
	v_fma_f64 v[125:126], -v[23:24], v[32:33], v[125:126]
	v_fma_f64 v[123:124], v[21:22], v[32:33], v[123:124]
	v_fma_f64 v[121:122], -v[19:20], v[32:33], v[121:122]
	v_fma_f64 v[119:120], v[17:18], v[32:33], v[119:120]
	v_fma_f64 v[117:118], -v[15:16], v[32:33], v[117:118]
	v_fma_f64 v[115:116], v[13:14], v[32:33], v[115:116]
	v_fma_f64 v[127:128], -v[11:12], v[32:33], v[127:128]
	v_fma_f64 v[129:130], v[9:10], v[32:33], v[30:31]
	s_clause 0x3
	global_load_b128 v[9:12], v[28:29], off offset:32944
	global_load_b128 v[13:16], v[28:29], off offset:32928
	global_load_b128 v[17:20], v[28:29], off offset:32912
	global_load_b128 v[21:24], v[28:29], off offset:32896
	global_load_b128 v[30:33], v[133:134], off offset:32
	;; [unrolled: 23-line block ×3, first 2 shown]
	s_wait_loadcnt 0x14
	v_fma_f64 v[131:132], v[67:68], v[71:72], v[125:126]
	v_fma_f64 v[133:134], v[69:70], v[71:72], v[123:124]
	;; [unrolled: 1-line block ×8, first 2 shown]
	s_clause 0x3
	global_load_b128 v[115:118], v[28:29], off offset:49200
	global_load_b128 v[119:122], v[28:29], off offset:49184
	;; [unrolled: 1-line block ×4, first 2 shown]
	v_fma_f64 v[69:70], -v[69:70], v[73:74], v[131:132]
	v_fma_f64 v[67:68], v[67:68], v[73:74], v[133:134]
	v_fma_f64 v[65:66], -v[65:66], v[73:74], v[135:136]
	v_fma_f64 v[63:64], v[63:64], v[73:74], v[137:138]
	;; [unrolled: 2-line block ×4, first 2 shown]
	v_lshlrev_b64_e32 v[55:56], 4, v[145:146]
	s_delay_alu instid0(VALU_DEP_1) | instskip(SKIP_1) | instid1(VALU_DEP_2)
	v_add_co_u32 v137, vcc_lo, s4, v55
	s_wait_alu 0xfffd
	v_add_co_ci_u32_e64 v138, null, s5, v56, vcc_lo
	s_clause 0x1
	global_load_b128 v[55:58], v[137:138], off
	global_load_b128 v[59:62], v[137:138], off offset:16
	v_cmp_ge_i32_e32 vcc_lo, v26, v50
	s_wait_alu 0xfffe
	s_or_b32 s7, vcc_lo, s7
	s_wait_loadcnt 0x15
	v_fma_f64 v[69:70], v[87:88], v[91:92], v[69:70]
	v_fma_f64 v[67:68], v[89:90], v[91:92], v[67:68]
	;; [unrolled: 1-line block ×8, first 2 shown]
	v_fma_f64 v[89:90], -v[89:90], v[93:94], v[69:70]
	v_fma_f64 v[87:88], v[87:88], v[93:94], v[67:68]
	v_fma_f64 v[85:86], -v[85:86], v[93:94], v[65:66]
	v_fma_f64 v[83:84], v[83:84], v[93:94], v[63:64]
	;; [unrolled: 2-line block ×4, first 2 shown]
	s_clause 0x3
	global_load_b128 v[63:66], v[28:29], off offset:49216
	global_load_b128 v[67:70], v[28:29], off offset:49232
	;; [unrolled: 1-line block ×4, first 2 shown]
	s_wait_loadcnt 0x14
	v_fma_f64 v[89:90], v[107:108], v[111:112], v[89:90]
	v_fma_f64 v[87:88], v[109:110], v[111:112], v[87:88]
	;; [unrolled: 1-line block ×8, first 2 shown]
	v_fma_f64 v[109:110], -v[109:110], v[113:114], v[89:90]
	v_fma_f64 v[107:108], v[107:108], v[113:114], v[87:88]
	v_fma_f64 v[105:106], -v[105:106], v[113:114], v[85:86]
	v_fma_f64 v[103:104], v[103:104], v[113:114], v[83:84]
	;; [unrolled: 2-line block ×4, first 2 shown]
	s_clause 0x3
	global_load_b128 v[79:82], v[28:29], off offset:49328
	global_load_b128 v[83:86], v[28:29], off offset:49312
	;; [unrolled: 1-line block ×4, first 2 shown]
	s_clause 0x1
	global_load_b128 v[95:98], v[137:138], off offset:32
	global_load_b128 v[99:102], v[137:138], off offset:48
	s_wait_loadcnt 0x15
	v_fma_f64 v[109:110], v[21:22], v[30:31], v[109:110]
	v_fma_f64 v[107:108], v[23:24], v[30:31], v[107:108]
	;; [unrolled: 1-line block ×8, first 2 shown]
	v_fma_f64 v[109:110], -v[23:24], v[32:33], v[109:110]
	v_fma_f64 v[107:108], v[21:22], v[32:33], v[107:108]
	v_fma_f64 v[105:106], -v[19:20], v[32:33], v[105:106]
	v_fma_f64 v[103:104], v[17:18], v[32:33], v[103:104]
	;; [unrolled: 2-line block ×4, first 2 shown]
	s_clause 0x3
	global_load_b128 v[9:12], v[28:29], off offset:49344
	global_load_b128 v[13:16], v[28:29], off offset:49360
	;; [unrolled: 1-line block ×4, first 2 shown]
	v_add_co_u32 v28, s2, 0x10000, v28
	s_wait_alu 0xf1ff
	v_add_co_ci_u32_e64 v29, null, 0, v29, s2
	s_wait_loadcnt 0x14
	v_fma_f64 v[32:33], v[46:47], v[51:52], v[109:110]
	v_fma_f64 v[107:108], v[48:49], v[51:52], v[107:108]
	;; [unrolled: 1-line block ×8, first 2 shown]
	v_fma_f64 v[32:33], -v[48:49], v[53:54], v[32:33]
	v_fma_f64 v[46:47], v[46:47], v[53:54], v[107:108]
	v_fma_f64 v[44:45], -v[44:45], v[53:54], v[105:106]
	v_fma_f64 v[42:43], v[42:43], v[53:54], v[103:104]
	;; [unrolled: 2-line block ×4, first 2 shown]
	s_wait_loadcnt 0xf
	v_fma_f64 v[32:33], v[127:128], v[55:56], v[32:33]
	v_fma_f64 v[34:35], v[129:130], v[55:56], v[46:47]
	;; [unrolled: 1-line block ×8, first 2 shown]
	v_fma_f64 v[32:33], -v[129:130], v[57:58], v[32:33]
	v_fma_f64 v[34:35], v[127:128], v[57:58], v[34:35]
	v_fma_f64 v[44:45], -v[125:126], v[57:58], v[44:45]
	v_fma_f64 v[42:43], v[123:124], v[57:58], v[42:43]
	;; [unrolled: 2-line block ×4, first 2 shown]
	s_wait_loadcnt 0xd
	v_fma_f64 v[32:33], v[63:64], v[59:60], v[32:33]
	v_fma_f64 v[34:35], v[65:66], v[59:60], v[34:35]
	s_wait_loadcnt 0xc
	v_fma_f64 v[44:45], v[67:68], v[59:60], v[44:45]
	v_fma_f64 v[42:43], v[69:70], v[59:60], v[42:43]
	;; [unrolled: 3-line block ×4, first 2 shown]
	v_fma_f64 v[32:33], -v[65:66], v[61:62], v[32:33]
	v_fma_f64 v[34:35], v[63:64], v[61:62], v[34:35]
	v_fma_f64 v[44:45], -v[69:70], v[61:62], v[44:45]
	v_fma_f64 v[42:43], v[67:68], v[61:62], v[42:43]
	;; [unrolled: 2-line block ×4, first 2 shown]
	s_wait_loadcnt 0x5
	v_fma_f64 v[32:33], v[91:92], v[95:96], v[32:33]
	v_fma_f64 v[34:35], v[93:94], v[95:96], v[34:35]
	;; [unrolled: 1-line block ×8, first 2 shown]
	v_fma_f64 v[32:33], -v[93:94], v[97:98], v[32:33]
	v_fma_f64 v[34:35], v[91:92], v[97:98], v[34:35]
	v_fma_f64 v[44:45], -v[89:90], v[97:98], v[44:45]
	v_fma_f64 v[42:43], v[87:88], v[97:98], v[42:43]
	;; [unrolled: 2-line block ×4, first 2 shown]
	s_wait_loadcnt 0x3
	v_fma_f64 v[32:33], v[9:10], v[99:100], v[32:33]
	v_fma_f64 v[34:35], v[11:12], v[99:100], v[34:35]
	s_wait_loadcnt 0x2
	v_fma_f64 v[44:45], v[13:14], v[99:100], v[44:45]
	v_fma_f64 v[42:43], v[15:16], v[99:100], v[42:43]
	;; [unrolled: 3-line block ×4, first 2 shown]
	v_fma_f64 v[38:39], -v[11:12], v[101:102], v[32:33]
	v_fma_f64 v[34:35], v[9:10], v[101:102], v[34:35]
	v_fma_f64 v[44:45], -v[15:16], v[101:102], v[44:45]
	v_fma_f64 v[36:37], v[13:14], v[101:102], v[42:43]
	;; [unrolled: 2-line block ×4, first 2 shown]
	s_wait_alu 0xfffe
	s_and_not1_b32 exec_lo, exec_lo, s7
	s_cbranch_execnz .LBB19_31
; %bb.32:
	s_or_b32 exec_lo, exec_lo, s7
.LBB19_33:
	s_wait_alu 0xfffe
	s_or_b32 exec_lo, exec_lo, s6
.LBB19_34:
	s_wait_alu 0xfffe
	s_or_b32 exec_lo, exec_lo, s3
.LBB19_35:
	v_mbcnt_lo_u32_b32 v46, -1, 0
	s_delay_alu instid0(VALU_DEP_1) | instskip(SKIP_1) | instid1(VALU_DEP_2)
	v_or_b32_e32 v9, 32, v46
	v_xor_b32_e32 v26, 16, v46
	v_cmp_gt_i32_e32 vcc_lo, 32, v9
	s_wait_alu 0xfffd
	v_cndmask_b32_e32 v9, v46, v9, vcc_lo
	s_delay_alu instid0(VALU_DEP_3) | instskip(NEXT) | instid1(VALU_DEP_2)
	v_cmp_gt_i32_e32 vcc_lo, 32, v26
	v_lshlrev_b32_e32 v24, 2, v9
	s_wait_alu 0xfffd
	v_cndmask_b32_e32 v26, v46, v26, vcc_lo
	ds_bpermute_b32 v9, v24, v38
	ds_bpermute_b32 v10, v24, v39
	;; [unrolled: 1-line block ×16, first 2 shown]
	s_wait_dscnt 0xe
	v_add_f64_e32 v[9:10], v[38:39], v[9:10]
	s_wait_dscnt 0xc
	v_add_f64_e32 v[11:12], v[34:35], v[11:12]
	;; [unrolled: 2-line block ×5, first 2 shown]
	v_lshlrev_b32_e32 v41, 2, v26
	s_wait_dscnt 0x4
	v_add_f64_e32 v[19:20], v[42:43], v[19:20]
	s_wait_dscnt 0x2
	v_add_f64_e32 v[21:22], v[32:33], v[21:22]
	;; [unrolled: 2-line block ×3, first 2 shown]
	ds_bpermute_b32 v26, v41, v9
	ds_bpermute_b32 v27, v41, v10
	;; [unrolled: 1-line block ×16, first 2 shown]
	s_wait_dscnt 0xe
	v_add_f64_e32 v[9:10], v[9:10], v[26:27]
	v_xor_b32_e32 v26, 8, v46
	s_wait_dscnt 0xc
	v_add_f64_e32 v[11:12], v[11:12], v[28:29]
	s_wait_dscnt 0xa
	v_add_f64_e32 v[13:14], v[13:14], v[30:31]
	s_wait_dscnt 0x8
	v_add_f64_e32 v[15:16], v[15:16], v[32:33]
	v_cmp_gt_i32_e32 vcc_lo, 32, v26
	s_wait_dscnt 0x6
	v_add_f64_e32 v[17:18], v[17:18], v[34:35]
	s_wait_dscnt 0x4
	v_add_f64_e32 v[19:20], v[19:20], v[36:37]
	;; [unrolled: 2-line block ×3, first 2 shown]
	s_wait_alu 0xfffd
	v_cndmask_b32_e32 v26, v46, v26, vcc_lo
	s_wait_dscnt 0x0
	v_add_f64_e32 v[23:24], v[23:24], v[40:41]
	s_delay_alu instid0(VALU_DEP_2)
	v_lshlrev_b32_e32 v41, 2, v26
	ds_bpermute_b32 v26, v41, v9
	ds_bpermute_b32 v27, v41, v10
	;; [unrolled: 1-line block ×16, first 2 shown]
	s_wait_dscnt 0xe
	v_add_f64_e32 v[9:10], v[9:10], v[26:27]
	v_xor_b32_e32 v26, 4, v46
	s_wait_dscnt 0xc
	v_add_f64_e32 v[11:12], v[11:12], v[28:29]
	s_wait_dscnt 0xa
	v_add_f64_e32 v[13:14], v[13:14], v[30:31]
	;; [unrolled: 2-line block ×3, first 2 shown]
	v_cmp_gt_i32_e32 vcc_lo, 32, v26
	s_wait_dscnt 0x6
	v_add_f64_e32 v[17:18], v[17:18], v[34:35]
	s_wait_dscnt 0x4
	v_add_f64_e32 v[19:20], v[19:20], v[36:37]
	;; [unrolled: 2-line block ×3, first 2 shown]
	s_wait_alu 0xfffd
	v_cndmask_b32_e32 v26, v46, v26, vcc_lo
	s_wait_dscnt 0x0
	v_add_f64_e32 v[23:24], v[23:24], v[40:41]
	s_delay_alu instid0(VALU_DEP_2)
	v_lshlrev_b32_e32 v41, 2, v26
	ds_bpermute_b32 v26, v41, v9
	ds_bpermute_b32 v27, v41, v10
	;; [unrolled: 1-line block ×16, first 2 shown]
	s_wait_dscnt 0xe
	v_add_f64_e32 v[9:10], v[9:10], v[26:27]
	s_wait_dscnt 0xc
	v_add_f64_e32 v[11:12], v[11:12], v[28:29]
	;; [unrolled: 2-line block ×8, first 2 shown]
	v_xor_b32_e32 v23, 2, v46
	s_delay_alu instid0(VALU_DEP_1) | instskip(SKIP_2) | instid1(VALU_DEP_1)
	v_cmp_gt_i32_e32 vcc_lo, 32, v23
	s_wait_alu 0xfffd
	v_cndmask_b32_e32 v23, v46, v23, vcc_lo
	v_lshlrev_b32_e32 v41, 2, v23
	ds_bpermute_b32 v23, v41, v9
	ds_bpermute_b32 v24, v41, v10
	;; [unrolled: 1-line block ×16, first 2 shown]
	s_wait_dscnt 0xe
	v_add_f64_e32 v[9:10], v[9:10], v[23:24]
	s_wait_dscnt 0xc
	v_add_f64_e32 v[28:29], v[11:12], v[28:29]
	;; [unrolled: 2-line block ×7, first 2 shown]
	v_xor_b32_e32 v21, 1, v46
	s_wait_dscnt 0x0
	v_add_f64_e32 v[17:18], v[26:27], v[40:41]
	s_delay_alu instid0(VALU_DEP_2) | instskip(SKIP_3) | instid1(VALU_DEP_2)
	v_cmp_gt_i32_e32 vcc_lo, 32, v21
	s_wait_alu 0xfffd
	v_cndmask_b32_e32 v21, v46, v21, vcc_lo
	v_cmp_eq_u32_e32 vcc_lo, 63, v0
	v_lshlrev_b32_e32 v35, 2, v21
	ds_bpermute_b32 v21, v35, v9
	ds_bpermute_b32 v22, v35, v10
	;; [unrolled: 1-line block ×16, first 2 shown]
	s_and_b32 exec_lo, exec_lo, vcc_lo
	s_cbranch_execz .LBB19_8
; %bb.36:
	s_wait_dscnt 0xc
	v_add_f64_e32 v[28:29], v[28:29], v[40:41]
	s_wait_dscnt 0x8
	v_add_f64_e32 v[23:24], v[23:24], v[38:39]
	;; [unrolled: 2-line block ×4, first 2 shown]
	v_add_f64_e32 v[9:10], v[9:10], v[21:22]
	v_add_f64_e32 v[11:12], v[11:12], v[26:27]
	;; [unrolled: 1-line block ×4, first 2 shown]
	v_cmp_eq_f64_e32 vcc_lo, 0, v[1:2]
	v_cmp_eq_f64_e64 s2, 0, v[3:4]
	s_load_b64 s[0:1], s[0:1], 0x60
	v_mul_f64_e64 v[13:14], v[28:29], -v[7:8]
	v_mul_f64_e32 v[15:16], v[5:6], v[28:29]
	v_mul_f64_e64 v[28:29], v[23:24], -v[7:8]
	v_mul_f64_e32 v[23:24], v[5:6], v[23:24]
	;; [unrolled: 2-line block ×4, first 2 shown]
	s_and_b32 s2, vcc_lo, s2
	v_fma_f64 v[17:18], v[5:6], v[9:10], v[13:14]
	v_fma_f64 v[19:20], v[7:8], v[9:10], v[15:16]
	;; [unrolled: 1-line block ×8, first 2 shown]
	v_lshlrev_b32_e32 v21, 2, v25
	s_wait_alu 0xfffe
	s_and_saveexec_b32 s3, s2
	s_wait_alu 0xfffe
	s_xor_b32 s2, exec_lo, s3
	s_cbranch_execz .LBB19_38
; %bb.37:
	v_ashrrev_i32_e32 v22, 31, v21
	s_delay_alu instid0(VALU_DEP_1) | instskip(SKIP_1) | instid1(VALU_DEP_1)
	v_lshlrev_b64_e32 v[0:1], 4, v[21:22]
                                        ; implicit-def: $vgpr21
	s_wait_kmcnt 0x0
	v_add_co_u32 v0, vcc_lo, s0, v0
	s_wait_alu 0xfffd
	s_delay_alu instid0(VALU_DEP_2)
	v_add_co_ci_u32_e64 v1, null, s1, v1, vcc_lo
	s_clause 0x3
	global_store_b128 v[0:1], v[17:20], off
	global_store_b128 v[0:1], v[13:16], off offset:16
	global_store_b128 v[0:1], v[9:12], off offset:32
	;; [unrolled: 1-line block ×3, first 2 shown]
                                        ; implicit-def: $vgpr3_vgpr4
                                        ; implicit-def: $vgpr17_vgpr18
                                        ; implicit-def: $vgpr13_vgpr14
                                        ; implicit-def: $vgpr9_vgpr10
                                        ; implicit-def: $vgpr5_vgpr6
.LBB19_38:
	s_wait_alu 0xfffe
	s_and_not1_saveexec_b32 s2, s2
	s_cbranch_execz .LBB19_8
; %bb.39:
	v_ashrrev_i32_e32 v22, 31, v21
	s_delay_alu instid0(VALU_DEP_1) | instskip(SKIP_1) | instid1(VALU_DEP_1)
	v_lshlrev_b64_e32 v[21:22], 4, v[21:22]
	s_wait_kmcnt 0x0
	v_add_co_u32 v37, vcc_lo, s0, v21
	s_wait_alu 0xfffd
	s_delay_alu instid0(VALU_DEP_2)
	v_add_co_ci_u32_e64 v38, null, s1, v22, vcc_lo
	s_clause 0x3
	global_load_b128 v[21:24], v[37:38], off
	global_load_b128 v[25:28], v[37:38], off offset:16
	global_load_b128 v[29:32], v[37:38], off offset:32
	;; [unrolled: 1-line block ×3, first 2 shown]
	s_wait_loadcnt 0x3
	v_fma_f64 v[17:18], v[1:2], v[21:22], v[17:18]
	v_fma_f64 v[19:20], v[3:4], v[21:22], v[19:20]
	s_wait_loadcnt 0x2
	v_fma_f64 v[13:14], v[1:2], v[25:26], v[13:14]
	v_fma_f64 v[15:16], v[3:4], v[25:26], v[15:16]
	;; [unrolled: 3-line block ×4, first 2 shown]
	v_fma_f64 v[5:6], -v[3:4], v[23:24], v[17:18]
	v_fma_f64 v[7:8], v[1:2], v[23:24], v[19:20]
	v_fma_f64 v[9:10], -v[3:4], v[27:28], v[13:14]
	v_fma_f64 v[11:12], v[1:2], v[27:28], v[15:16]
	;; [unrolled: 2-line block ×4, first 2 shown]
	s_clause 0x3
	global_store_b128 v[37:38], v[5:8], off
	global_store_b128 v[37:38], v[9:12], off offset:16
	global_store_b128 v[37:38], v[13:16], off offset:32
	;; [unrolled: 1-line block ×3, first 2 shown]
	s_nop 0
	s_sendmsg sendmsg(MSG_DEALLOC_VGPRS)
	s_endpgm
	.section	.rodata,"a",@progbits
	.p2align	6, 0x0
	.amdhsa_kernel _ZN9rocsparseL18bsrxmvn_4x4_kernelILj128ELj64E21rocsparse_complex_numIdEiiS2_S2_S2_EEvT3_20rocsparse_direction_NS_24const_host_device_scalarIT1_EES3_PKS3_PKT2_SC_S9_PKT4_PKT5_S7_PT6_21rocsparse_index_base_b
		.amdhsa_group_segment_fixed_size 0
		.amdhsa_private_segment_fixed_size 0
		.amdhsa_kernarg_size 112
		.amdhsa_user_sgpr_count 2
		.amdhsa_user_sgpr_dispatch_ptr 0
		.amdhsa_user_sgpr_queue_ptr 0
		.amdhsa_user_sgpr_kernarg_segment_ptr 1
		.amdhsa_user_sgpr_dispatch_id 0
		.amdhsa_user_sgpr_private_segment_size 0
		.amdhsa_wavefront_size32 1
		.amdhsa_uses_dynamic_stack 0
		.amdhsa_enable_private_segment 0
		.amdhsa_system_sgpr_workgroup_id_x 1
		.amdhsa_system_sgpr_workgroup_id_y 0
		.amdhsa_system_sgpr_workgroup_id_z 0
		.amdhsa_system_sgpr_workgroup_info 0
		.amdhsa_system_vgpr_workitem_id 0
		.amdhsa_next_free_vgpr 153
		.amdhsa_next_free_sgpr 14
		.amdhsa_reserve_vcc 1
		.amdhsa_float_round_mode_32 0
		.amdhsa_float_round_mode_16_64 0
		.amdhsa_float_denorm_mode_32 3
		.amdhsa_float_denorm_mode_16_64 3
		.amdhsa_fp16_overflow 0
		.amdhsa_workgroup_processor_mode 1
		.amdhsa_memory_ordered 1
		.amdhsa_forward_progress 1
		.amdhsa_inst_pref_size 95
		.amdhsa_round_robin_scheduling 0
		.amdhsa_exception_fp_ieee_invalid_op 0
		.amdhsa_exception_fp_denorm_src 0
		.amdhsa_exception_fp_ieee_div_zero 0
		.amdhsa_exception_fp_ieee_overflow 0
		.amdhsa_exception_fp_ieee_underflow 0
		.amdhsa_exception_fp_ieee_inexact 0
		.amdhsa_exception_int_div_zero 0
	.end_amdhsa_kernel
	.section	.text._ZN9rocsparseL18bsrxmvn_4x4_kernelILj128ELj64E21rocsparse_complex_numIdEiiS2_S2_S2_EEvT3_20rocsparse_direction_NS_24const_host_device_scalarIT1_EES3_PKS3_PKT2_SC_S9_PKT4_PKT5_S7_PT6_21rocsparse_index_base_b,"axG",@progbits,_ZN9rocsparseL18bsrxmvn_4x4_kernelILj128ELj64E21rocsparse_complex_numIdEiiS2_S2_S2_EEvT3_20rocsparse_direction_NS_24const_host_device_scalarIT1_EES3_PKS3_PKT2_SC_S9_PKT4_PKT5_S7_PT6_21rocsparse_index_base_b,comdat
.Lfunc_end19:
	.size	_ZN9rocsparseL18bsrxmvn_4x4_kernelILj128ELj64E21rocsparse_complex_numIdEiiS2_S2_S2_EEvT3_20rocsparse_direction_NS_24const_host_device_scalarIT1_EES3_PKS3_PKT2_SC_S9_PKT4_PKT5_S7_PT6_21rocsparse_index_base_b, .Lfunc_end19-_ZN9rocsparseL18bsrxmvn_4x4_kernelILj128ELj64E21rocsparse_complex_numIdEiiS2_S2_S2_EEvT3_20rocsparse_direction_NS_24const_host_device_scalarIT1_EES3_PKS3_PKT2_SC_S9_PKT4_PKT5_S7_PT6_21rocsparse_index_base_b
                                        ; -- End function
	.set _ZN9rocsparseL18bsrxmvn_4x4_kernelILj128ELj64E21rocsparse_complex_numIdEiiS2_S2_S2_EEvT3_20rocsparse_direction_NS_24const_host_device_scalarIT1_EES3_PKS3_PKT2_SC_S9_PKT4_PKT5_S7_PT6_21rocsparse_index_base_b.num_vgpr, 153
	.set _ZN9rocsparseL18bsrxmvn_4x4_kernelILj128ELj64E21rocsparse_complex_numIdEiiS2_S2_S2_EEvT3_20rocsparse_direction_NS_24const_host_device_scalarIT1_EES3_PKS3_PKT2_SC_S9_PKT4_PKT5_S7_PT6_21rocsparse_index_base_b.num_agpr, 0
	.set _ZN9rocsparseL18bsrxmvn_4x4_kernelILj128ELj64E21rocsparse_complex_numIdEiiS2_S2_S2_EEvT3_20rocsparse_direction_NS_24const_host_device_scalarIT1_EES3_PKS3_PKT2_SC_S9_PKT4_PKT5_S7_PT6_21rocsparse_index_base_b.numbered_sgpr, 14
	.set _ZN9rocsparseL18bsrxmvn_4x4_kernelILj128ELj64E21rocsparse_complex_numIdEiiS2_S2_S2_EEvT3_20rocsparse_direction_NS_24const_host_device_scalarIT1_EES3_PKS3_PKT2_SC_S9_PKT4_PKT5_S7_PT6_21rocsparse_index_base_b.num_named_barrier, 0
	.set _ZN9rocsparseL18bsrxmvn_4x4_kernelILj128ELj64E21rocsparse_complex_numIdEiiS2_S2_S2_EEvT3_20rocsparse_direction_NS_24const_host_device_scalarIT1_EES3_PKS3_PKT2_SC_S9_PKT4_PKT5_S7_PT6_21rocsparse_index_base_b.private_seg_size, 0
	.set _ZN9rocsparseL18bsrxmvn_4x4_kernelILj128ELj64E21rocsparse_complex_numIdEiiS2_S2_S2_EEvT3_20rocsparse_direction_NS_24const_host_device_scalarIT1_EES3_PKS3_PKT2_SC_S9_PKT4_PKT5_S7_PT6_21rocsparse_index_base_b.uses_vcc, 1
	.set _ZN9rocsparseL18bsrxmvn_4x4_kernelILj128ELj64E21rocsparse_complex_numIdEiiS2_S2_S2_EEvT3_20rocsparse_direction_NS_24const_host_device_scalarIT1_EES3_PKS3_PKT2_SC_S9_PKT4_PKT5_S7_PT6_21rocsparse_index_base_b.uses_flat_scratch, 0
	.set _ZN9rocsparseL18bsrxmvn_4x4_kernelILj128ELj64E21rocsparse_complex_numIdEiiS2_S2_S2_EEvT3_20rocsparse_direction_NS_24const_host_device_scalarIT1_EES3_PKS3_PKT2_SC_S9_PKT4_PKT5_S7_PT6_21rocsparse_index_base_b.has_dyn_sized_stack, 0
	.set _ZN9rocsparseL18bsrxmvn_4x4_kernelILj128ELj64E21rocsparse_complex_numIdEiiS2_S2_S2_EEvT3_20rocsparse_direction_NS_24const_host_device_scalarIT1_EES3_PKS3_PKT2_SC_S9_PKT4_PKT5_S7_PT6_21rocsparse_index_base_b.has_recursion, 0
	.set _ZN9rocsparseL18bsrxmvn_4x4_kernelILj128ELj64E21rocsparse_complex_numIdEiiS2_S2_S2_EEvT3_20rocsparse_direction_NS_24const_host_device_scalarIT1_EES3_PKS3_PKT2_SC_S9_PKT4_PKT5_S7_PT6_21rocsparse_index_base_b.has_indirect_call, 0
	.section	.AMDGPU.csdata,"",@progbits
; Kernel info:
; codeLenInByte = 12136
; TotalNumSgprs: 16
; NumVgprs: 153
; ScratchSize: 0
; MemoryBound: 1
; FloatMode: 240
; IeeeMode: 1
; LDSByteSize: 0 bytes/workgroup (compile time only)
; SGPRBlocks: 0
; VGPRBlocks: 19
; NumSGPRsForWavesPerEU: 16
; NumVGPRsForWavesPerEU: 153
; Occupancy: 9
; WaveLimiterHint : 1
; COMPUTE_PGM_RSRC2:SCRATCH_EN: 0
; COMPUTE_PGM_RSRC2:USER_SGPR: 2
; COMPUTE_PGM_RSRC2:TRAP_HANDLER: 0
; COMPUTE_PGM_RSRC2:TGID_X_EN: 1
; COMPUTE_PGM_RSRC2:TGID_Y_EN: 0
; COMPUTE_PGM_RSRC2:TGID_Z_EN: 0
; COMPUTE_PGM_RSRC2:TIDIG_COMP_CNT: 0
	.section	.text._ZN9rocsparseL18bsrxmvn_4x4_kernelILj128ELj4EflifffEEvT3_20rocsparse_direction_NS_24const_host_device_scalarIT1_EES1_PKS1_PKT2_SA_S7_PKT4_PKT5_S5_PT6_21rocsparse_index_base_b,"axG",@progbits,_ZN9rocsparseL18bsrxmvn_4x4_kernelILj128ELj4EflifffEEvT3_20rocsparse_direction_NS_24const_host_device_scalarIT1_EES1_PKS1_PKT2_SA_S7_PKT4_PKT5_S5_PT6_21rocsparse_index_base_b,comdat
	.globl	_ZN9rocsparseL18bsrxmvn_4x4_kernelILj128ELj4EflifffEEvT3_20rocsparse_direction_NS_24const_host_device_scalarIT1_EES1_PKS1_PKT2_SA_S7_PKT4_PKT5_S5_PT6_21rocsparse_index_base_b ; -- Begin function _ZN9rocsparseL18bsrxmvn_4x4_kernelILj128ELj4EflifffEEvT3_20rocsparse_direction_NS_24const_host_device_scalarIT1_EES1_PKS1_PKT2_SA_S7_PKT4_PKT5_S5_PT6_21rocsparse_index_base_b
	.p2align	8
	.type	_ZN9rocsparseL18bsrxmvn_4x4_kernelILj128ELj4EflifffEEvT3_20rocsparse_direction_NS_24const_host_device_scalarIT1_EES1_PKS1_PKT2_SA_S7_PKT4_PKT5_S5_PT6_21rocsparse_index_base_b,@function
_ZN9rocsparseL18bsrxmvn_4x4_kernelILj128ELj4EflifffEEvT3_20rocsparse_direction_NS_24const_host_device_scalarIT1_EES1_PKS1_PKT2_SA_S7_PKT4_PKT5_S5_PT6_21rocsparse_index_base_b: ; @_ZN9rocsparseL18bsrxmvn_4x4_kernelILj128ELj4EflifffEEvT3_20rocsparse_direction_NS_24const_host_device_scalarIT1_EES1_PKS1_PKT2_SA_S7_PKT4_PKT5_S5_PT6_21rocsparse_index_base_b
; %bb.0:
	s_clause 0x2
	s_load_b64 s[16:17], s[0:1], 0x58
	s_load_b64 s[14:15], s[0:1], 0x8
	;; [unrolled: 1-line block ×3, first 2 shown]
	s_wait_kmcnt 0x0
	s_bitcmp1_b32 s17, 0
	s_cselect_b32 s2, -1, 0
	s_delay_alu instid0(SALU_CYCLE_1)
	s_and_b32 vcc_lo, exec_lo, s2
	s_xor_b32 s2, s2, -1
	s_cbranch_vccnz .LBB20_2
; %bb.1:
	s_load_b32 s14, s[14:15], 0x0
.LBB20_2:
	s_and_not1_b32 vcc_lo, exec_lo, s2
	s_cbranch_vccnz .LBB20_4
; %bb.3:
	s_load_b32 s12, s[12:13], 0x0
.LBB20_4:
	s_wait_kmcnt 0x0
	s_cmp_neq_f32 s14, 0
	s_mov_b32 s6, 0
	s_cselect_b32 s2, -1, 0
	s_cmp_neq_f32 s12, 1.0
	s_cselect_b32 s3, -1, 0
	s_delay_alu instid0(SALU_CYCLE_1) | instskip(NEXT) | instid1(SALU_CYCLE_1)
	s_or_b32 s2, s2, s3
	s_and_not1_b32 vcc_lo, exec_lo, s2
	s_cbranch_vccnz .LBB20_10
; %bb.5:
	s_clause 0x1
	s_load_b64 s[4:5], s[0:1], 0x18
	s_load_b64 s[2:3], s[0:1], 0x0
	v_lshrrev_b32_e32 v1, 2, v0
	s_delay_alu instid0(VALU_DEP_1)
	v_lshl_or_b32 v4, ttmp9, 5, v1
	s_wait_kmcnt 0x0
	s_cmp_lg_u64 s[4:5], 0
	s_cbranch_scc0 .LBB20_11
; %bb.6:
	s_load_b32 s6, s[0:1], 0x10
	s_mov_b32 s7, 0
                                        ; implicit-def: $vgpr1
	s_wait_kmcnt 0x0
	v_cmp_gt_i32_e32 vcc_lo, s6, v4
	s_mov_b32 s6, 0
	s_and_saveexec_b32 s8, vcc_lo
	s_delay_alu instid0(SALU_CYCLE_1)
	s_xor_b32 s8, exec_lo, s8
	s_cbranch_execz .LBB20_8
; %bb.7:
	v_ashrrev_i32_e32 v5, 31, v4
	s_mov_b32 s6, exec_lo
	s_delay_alu instid0(VALU_DEP_1) | instskip(NEXT) | instid1(VALU_DEP_1)
	v_lshlrev_b64_e32 v[1:2], 2, v[4:5]
	v_add_co_u32 v1, vcc_lo, s4, v1
	s_delay_alu instid0(VALU_DEP_1)
	v_add_co_ci_u32_e64 v2, null, s5, v2, vcc_lo
	global_load_b32 v1, v[1:2], off
	s_wait_loadcnt 0x0
	v_subrev_nc_u32_e32 v1, s16, v1
.LBB20_8:
	s_or_b32 exec_lo, exec_lo, s8
	s_delay_alu instid0(SALU_CYCLE_1)
	s_and_b32 vcc_lo, exec_lo, s7
	s_wait_alu 0xfffe
	s_cbranch_vccz .LBB20_12
.LBB20_9:
	v_cmp_gt_i32_e32 vcc_lo, s2, v4
	s_and_not1_b32 s2, s6, exec_lo
	s_and_b32 s4, vcc_lo, exec_lo
	s_wait_alu 0xfffe
	s_or_b32 s6, s2, s4
	s_wait_alu 0xfffe
	s_and_saveexec_b32 s2, s6
	s_cbranch_execnz .LBB20_13
.LBB20_10:
	s_nop 0
	s_sendmsg sendmsg(MSG_DEALLOC_VGPRS)
	s_endpgm
.LBB20_11:
                                        ; implicit-def: $vgpr1
	s_cbranch_execnz .LBB20_9
.LBB20_12:
	v_mov_b32_e32 v4, v1
	s_and_saveexec_b32 s2, s6
	s_cbranch_execz .LBB20_10
.LBB20_13:
	s_load_b256 s[4:11], s[0:1], 0x20
	s_delay_alu instid0(VALU_DEP_1) | instskip(SKIP_1) | instid1(VALU_DEP_2)
	v_ashrrev_i32_e32 v5, 31, v4
	v_dual_mov_b32 v22, 0 :: v_dual_and_b32 v21, 3, v0
	v_lshlrev_b64_e32 v[1:2], 3, v[4:5]
	s_wait_kmcnt 0x0
	s_delay_alu instid0(VALU_DEP_1) | instskip(SKIP_1) | instid1(VALU_DEP_2)
	v_add_co_u32 v5, vcc_lo, s4, v1
	s_wait_alu 0xfffd
	v_add_co_ci_u32_e64 v6, null, s5, v2, vcc_lo
	v_add_co_u32 v1, vcc_lo, s6, v1
	s_wait_alu 0xfffd
	v_add_co_ci_u32_e64 v2, null, s7, v2, vcc_lo
	v_add_co_u32 v3, vcc_lo, v5, 8
	global_load_b64 v[9:10], v[5:6], off
	s_wait_alu 0xfffd
	v_add_co_ci_u32_e64 v7, null, 0, v6, vcc_lo
	s_cmp_eq_u64 s[6:7], 0
	s_load_b64 s[6:7], s[0:1], 0x40
	s_cselect_b32 vcc_lo, -1, 0
	s_cmp_eq_u32 s3, 1
	s_wait_alu 0xfffe
	v_cndmask_b32_e32 v2, v2, v7, vcc_lo
	v_cndmask_b32_e32 v1, v1, v3, vcc_lo
	global_load_b64 v[2:3], v[1:2], off
	s_wait_loadcnt 0x1
	v_sub_co_u32 v0, vcc_lo, v9, s16
	s_wait_alu 0xfffd
	v_subrev_co_ci_u32_e64 v1, null, 0, v10, vcc_lo
	s_delay_alu instid0(VALU_DEP_2) | instskip(SKIP_1) | instid1(VALU_DEP_2)
	v_add_co_u32 v0, vcc_lo, v0, v21
	s_wait_alu 0xfffd
	v_add_co_ci_u32_e64 v1, null, 0, v1, vcc_lo
	s_delay_alu instid0(VALU_DEP_1) | instskip(SKIP_4) | instid1(VALU_DEP_3)
	v_lshlrev_b64_e32 v[5:6], 6, v[0:1]
	s_wait_loadcnt 0x0
	v_sub_co_u32 v2, vcc_lo, v2, s16
	s_wait_alu 0xfffd
	v_subrev_co_ci_u32_e64 v3, null, 0, v3, vcc_lo
	v_add_co_u32 v5, vcc_lo, s10, v5
	s_delay_alu instid0(VALU_DEP_2)
	v_cmp_lt_i64_e64 s2, v[0:1], v[2:3]
	s_wait_alu 0xfffd
	v_add_co_ci_u32_e64 v6, null, s11, v6, vcc_lo
	s_cbranch_scc1 .LBB20_25
; %bb.14:
	v_dual_mov_b32 v23, 0 :: v_dual_mov_b32 v24, 0
	v_mov_b32_e32 v8, 0
	s_and_saveexec_b32 s5, s2
	s_cbranch_execz .LBB20_24
; %bb.15:
	v_or_b32_e32 v7, 4, v21
	v_not_b32_e32 v12, v9
	v_not_b32_e32 v11, v10
	s_delay_alu instid0(VALU_DEP_3) | instskip(SKIP_3) | instid1(VALU_DEP_3)
	v_sub_co_u32 v7, s3, v7, s16
	s_wait_alu 0xf1ff
	v_sub_co_ci_u32_e64 v8, null, 0, 0, s3
	v_sub_co_u32 v13, s3, s16, v21
	v_add_co_u32 v7, vcc_lo, v7, v9
	s_wait_alu 0xfffd
	s_delay_alu instid0(VALU_DEP_3)
	v_add_co_ci_u32_e64 v8, null, v8, v10, vcc_lo
	s_wait_alu 0xf1ff
	v_sub_co_ci_u32_e64 v14, null, 0, 0, s3
	s_mov_b32 s3, exec_lo
	v_cmp_gt_i64_e32 vcc_lo, v[7:8], v[2:3]
	s_wait_alu 0xfffd
	v_dual_cndmask_b32 v16, v3, v8 :: v_dual_cndmask_b32 v7, v2, v7
	v_add_co_u32 v8, vcc_lo, v13, v12
	s_wait_alu 0xfffd
	v_add_co_ci_u32_e64 v11, null, v14, v11, vcc_lo
	v_mov_b32_e32 v14, v6
	s_delay_alu instid0(VALU_DEP_3) | instskip(SKIP_4) | instid1(VALU_DEP_3)
	v_add_co_u32 v15, vcc_lo, v8, v7
	v_mov_b32_e32 v8, 0
	s_wait_alu 0xfffd
	v_add_co_ci_u32_e64 v16, null, v11, v16, vcc_lo
	v_dual_mov_b32 v12, v1 :: v_dual_mov_b32 v13, v5
	v_dual_mov_b32 v24, v8 :: v_dual_and_b32 v7, 12, v15
	v_dual_mov_b32 v23, v8 :: v_dual_mov_b32 v22, v8
	v_mov_b32_e32 v11, v0
	s_delay_alu instid0(VALU_DEP_3)
	v_cmpx_ne_u64_e32 12, v[7:8]
	s_cbranch_execz .LBB20_19
; %bb.16:
	v_lshrrev_b32_e32 v7, 2, v15
	v_mov_b32_e32 v22, 0
	v_dual_mov_b32 v14, v6 :: v_dual_mov_b32 v13, v5
	v_dual_mov_b32 v12, v1 :: v_dual_mov_b32 v11, v0
	s_delay_alu instid0(VALU_DEP_4) | instskip(SKIP_2) | instid1(VALU_DEP_3)
	v_add_nc_u32_e32 v17, 1, v7
	v_lshlrev_b64_e32 v[7:8], 2, v[0:1]
	v_dual_mov_b32 v23, 0 :: v_dual_mov_b32 v24, 0
	v_and_b32_e32 v19, 3, v17
	s_delay_alu instid0(VALU_DEP_3) | instskip(SKIP_1) | instid1(VALU_DEP_4)
	v_add_co_u32 v17, vcc_lo, s8, v7
	s_wait_alu 0xfffd
	v_add_co_ci_u32_e64 v18, null, s9, v8, vcc_lo
	v_mov_b32_e32 v8, 0
	v_sub_co_u32 v19, s4, 0, v19
	s_wait_alu 0xf1ff
	v_sub_co_ci_u32_e64 v20, null, 0, 0, s4
	s_mov_b32 s4, 0
.LBB20_17:                              ; =>This Inner Loop Header: Depth=1
	global_load_b32 v7, v[17:18], off
	s_clause 0x3
	global_load_b128 v[25:28], v[13:14], off offset:48
	global_load_b128 v[29:32], v[13:14], off offset:32
	;; [unrolled: 1-line block ×3, first 2 shown]
	global_load_b128 v[37:40], v[13:14], off
	s_wait_loadcnt 0x4
	v_subrev_nc_u32_e32 v7, s16, v7
	s_delay_alu instid0(VALU_DEP_1) | instskip(NEXT) | instid1(VALU_DEP_1)
	v_lshlrev_b32_e32 v41, 2, v7
	v_ashrrev_i32_e32 v42, 31, v41
	s_delay_alu instid0(VALU_DEP_1) | instskip(SKIP_1) | instid1(VALU_DEP_1)
	v_lshlrev_b64_e32 v[41:42], 2, v[41:42]
	s_wait_kmcnt 0x0
	v_add_co_u32 v41, vcc_lo, s6, v41
	s_wait_alu 0xfffd
	s_delay_alu instid0(VALU_DEP_2)
	v_add_co_ci_u32_e64 v42, null, s7, v42, vcc_lo
	v_add_co_u32 v13, vcc_lo, 0x100, v13
	s_wait_alu 0xfffd
	v_add_co_ci_u32_e64 v14, null, 0, v14, vcc_lo
	global_load_b128 v[41:44], v[41:42], off
	v_add_co_u32 v11, vcc_lo, v11, 4
	s_wait_alu 0xfffd
	v_add_co_ci_u32_e64 v12, null, 0, v12, vcc_lo
	v_add_co_u32 v17, vcc_lo, v17, 16
	s_wait_alu 0xfffd
	v_add_co_ci_u32_e64 v18, null, 0, v18, vcc_lo
	;; [unrolled: 3-line block ×3, first 2 shown]
	s_delay_alu instid0(VALU_DEP_1) | instskip(SKIP_4) | instid1(VALU_DEP_1)
	v_cmp_eq_u64_e32 vcc_lo, 0, v[19:20]
	s_wait_alu 0xfffe
	s_or_b32 s4, vcc_lo, s4
	s_wait_loadcnt 0x0
	v_fmac_f32_e32 v23, v29, v41
	v_dual_fmac_f32 v8, v37, v41 :: v_dual_fmac_f32 v23, v30, v42
	v_fmac_f32_e32 v24, v33, v41
	s_delay_alu instid0(VALU_DEP_2) | instskip(SKIP_1) | instid1(VALU_DEP_3)
	v_dual_fmac_f32 v8, v38, v42 :: v_dual_fmac_f32 v23, v31, v43
	v_fmac_f32_e32 v22, v25, v41
	v_fmac_f32_e32 v24, v34, v42
	s_delay_alu instid0(VALU_DEP_3) | instskip(NEXT) | instid1(VALU_DEP_3)
	v_dual_fmac_f32 v8, v39, v43 :: v_dual_fmac_f32 v23, v32, v44
	v_fmac_f32_e32 v22, v26, v42
	s_delay_alu instid0(VALU_DEP_3) | instskip(NEXT) | instid1(VALU_DEP_3)
	v_fmac_f32_e32 v24, v35, v43
	v_fmac_f32_e32 v8, v40, v44
	s_delay_alu instid0(VALU_DEP_3) | instskip(NEXT) | instid1(VALU_DEP_3)
	v_fmac_f32_e32 v22, v27, v43
	v_fmac_f32_e32 v24, v36, v44
	s_delay_alu instid0(VALU_DEP_2)
	v_fmac_f32_e32 v22, v28, v44
	s_wait_alu 0xfffe
	s_and_not1_b32 exec_lo, exec_lo, s4
	s_cbranch_execnz .LBB20_17
; %bb.18:
	s_or_b32 exec_lo, exec_lo, s4
.LBB20_19:
	s_wait_alu 0xfffe
	s_or_b32 exec_lo, exec_lo, s3
	s_delay_alu instid0(SALU_CYCLE_1)
	s_mov_b32 s10, exec_lo
	v_cmpx_lt_u64_e32 11, v[15:16]
	s_cbranch_execz .LBB20_23
; %bb.20:
	v_lshlrev_b64_e32 v[15:16], 2, v[11:12]
	s_mov_b32 s11, 0
	s_delay_alu instid0(VALU_DEP_1) | instskip(SKIP_1) | instid1(VALU_DEP_2)
	v_add_co_u32 v7, vcc_lo, s8, v15
	s_wait_alu 0xfffd
	v_add_co_ci_u32_e64 v16, null, s9, v16, vcc_lo
	s_delay_alu instid0(VALU_DEP_2) | instskip(SKIP_1) | instid1(VALU_DEP_2)
	v_add_co_u32 v15, vcc_lo, v7, 32
	s_wait_alu 0xfffd
	v_add_co_ci_u32_e64 v16, null, 0, v16, vcc_lo
.LBB20_21:                              ; =>This Inner Loop Header: Depth=1
	s_clause 0x3
	global_load_b32 v7, v[15:16], off offset:-32
	global_load_b32 v85, v[15:16], off offset:-16
	global_load_b32 v86, v[15:16], off
	global_load_b32 v87, v[15:16], off offset:16
	s_clause 0xf
	global_load_b128 v[17:20], v[13:14], off offset:48
	global_load_b128 v[25:28], v[13:14], off offset:32
	;; [unrolled: 1-line block ×3, first 2 shown]
	global_load_b128 v[33:36], v[13:14], off
	global_load_b128 v[37:40], v[13:14], off offset:304
	global_load_b128 v[41:44], v[13:14], off offset:288
	;; [unrolled: 1-line block ×12, first 2 shown]
	v_add_co_u32 v11, s3, v11, 16
	s_wait_alu 0xf1ff
	v_add_co_ci_u32_e64 v12, null, 0, v12, s3
	v_add_co_u32 v15, s4, v15, 64
	s_wait_alu 0xf1ff
	v_add_co_ci_u32_e64 v16, null, 0, v16, s4
	s_wait_loadcnt 0x13
	v_subrev_nc_u32_e32 v7, s16, v7
	s_wait_loadcnt 0x12
	v_subrev_nc_u32_e32 v88, s16, v85
	;; [unrolled: 2-line block ×4, first 2 shown]
	v_lshlrev_b32_e32 v85, 2, v7
	v_lshlrev_b32_e32 v89, 2, v88
	v_lshlrev_b32_e32 v93, 2, v86
	s_delay_alu instid0(VALU_DEP_4) | instskip(NEXT) | instid1(VALU_DEP_4)
	v_lshlrev_b32_e32 v95, 2, v87
	v_ashrrev_i32_e32 v86, 31, v85
	s_delay_alu instid0(VALU_DEP_4) | instskip(NEXT) | instid1(VALU_DEP_2)
	v_ashrrev_i32_e32 v90, 31, v89
	v_lshlrev_b64_e32 v[85:86], 2, v[85:86]
	s_delay_alu instid0(VALU_DEP_2) | instskip(SKIP_1) | instid1(VALU_DEP_2)
	v_lshlrev_b64_e32 v[89:90], 2, v[89:90]
	s_wait_kmcnt 0x0
	v_add_co_u32 v85, vcc_lo, s6, v85
	s_wait_alu 0xfffd
	s_delay_alu instid0(VALU_DEP_3) | instskip(NEXT) | instid1(VALU_DEP_3)
	v_add_co_ci_u32_e64 v86, null, s7, v86, vcc_lo
	v_add_co_u32 v89, vcc_lo, s6, v89
	s_wait_alu 0xfffd
	v_add_co_ci_u32_e64 v90, null, s7, v90, vcc_lo
	s_clause 0x1
	global_load_b128 v[85:88], v[85:86], off
	global_load_b128 v[89:92], v[89:90], off
	s_wait_loadcnt 0x1
	v_fmac_f32_e32 v8, v33, v85
	v_fmac_f32_e32 v23, v25, v85
	;; [unrolled: 1-line block ×3, first 2 shown]
	s_delay_alu instid0(VALU_DEP_3) | instskip(NEXT) | instid1(VALU_DEP_3)
	v_fmac_f32_e32 v8, v34, v86
	v_dual_fmac_f32 v23, v26, v86 :: v_dual_fmac_f32 v22, v17, v85
	s_delay_alu instid0(VALU_DEP_3) | instskip(NEXT) | instid1(VALU_DEP_3)
	v_fmac_f32_e32 v24, v30, v86
	v_fmac_f32_e32 v8, v35, v87
	v_ashrrev_i32_e32 v94, 31, v93
	s_delay_alu instid0(VALU_DEP_4) | instskip(NEXT) | instid1(VALU_DEP_3)
	v_dual_fmac_f32 v23, v27, v87 :: v_dual_fmac_f32 v22, v18, v86
	v_fmac_f32_e32 v8, v36, v88
	v_ashrrev_i32_e32 v96, 31, v95
	s_delay_alu instid0(VALU_DEP_4) | instskip(NEXT) | instid1(VALU_DEP_4)
	v_lshlrev_b64_e32 v[93:94], 2, v[93:94]
	v_dual_fmac_f32 v23, v28, v88 :: v_dual_fmac_f32 v24, v31, v87
	s_delay_alu instid0(VALU_DEP_3) | instskip(NEXT) | instid1(VALU_DEP_3)
	v_lshlrev_b64_e32 v[95:96], 2, v[95:96]
	v_add_co_u32 v93, vcc_lo, s6, v93
	s_wait_alu 0xfffd
	s_delay_alu instid0(VALU_DEP_4) | instskip(NEXT) | instid1(VALU_DEP_3)
	v_add_co_ci_u32_e64 v94, null, s7, v94, vcc_lo
	v_add_co_u32 v97, vcc_lo, s6, v95
	s_wait_alu 0xfffd
	v_add_co_ci_u32_e64 v98, null, s7, v96, vcc_lo
	global_load_b128 v[93:96], v[93:94], off
	s_wait_loadcnt 0x1
	v_dual_fmac_f32 v23, v41, v89 :: v_dual_fmac_f32 v22, v19, v87
	global_load_b128 v[33:36], v[97:98], off
	v_add_co_u32 v13, vcc_lo, 0x400, v13
	v_dual_fmac_f32 v23, v42, v90 :: v_dual_fmac_f32 v24, v32, v88
	s_wait_alu 0xfffd
	v_add_co_ci_u32_e64 v14, null, 0, v14, vcc_lo
	v_cmp_ge_i64_e32 vcc_lo, v[11:12], v[2:3]
	s_delay_alu instid0(VALU_DEP_3) | instskip(NEXT) | instid1(VALU_DEP_1)
	v_dual_fmac_f32 v23, v43, v91 :: v_dual_fmac_f32 v8, v49, v89
	v_fmac_f32_e32 v23, v44, v92
	v_fmac_f32_e32 v22, v20, v88
	s_wait_alu 0xfffe
	s_or_b32 s11, vcc_lo, s11
	s_wait_loadcnt 0x1
	v_fmac_f32_e32 v23, v57, v93
	s_delay_alu instid0(VALU_DEP_1) | instskip(NEXT) | instid1(VALU_DEP_1)
	v_dual_fmac_f32 v24, v45, v89 :: v_dual_fmac_f32 v23, v58, v94
	v_dual_fmac_f32 v22, v37, v89 :: v_dual_fmac_f32 v23, v59, v95
	s_delay_alu instid0(VALU_DEP_1) | instskip(SKIP_1) | instid1(VALU_DEP_1)
	v_dual_fmac_f32 v8, v50, v90 :: v_dual_fmac_f32 v23, v60, v96
	s_wait_loadcnt 0x0
	v_dual_fmac_f32 v24, v46, v90 :: v_dual_fmac_f32 v23, v73, v33
	s_delay_alu instid0(VALU_DEP_1) | instskip(SKIP_1) | instid1(VALU_DEP_2)
	v_dual_fmac_f32 v8, v51, v91 :: v_dual_fmac_f32 v23, v74, v34
	v_fmac_f32_e32 v22, v38, v90
	v_dual_fmac_f32 v8, v52, v92 :: v_dual_fmac_f32 v23, v75, v35
	s_delay_alu instid0(VALU_DEP_4) | instskip(NEXT) | instid1(VALU_DEP_3)
	v_fmac_f32_e32 v24, v47, v91
	v_fmac_f32_e32 v22, v39, v91
	s_delay_alu instid0(VALU_DEP_3) | instskip(NEXT) | instid1(VALU_DEP_3)
	v_dual_fmac_f32 v8, v65, v93 :: v_dual_fmac_f32 v23, v76, v36
	v_fmac_f32_e32 v24, v48, v92
	s_delay_alu instid0(VALU_DEP_3) | instskip(NEXT) | instid1(VALU_DEP_3)
	v_fmac_f32_e32 v22, v40, v92
	v_fmac_f32_e32 v8, v66, v94
	s_delay_alu instid0(VALU_DEP_3) | instskip(NEXT) | instid1(VALU_DEP_3)
	v_fmac_f32_e32 v24, v61, v93
	;; [unrolled: 3-line block ×11, first 2 shown]
	v_fmac_f32_e32 v22, v71, v35
	s_delay_alu instid0(VALU_DEP_2) | instskip(NEXT) | instid1(VALU_DEP_2)
	v_fmac_f32_e32 v24, v80, v36
	v_fmac_f32_e32 v22, v72, v36
	s_wait_alu 0xfffe
	s_and_not1_b32 exec_lo, exec_lo, s11
	s_cbranch_execnz .LBB20_21
; %bb.22:
	s_or_b32 exec_lo, exec_lo, s11
.LBB20_23:
	s_wait_alu 0xfffe
	s_or_b32 exec_lo, exec_lo, s10
.LBB20_24:
	s_wait_alu 0xfffe
	s_or_b32 exec_lo, exec_lo, s5
	s_cbranch_execz .LBB20_26
	s_branch .LBB20_37
.LBB20_25:
                                        ; implicit-def: $vgpr22
                                        ; implicit-def: $vgpr23
                                        ; implicit-def: $vgpr24
                                        ; implicit-def: $vgpr8
.LBB20_26:
	v_dual_mov_b32 v22, 0 :: v_dual_mov_b32 v23, 0
	v_mov_b32_e32 v24, 0
	v_mov_b32_e32 v8, 0
	s_and_saveexec_b32 s3, s2
	s_cbranch_execz .LBB20_36
; %bb.27:
	v_or_b32_e32 v7, 4, v21
	s_delay_alu instid0(VALU_DEP_1) | instskip(SKIP_3) | instid1(VALU_DEP_3)
	v_sub_co_u32 v7, s2, v7, s16
	s_wait_alu 0xf1ff
	v_sub_co_ci_u32_e64 v8, null, 0, 0, s2
	v_sub_co_u32 v11, s2, s16, v21
	v_add_co_u32 v7, vcc_lo, v7, v9
	s_wait_alu 0xfffd
	s_delay_alu instid0(VALU_DEP_3)
	v_add_co_ci_u32_e64 v8, null, v8, v10, vcc_lo
	v_not_b32_e32 v9, v9
	v_not_b32_e32 v10, v10
	s_wait_alu 0xf1ff
	v_sub_co_ci_u32_e64 v12, null, 0, 0, s2
	v_cmp_gt_i64_e32 vcc_lo, v[7:8], v[2:3]
	s_mov_b32 s2, exec_lo
	s_wait_alu 0xfffd
	v_cndmask_b32_e32 v13, v3, v8, vcc_lo
	v_cndmask_b32_e32 v7, v2, v7, vcc_lo
	v_add_co_u32 v8, vcc_lo, v11, v9
	s_wait_alu 0xfffd
	v_add_co_ci_u32_e64 v10, null, v12, v10, vcc_lo
	s_delay_alu instid0(VALU_DEP_2) | instskip(SKIP_2) | instid1(VALU_DEP_3)
	v_add_co_u32 v9, vcc_lo, v8, v7
	v_mov_b32_e32 v8, 0
	s_wait_alu 0xfffd
	v_add_co_ci_u32_e64 v10, null, v10, v13, vcc_lo
	s_delay_alu instid0(VALU_DEP_2) | instskip(SKIP_1) | instid1(VALU_DEP_2)
	v_dual_mov_b32 v22, v8 :: v_dual_and_b32 v7, 12, v9
	v_dual_mov_b32 v24, v8 :: v_dual_mov_b32 v23, v8
	v_cmpx_ne_u64_e32 12, v[7:8]
	s_cbranch_execz .LBB20_31
; %bb.28:
	v_lshrrev_b32_e32 v7, 2, v9
	v_dual_mov_b32 v23, 0 :: v_dual_mov_b32 v24, 0
	s_delay_alu instid0(VALU_DEP_2) | instskip(SKIP_1) | instid1(VALU_DEP_2)
	v_dual_mov_b32 v22, 0 :: v_dual_add_nc_u32 v11, 1, v7
	v_lshlrev_b64_e32 v[7:8], 2, v[0:1]
	v_and_b32_e32 v13, 3, v11
	s_delay_alu instid0(VALU_DEP_2) | instskip(SKIP_1) | instid1(VALU_DEP_3)
	v_add_co_u32 v11, vcc_lo, s8, v7
	s_wait_alu 0xfffd
	v_add_co_ci_u32_e64 v12, null, s9, v8, vcc_lo
	v_mov_b32_e32 v8, 0
	v_sub_co_u32 v13, s4, 0, v13
	s_wait_alu 0xf1ff
	v_sub_co_ci_u32_e64 v14, null, 0, 0, s4
	s_mov_b32 s4, 0
.LBB20_29:                              ; =>This Inner Loop Header: Depth=1
	global_load_b32 v7, v[11:12], off
	s_clause 0x1
	global_load_b128 v[15:18], v[5:6], off offset:16
	global_load_b128 v[25:28], v[5:6], off
	s_wait_loadcnt 0x2
	v_subrev_nc_u32_e32 v7, s16, v7
	s_delay_alu instid0(VALU_DEP_1) | instskip(NEXT) | instid1(VALU_DEP_1)
	v_lshlrev_b32_e32 v19, 2, v7
	v_ashrrev_i32_e32 v20, 31, v19
	s_delay_alu instid0(VALU_DEP_1) | instskip(SKIP_1) | instid1(VALU_DEP_1)
	v_lshlrev_b64_e32 v[19:20], 2, v[19:20]
	s_wait_kmcnt 0x0
	v_add_co_u32 v19, vcc_lo, s6, v19
	s_wait_alu 0xfffd
	s_delay_alu instid0(VALU_DEP_2)
	v_add_co_ci_u32_e64 v20, null, s7, v20, vcc_lo
	global_load_b128 v[29:32], v[19:20], off
	s_clause 0x1
	global_load_b128 v[33:36], v[5:6], off offset:32
	global_load_b128 v[37:40], v[5:6], off offset:48
	v_add_co_u32 v5, vcc_lo, 0x100, v5
	s_wait_alu 0xfffd
	v_add_co_ci_u32_e64 v6, null, 0, v6, vcc_lo
	v_add_co_u32 v0, vcc_lo, v0, 4
	s_wait_alu 0xfffd
	v_add_co_ci_u32_e64 v1, null, 0, v1, vcc_lo
	;; [unrolled: 3-line block ×4, first 2 shown]
	s_delay_alu instid0(VALU_DEP_1)
	v_cmp_eq_u64_e32 vcc_lo, 0, v[13:14]
	s_wait_alu 0xfffe
	s_or_b32 s4, vcc_lo, s4
	s_wait_loadcnt 0x2
	v_fmac_f32_e32 v23, v27, v29
	v_fmac_f32_e32 v8, v25, v29
	s_delay_alu instid0(VALU_DEP_2) | instskip(SKIP_1) | instid1(VALU_DEP_3)
	v_dual_fmac_f32 v24, v26, v29 :: v_dual_fmac_f32 v23, v17, v30
	v_fmac_f32_e32 v22, v28, v29
	v_fmac_f32_e32 v8, v15, v30
	s_wait_loadcnt 0x1
	s_delay_alu instid0(VALU_DEP_3) | instskip(NEXT) | instid1(VALU_DEP_3)
	v_dual_fmac_f32 v24, v16, v30 :: v_dual_fmac_f32 v23, v35, v31
	v_fmac_f32_e32 v22, v18, v30
	s_delay_alu instid0(VALU_DEP_3) | instskip(SKIP_1) | instid1(VALU_DEP_3)
	v_fmac_f32_e32 v8, v33, v31
	s_wait_loadcnt 0x0
	v_dual_fmac_f32 v24, v34, v31 :: v_dual_fmac_f32 v23, v39, v32
	s_delay_alu instid0(VALU_DEP_3) | instskip(NEXT) | instid1(VALU_DEP_3)
	v_fmac_f32_e32 v22, v36, v31
	v_fmac_f32_e32 v8, v37, v32
	s_delay_alu instid0(VALU_DEP_3) | instskip(NEXT) | instid1(VALU_DEP_3)
	v_fmac_f32_e32 v24, v38, v32
	v_fmac_f32_e32 v22, v40, v32
	s_wait_alu 0xfffe
	s_and_not1_b32 exec_lo, exec_lo, s4
	s_cbranch_execnz .LBB20_29
; %bb.30:
	s_or_b32 exec_lo, exec_lo, s4
.LBB20_31:
	s_wait_alu 0xfffe
	s_or_b32 exec_lo, exec_lo, s2
	s_delay_alu instid0(SALU_CYCLE_1)
	s_mov_b32 s2, exec_lo
	v_cmpx_lt_u64_e32 11, v[9:10]
	s_cbranch_execz .LBB20_35
; %bb.32:
	v_lshlrev_b64_e32 v[9:10], 2, v[0:1]
	s_mov_b32 s4, 0
	s_delay_alu instid0(VALU_DEP_1) | instskip(SKIP_1) | instid1(VALU_DEP_2)
	v_add_co_u32 v7, vcc_lo, s8, v9
	s_wait_alu 0xfffd
	v_add_co_ci_u32_e64 v10, null, s9, v10, vcc_lo
	s_delay_alu instid0(VALU_DEP_2) | instskip(SKIP_1) | instid1(VALU_DEP_2)
	v_add_co_u32 v9, vcc_lo, v7, 32
	s_wait_alu 0xfffd
	v_add_co_ci_u32_e64 v10, null, 0, v10, vcc_lo
.LBB20_33:                              ; =>This Inner Loop Header: Depth=1
	s_clause 0x3
	global_load_b32 v7, v[9:10], off offset:-32
	global_load_b32 v19, v[9:10], off offset:-16
	global_load_b32 v20, v[9:10], off
	global_load_b32 v73, v[9:10], off offset:16
	s_clause 0xd
	global_load_b128 v[11:14], v[5:6], off offset:48
	global_load_b128 v[15:18], v[5:6], off offset:32
	;; [unrolled: 1-line block ×3, first 2 shown]
	global_load_b128 v[29:32], v[5:6], off
	global_load_b128 v[33:36], v[5:6], off offset:304
	global_load_b128 v[37:40], v[5:6], off offset:288
	;; [unrolled: 1-line block ×10, first 2 shown]
	s_wait_loadcnt 0x11
	v_subrev_nc_u32_e32 v7, s16, v7
	s_wait_loadcnt 0x10
	v_subrev_nc_u32_e32 v74, s16, v19
	s_wait_loadcnt 0xf
	v_subrev_nc_u32_e32 v20, s16, v20
	s_wait_loadcnt 0xe
	v_subrev_nc_u32_e32 v73, s16, v73
	v_lshlrev_b32_e32 v19, 2, v7
	v_lshlrev_b32_e32 v77, 2, v74
	;; [unrolled: 1-line block ×3, first 2 shown]
	s_delay_alu instid0(VALU_DEP_4) | instskip(NEXT) | instid1(VALU_DEP_4)
	v_lshlrev_b32_e32 v85, 2, v73
	v_ashrrev_i32_e32 v20, 31, v19
	s_delay_alu instid0(VALU_DEP_1) | instskip(SKIP_1) | instid1(VALU_DEP_1)
	v_lshlrev_b64_e32 v[19:20], 2, v[19:20]
	s_wait_kmcnt 0x0
	v_add_co_u32 v19, vcc_lo, s6, v19
	s_wait_alu 0xfffd
	s_delay_alu instid0(VALU_DEP_2)
	v_add_co_ci_u32_e64 v20, null, s7, v20, vcc_lo
	global_load_b128 v[73:76], v[19:20], off
	s_wait_loadcnt 0x0
	v_fmac_f32_e32 v24, v30, v73
	v_ashrrev_i32_e32 v78, 31, v77
	v_fmac_f32_e32 v22, v32, v73
	v_ashrrev_i32_e32 v82, 31, v81
	v_fmac_f32_e32 v8, v29, v73
	v_dual_fmac_f32 v23, v31, v73 :: v_dual_fmac_f32 v24, v26, v74
	v_lshlrev_b64_e32 v[19:20], 2, v[77:78]
	s_delay_alu instid0(VALU_DEP_3) | instskip(SKIP_1) | instid1(VALU_DEP_4)
	v_fmac_f32_e32 v8, v25, v74
	v_ashrrev_i32_e32 v86, 31, v85
	v_dual_fmac_f32 v23, v27, v74 :: v_dual_fmac_f32 v24, v16, v75
	s_delay_alu instid0(VALU_DEP_4) | instskip(SKIP_2) | instid1(VALU_DEP_3)
	v_add_co_u32 v19, vcc_lo, s6, v19
	s_wait_alu 0xfffd
	v_add_co_ci_u32_e64 v20, null, s7, v20, vcc_lo
	v_dual_fmac_f32 v22, v28, v74 :: v_dual_fmac_f32 v23, v17, v75
	v_fmac_f32_e32 v8, v15, v75
	global_load_b128 v[77:80], v[19:20], off
	v_lshlrev_b64_e32 v[19:20], 2, v[81:82]
	v_dual_fmac_f32 v23, v13, v76 :: v_dual_fmac_f32 v22, v18, v75
	v_fmac_f32_e32 v8, v11, v76
	s_delay_alu instid0(VALU_DEP_3) | instskip(SKIP_1) | instid1(VALU_DEP_4)
	v_add_co_u32 v19, vcc_lo, s6, v19
	s_wait_alu 0xfffd
	v_add_co_ci_u32_e64 v20, null, s7, v20, vcc_lo
	global_load_b128 v[81:84], v[19:20], off
	v_lshlrev_b64_e32 v[19:20], 2, v[85:86]
	s_delay_alu instid0(VALU_DEP_1) | instskip(SKIP_1) | instid1(VALU_DEP_2)
	v_add_co_u32 v19, vcc_lo, s6, v19
	s_wait_alu 0xfffd
	v_add_co_ci_u32_e64 v20, null, s7, v20, vcc_lo
	global_load_b128 v[85:88], v[19:20], off
	s_clause 0x1
	global_load_b128 v[89:92], v[5:6], off offset:800
	global_load_b128 v[29:32], v[5:6], off offset:816
	v_add_co_u32 v5, vcc_lo, 0x400, v5
	s_wait_alu 0xfffd
	v_add_co_ci_u32_e64 v6, null, 0, v6, vcc_lo
	v_add_co_u32 v0, vcc_lo, v0, 16
	s_wait_alu 0xfffd
	v_add_co_ci_u32_e64 v1, null, 0, v1, vcc_lo
	;; [unrolled: 3-line block ×3, first 2 shown]
	s_delay_alu instid0(VALU_DEP_3) | instskip(SKIP_4) | instid1(VALU_DEP_1)
	v_cmp_ge_i64_e32 vcc_lo, v[0:1], v[2:3]
	s_wait_alu 0xfffe
	s_or_b32 s4, vcc_lo, s4
	s_wait_loadcnt 0x4
	v_dual_fmac_f32 v23, v47, v77 :: v_dual_fmac_f32 v24, v12, v76
	v_dual_fmac_f32 v23, v43, v78 :: v_dual_fmac_f32 v22, v14, v76
	s_delay_alu instid0(VALU_DEP_1) | instskip(NEXT) | instid1(VALU_DEP_1)
	v_dual_fmac_f32 v23, v39, v79 :: v_dual_fmac_f32 v8, v45, v77
	v_dual_fmac_f32 v23, v35, v80 :: v_dual_fmac_f32 v8, v41, v78
	s_wait_loadcnt 0x3
	s_delay_alu instid0(VALU_DEP_1) | instskip(NEXT) | instid1(VALU_DEP_1)
	v_fmac_f32_e32 v23, v63, v81
	v_dual_fmac_f32 v24, v46, v77 :: v_dual_fmac_f32 v23, v59, v82
	s_delay_alu instid0(VALU_DEP_1) | instskip(NEXT) | instid1(VALU_DEP_1)
	v_dual_fmac_f32 v22, v48, v77 :: v_dual_fmac_f32 v23, v55, v83
	v_dual_fmac_f32 v24, v42, v78 :: v_dual_fmac_f32 v23, v51, v84
	s_wait_loadcnt 0x2
	s_delay_alu instid0(VALU_DEP_1) | instskip(SKIP_1) | instid1(VALU_DEP_2)
	v_dual_fmac_f32 v22, v44, v78 :: v_dual_fmac_f32 v23, v71, v85
	v_fmac_f32_e32 v8, v37, v79
	v_dual_fmac_f32 v22, v40, v79 :: v_dual_fmac_f32 v23, v67, v86
	s_delay_alu instid0(VALU_DEP_2) | instskip(SKIP_1) | instid1(VALU_DEP_2)
	v_fmac_f32_e32 v8, v33, v80
	s_wait_loadcnt 0x1
	v_dual_fmac_f32 v22, v36, v80 :: v_dual_fmac_f32 v23, v91, v87
	v_fmac_f32_e32 v24, v38, v79
	s_delay_alu instid0(VALU_DEP_3) | instskip(SKIP_1) | instid1(VALU_DEP_3)
	v_fmac_f32_e32 v8, v61, v81
	s_wait_loadcnt 0x0
	v_dual_fmac_f32 v22, v64, v81 :: v_dual_fmac_f32 v23, v31, v88
	s_delay_alu instid0(VALU_DEP_3) | instskip(NEXT) | instid1(VALU_DEP_3)
	v_fmac_f32_e32 v24, v34, v80
	v_fmac_f32_e32 v8, v57, v82
	s_delay_alu instid0(VALU_DEP_3) | instskip(NEXT) | instid1(VALU_DEP_3)
	v_fmac_f32_e32 v22, v60, v82
	v_fmac_f32_e32 v24, v62, v81
	;; [unrolled: 3-line block ×11, first 2 shown]
	s_delay_alu instid0(VALU_DEP_1)
	v_fmac_f32_e32 v24, v30, v88
	s_wait_alu 0xfffe
	s_and_not1_b32 exec_lo, exec_lo, s4
	s_cbranch_execnz .LBB20_33
; %bb.34:
	s_or_b32 exec_lo, exec_lo, s4
.LBB20_35:
	s_wait_alu 0xfffe
	s_or_b32 exec_lo, exec_lo, s2
.LBB20_36:
	s_wait_alu 0xfffe
	s_or_b32 exec_lo, exec_lo, s3
.LBB20_37:
	v_mbcnt_lo_u32_b32 v0, -1, 0
	s_mov_b32 s2, -1
	s_delay_alu instid0(VALU_DEP_1) | instskip(NEXT) | instid1(VALU_DEP_1)
	v_xor_b32_e32 v1, 2, v0
	v_cmp_gt_i32_e32 vcc_lo, 32, v1
	s_wait_alu 0xfffd
	v_cndmask_b32_e32 v1, v0, v1, vcc_lo
	s_delay_alu instid0(VALU_DEP_1)
	v_lshlrev_b32_e32 v1, 2, v1
	ds_bpermute_b32 v2, v1, v8
	ds_bpermute_b32 v3, v1, v24
	;; [unrolled: 1-line block ×4, first 2 shown]
	v_xor_b32_e32 v1, 1, v0
	s_delay_alu instid0(VALU_DEP_1)
	v_cmp_gt_i32_e32 vcc_lo, 32, v1
	s_wait_alu 0xfffd
	v_cndmask_b32_e32 v0, v0, v1, vcc_lo
	v_cmp_eq_u32_e32 vcc_lo, 3, v21
	s_wait_dscnt 0x2
	v_add_f32_e32 v1, v24, v3
	s_wait_dscnt 0x0
	v_add_f32_e32 v3, v22, v6
	v_dual_add_f32 v0, v8, v2 :: v_dual_lshlrev_b32 v9, 2, v0
	v_add_f32_e32 v2, v23, v5
	ds_bpermute_b32 v6, v9, v1
	ds_bpermute_b32 v5, v9, v0
	;; [unrolled: 1-line block ×4, first 2 shown]
	s_and_b32 exec_lo, exec_lo, vcc_lo
	s_cbranch_execz .LBB20_10
; %bb.38:
	s_load_b64 s[0:1], s[0:1], 0x50
	s_wait_dscnt 0x2
	v_dual_add_f32 v0, v0, v5 :: v_dual_add_f32 v1, v1, v6
	s_wait_dscnt 0x0
	v_dual_add_f32 v2, v2, v7 :: v_dual_add_f32 v3, v3, v8
	v_lshlrev_b32_e32 v4, 2, v4
	s_delay_alu instid0(VALU_DEP_3) | instskip(NEXT) | instid1(VALU_DEP_3)
	v_dual_mul_f32 v0, s14, v0 :: v_dual_mul_f32 v1, s14, v1
	v_dual_mul_f32 v2, s14, v2 :: v_dual_mul_f32 v3, s14, v3
	s_cmp_eq_f32 s12, 0
	s_cbranch_scc0 .LBB20_40
; %bb.39:
	v_ashrrev_i32_e32 v5, 31, v4
	s_mov_b32 s2, 0
	s_delay_alu instid0(VALU_DEP_1) | instskip(SKIP_1) | instid1(VALU_DEP_1)
	v_lshlrev_b64_e32 v[5:6], 2, v[4:5]
	s_wait_kmcnt 0x0
	v_add_co_u32 v5, vcc_lo, s0, v5
	s_wait_alu 0xfffd
	s_delay_alu instid0(VALU_DEP_2)
	v_add_co_ci_u32_e64 v6, null, s1, v6, vcc_lo
	global_store_b128 v[5:6], v[0:3], off
.LBB20_40:
	s_wait_alu 0xfffe
	s_and_not1_b32 vcc_lo, exec_lo, s2
	s_wait_alu 0xfffe
	s_cbranch_vccnz .LBB20_10
; %bb.41:
	v_ashrrev_i32_e32 v5, 31, v4
	s_delay_alu instid0(VALU_DEP_1) | instskip(SKIP_1) | instid1(VALU_DEP_1)
	v_lshlrev_b64_e32 v[4:5], 2, v[4:5]
	s_wait_kmcnt 0x0
	v_add_co_u32 v8, vcc_lo, s0, v4
	s_wait_alu 0xfffd
	s_delay_alu instid0(VALU_DEP_2)
	v_add_co_ci_u32_e64 v9, null, s1, v5, vcc_lo
	global_load_b128 v[4:7], v[8:9], off
	s_wait_loadcnt 0x0
	v_dual_fmac_f32 v0, s12, v4 :: v_dual_fmac_f32 v1, s12, v5
	v_dual_fmac_f32 v2, s12, v6 :: v_dual_fmac_f32 v3, s12, v7
	global_store_b128 v[8:9], v[0:3], off
	s_nop 0
	s_sendmsg sendmsg(MSG_DEALLOC_VGPRS)
	s_endpgm
	.section	.rodata,"a",@progbits
	.p2align	6, 0x0
	.amdhsa_kernel _ZN9rocsparseL18bsrxmvn_4x4_kernelILj128ELj4EflifffEEvT3_20rocsparse_direction_NS_24const_host_device_scalarIT1_EES1_PKS1_PKT2_SA_S7_PKT4_PKT5_S5_PT6_21rocsparse_index_base_b
		.amdhsa_group_segment_fixed_size 0
		.amdhsa_private_segment_fixed_size 0
		.amdhsa_kernarg_size 96
		.amdhsa_user_sgpr_count 2
		.amdhsa_user_sgpr_dispatch_ptr 0
		.amdhsa_user_sgpr_queue_ptr 0
		.amdhsa_user_sgpr_kernarg_segment_ptr 1
		.amdhsa_user_sgpr_dispatch_id 0
		.amdhsa_user_sgpr_private_segment_size 0
		.amdhsa_wavefront_size32 1
		.amdhsa_uses_dynamic_stack 0
		.amdhsa_enable_private_segment 0
		.amdhsa_system_sgpr_workgroup_id_x 1
		.amdhsa_system_sgpr_workgroup_id_y 0
		.amdhsa_system_sgpr_workgroup_id_z 0
		.amdhsa_system_sgpr_workgroup_info 0
		.amdhsa_system_vgpr_workitem_id 0
		.amdhsa_next_free_vgpr 99
		.amdhsa_next_free_sgpr 18
		.amdhsa_reserve_vcc 1
		.amdhsa_float_round_mode_32 0
		.amdhsa_float_round_mode_16_64 0
		.amdhsa_float_denorm_mode_32 3
		.amdhsa_float_denorm_mode_16_64 3
		.amdhsa_fp16_overflow 0
		.amdhsa_workgroup_processor_mode 1
		.amdhsa_memory_ordered 1
		.amdhsa_forward_progress 1
		.amdhsa_inst_pref_size 35
		.amdhsa_round_robin_scheduling 0
		.amdhsa_exception_fp_ieee_invalid_op 0
		.amdhsa_exception_fp_denorm_src 0
		.amdhsa_exception_fp_ieee_div_zero 0
		.amdhsa_exception_fp_ieee_overflow 0
		.amdhsa_exception_fp_ieee_underflow 0
		.amdhsa_exception_fp_ieee_inexact 0
		.amdhsa_exception_int_div_zero 0
	.end_amdhsa_kernel
	.section	.text._ZN9rocsparseL18bsrxmvn_4x4_kernelILj128ELj4EflifffEEvT3_20rocsparse_direction_NS_24const_host_device_scalarIT1_EES1_PKS1_PKT2_SA_S7_PKT4_PKT5_S5_PT6_21rocsparse_index_base_b,"axG",@progbits,_ZN9rocsparseL18bsrxmvn_4x4_kernelILj128ELj4EflifffEEvT3_20rocsparse_direction_NS_24const_host_device_scalarIT1_EES1_PKS1_PKT2_SA_S7_PKT4_PKT5_S5_PT6_21rocsparse_index_base_b,comdat
.Lfunc_end20:
	.size	_ZN9rocsparseL18bsrxmvn_4x4_kernelILj128ELj4EflifffEEvT3_20rocsparse_direction_NS_24const_host_device_scalarIT1_EES1_PKS1_PKT2_SA_S7_PKT4_PKT5_S5_PT6_21rocsparse_index_base_b, .Lfunc_end20-_ZN9rocsparseL18bsrxmvn_4x4_kernelILj128ELj4EflifffEEvT3_20rocsparse_direction_NS_24const_host_device_scalarIT1_EES1_PKS1_PKT2_SA_S7_PKT4_PKT5_S5_PT6_21rocsparse_index_base_b
                                        ; -- End function
	.set _ZN9rocsparseL18bsrxmvn_4x4_kernelILj128ELj4EflifffEEvT3_20rocsparse_direction_NS_24const_host_device_scalarIT1_EES1_PKS1_PKT2_SA_S7_PKT4_PKT5_S5_PT6_21rocsparse_index_base_b.num_vgpr, 99
	.set _ZN9rocsparseL18bsrxmvn_4x4_kernelILj128ELj4EflifffEEvT3_20rocsparse_direction_NS_24const_host_device_scalarIT1_EES1_PKS1_PKT2_SA_S7_PKT4_PKT5_S5_PT6_21rocsparse_index_base_b.num_agpr, 0
	.set _ZN9rocsparseL18bsrxmvn_4x4_kernelILj128ELj4EflifffEEvT3_20rocsparse_direction_NS_24const_host_device_scalarIT1_EES1_PKS1_PKT2_SA_S7_PKT4_PKT5_S5_PT6_21rocsparse_index_base_b.numbered_sgpr, 18
	.set _ZN9rocsparseL18bsrxmvn_4x4_kernelILj128ELj4EflifffEEvT3_20rocsparse_direction_NS_24const_host_device_scalarIT1_EES1_PKS1_PKT2_SA_S7_PKT4_PKT5_S5_PT6_21rocsparse_index_base_b.num_named_barrier, 0
	.set _ZN9rocsparseL18bsrxmvn_4x4_kernelILj128ELj4EflifffEEvT3_20rocsparse_direction_NS_24const_host_device_scalarIT1_EES1_PKS1_PKT2_SA_S7_PKT4_PKT5_S5_PT6_21rocsparse_index_base_b.private_seg_size, 0
	.set _ZN9rocsparseL18bsrxmvn_4x4_kernelILj128ELj4EflifffEEvT3_20rocsparse_direction_NS_24const_host_device_scalarIT1_EES1_PKS1_PKT2_SA_S7_PKT4_PKT5_S5_PT6_21rocsparse_index_base_b.uses_vcc, 1
	.set _ZN9rocsparseL18bsrxmvn_4x4_kernelILj128ELj4EflifffEEvT3_20rocsparse_direction_NS_24const_host_device_scalarIT1_EES1_PKS1_PKT2_SA_S7_PKT4_PKT5_S5_PT6_21rocsparse_index_base_b.uses_flat_scratch, 0
	.set _ZN9rocsparseL18bsrxmvn_4x4_kernelILj128ELj4EflifffEEvT3_20rocsparse_direction_NS_24const_host_device_scalarIT1_EES1_PKS1_PKT2_SA_S7_PKT4_PKT5_S5_PT6_21rocsparse_index_base_b.has_dyn_sized_stack, 0
	.set _ZN9rocsparseL18bsrxmvn_4x4_kernelILj128ELj4EflifffEEvT3_20rocsparse_direction_NS_24const_host_device_scalarIT1_EES1_PKS1_PKT2_SA_S7_PKT4_PKT5_S5_PT6_21rocsparse_index_base_b.has_recursion, 0
	.set _ZN9rocsparseL18bsrxmvn_4x4_kernelILj128ELj4EflifffEEvT3_20rocsparse_direction_NS_24const_host_device_scalarIT1_EES1_PKS1_PKT2_SA_S7_PKT4_PKT5_S5_PT6_21rocsparse_index_base_b.has_indirect_call, 0
	.section	.AMDGPU.csdata,"",@progbits
; Kernel info:
; codeLenInByte = 4368
; TotalNumSgprs: 20
; NumVgprs: 99
; ScratchSize: 0
; MemoryBound: 0
; FloatMode: 240
; IeeeMode: 1
; LDSByteSize: 0 bytes/workgroup (compile time only)
; SGPRBlocks: 0
; VGPRBlocks: 12
; NumSGPRsForWavesPerEU: 20
; NumVGPRsForWavesPerEU: 99
; Occupancy: 12
; WaveLimiterHint : 1
; COMPUTE_PGM_RSRC2:SCRATCH_EN: 0
; COMPUTE_PGM_RSRC2:USER_SGPR: 2
; COMPUTE_PGM_RSRC2:TRAP_HANDLER: 0
; COMPUTE_PGM_RSRC2:TGID_X_EN: 1
; COMPUTE_PGM_RSRC2:TGID_Y_EN: 0
; COMPUTE_PGM_RSRC2:TGID_Z_EN: 0
; COMPUTE_PGM_RSRC2:TIDIG_COMP_CNT: 0
	.section	.text._ZN9rocsparseL18bsrxmvn_4x4_kernelILj128ELj8EflifffEEvT3_20rocsparse_direction_NS_24const_host_device_scalarIT1_EES1_PKS1_PKT2_SA_S7_PKT4_PKT5_S5_PT6_21rocsparse_index_base_b,"axG",@progbits,_ZN9rocsparseL18bsrxmvn_4x4_kernelILj128ELj8EflifffEEvT3_20rocsparse_direction_NS_24const_host_device_scalarIT1_EES1_PKS1_PKT2_SA_S7_PKT4_PKT5_S5_PT6_21rocsparse_index_base_b,comdat
	.globl	_ZN9rocsparseL18bsrxmvn_4x4_kernelILj128ELj8EflifffEEvT3_20rocsparse_direction_NS_24const_host_device_scalarIT1_EES1_PKS1_PKT2_SA_S7_PKT4_PKT5_S5_PT6_21rocsparse_index_base_b ; -- Begin function _ZN9rocsparseL18bsrxmvn_4x4_kernelILj128ELj8EflifffEEvT3_20rocsparse_direction_NS_24const_host_device_scalarIT1_EES1_PKS1_PKT2_SA_S7_PKT4_PKT5_S5_PT6_21rocsparse_index_base_b
	.p2align	8
	.type	_ZN9rocsparseL18bsrxmvn_4x4_kernelILj128ELj8EflifffEEvT3_20rocsparse_direction_NS_24const_host_device_scalarIT1_EES1_PKS1_PKT2_SA_S7_PKT4_PKT5_S5_PT6_21rocsparse_index_base_b,@function
_ZN9rocsparseL18bsrxmvn_4x4_kernelILj128ELj8EflifffEEvT3_20rocsparse_direction_NS_24const_host_device_scalarIT1_EES1_PKS1_PKT2_SA_S7_PKT4_PKT5_S5_PT6_21rocsparse_index_base_b: ; @_ZN9rocsparseL18bsrxmvn_4x4_kernelILj128ELj8EflifffEEvT3_20rocsparse_direction_NS_24const_host_device_scalarIT1_EES1_PKS1_PKT2_SA_S7_PKT4_PKT5_S5_PT6_21rocsparse_index_base_b
; %bb.0:
	s_clause 0x2
	s_load_b64 s[16:17], s[0:1], 0x58
	s_load_b64 s[14:15], s[0:1], 0x8
	;; [unrolled: 1-line block ×3, first 2 shown]
	s_wait_kmcnt 0x0
	s_bitcmp1_b32 s17, 0
	s_cselect_b32 s2, -1, 0
	s_delay_alu instid0(SALU_CYCLE_1)
	s_and_b32 vcc_lo, exec_lo, s2
	s_xor_b32 s2, s2, -1
	s_cbranch_vccnz .LBB21_2
; %bb.1:
	s_load_b32 s14, s[14:15], 0x0
.LBB21_2:
	s_and_not1_b32 vcc_lo, exec_lo, s2
	s_cbranch_vccnz .LBB21_4
; %bb.3:
	s_load_b32 s12, s[12:13], 0x0
.LBB21_4:
	s_wait_kmcnt 0x0
	s_cmp_neq_f32 s14, 0
	s_mov_b32 s6, 0
	s_cselect_b32 s2, -1, 0
	s_cmp_neq_f32 s12, 1.0
	s_cselect_b32 s3, -1, 0
	s_delay_alu instid0(SALU_CYCLE_1) | instskip(NEXT) | instid1(SALU_CYCLE_1)
	s_or_b32 s2, s2, s3
	s_and_not1_b32 vcc_lo, exec_lo, s2
	s_cbranch_vccnz .LBB21_10
; %bb.5:
	s_clause 0x1
	s_load_b64 s[4:5], s[0:1], 0x18
	s_load_b64 s[2:3], s[0:1], 0x0
	v_lshrrev_b32_e32 v1, 3, v0
	s_delay_alu instid0(VALU_DEP_1)
	v_lshl_or_b32 v4, ttmp9, 4, v1
	s_wait_kmcnt 0x0
	s_cmp_lg_u64 s[4:5], 0
	s_cbranch_scc0 .LBB21_11
; %bb.6:
	s_load_b32 s6, s[0:1], 0x10
	s_mov_b32 s7, 0
                                        ; implicit-def: $vgpr1
	s_wait_kmcnt 0x0
	v_cmp_gt_i32_e32 vcc_lo, s6, v4
	s_mov_b32 s6, 0
	s_and_saveexec_b32 s8, vcc_lo
	s_delay_alu instid0(SALU_CYCLE_1)
	s_xor_b32 s8, exec_lo, s8
	s_cbranch_execz .LBB21_8
; %bb.7:
	v_ashrrev_i32_e32 v5, 31, v4
	s_mov_b32 s6, exec_lo
	s_delay_alu instid0(VALU_DEP_1) | instskip(NEXT) | instid1(VALU_DEP_1)
	v_lshlrev_b64_e32 v[1:2], 2, v[4:5]
	v_add_co_u32 v1, vcc_lo, s4, v1
	s_delay_alu instid0(VALU_DEP_1)
	v_add_co_ci_u32_e64 v2, null, s5, v2, vcc_lo
	global_load_b32 v1, v[1:2], off
	s_wait_loadcnt 0x0
	v_subrev_nc_u32_e32 v1, s16, v1
.LBB21_8:
	s_or_b32 exec_lo, exec_lo, s8
	s_delay_alu instid0(SALU_CYCLE_1)
	s_and_b32 vcc_lo, exec_lo, s7
	s_wait_alu 0xfffe
	s_cbranch_vccz .LBB21_12
.LBB21_9:
	v_cmp_gt_i32_e32 vcc_lo, s2, v4
	s_and_not1_b32 s2, s6, exec_lo
	s_and_b32 s4, vcc_lo, exec_lo
	s_wait_alu 0xfffe
	s_or_b32 s6, s2, s4
	s_wait_alu 0xfffe
	s_and_saveexec_b32 s2, s6
	s_cbranch_execnz .LBB21_13
.LBB21_10:
	s_nop 0
	s_sendmsg sendmsg(MSG_DEALLOC_VGPRS)
	s_endpgm
.LBB21_11:
                                        ; implicit-def: $vgpr1
	s_cbranch_execnz .LBB21_9
.LBB21_12:
	v_mov_b32_e32 v4, v1
	s_and_saveexec_b32 s2, s6
	s_cbranch_execz .LBB21_10
.LBB21_13:
	s_load_b256 s[4:11], s[0:1], 0x20
	s_delay_alu instid0(VALU_DEP_1) | instskip(SKIP_1) | instid1(VALU_DEP_2)
	v_ashrrev_i32_e32 v5, 31, v4
	v_dual_mov_b32 v22, 0 :: v_dual_and_b32 v21, 7, v0
	v_lshlrev_b64_e32 v[1:2], 3, v[4:5]
	s_wait_kmcnt 0x0
	s_delay_alu instid0(VALU_DEP_1) | instskip(SKIP_1) | instid1(VALU_DEP_2)
	v_add_co_u32 v5, vcc_lo, s4, v1
	s_wait_alu 0xfffd
	v_add_co_ci_u32_e64 v6, null, s5, v2, vcc_lo
	v_add_co_u32 v1, vcc_lo, s6, v1
	s_wait_alu 0xfffd
	v_add_co_ci_u32_e64 v2, null, s7, v2, vcc_lo
	v_add_co_u32 v3, vcc_lo, v5, 8
	global_load_b64 v[9:10], v[5:6], off
	s_wait_alu 0xfffd
	v_add_co_ci_u32_e64 v7, null, 0, v6, vcc_lo
	s_cmp_eq_u64 s[6:7], 0
	s_load_b64 s[6:7], s[0:1], 0x40
	s_cselect_b32 vcc_lo, -1, 0
	s_cmp_eq_u32 s3, 1
	s_wait_alu 0xfffe
	v_cndmask_b32_e32 v2, v2, v7, vcc_lo
	v_cndmask_b32_e32 v1, v1, v3, vcc_lo
	global_load_b64 v[2:3], v[1:2], off
	s_wait_loadcnt 0x1
	v_sub_co_u32 v0, vcc_lo, v9, s16
	s_wait_alu 0xfffd
	v_subrev_co_ci_u32_e64 v1, null, 0, v10, vcc_lo
	s_delay_alu instid0(VALU_DEP_2) | instskip(SKIP_1) | instid1(VALU_DEP_2)
	v_add_co_u32 v0, vcc_lo, v0, v21
	s_wait_alu 0xfffd
	v_add_co_ci_u32_e64 v1, null, 0, v1, vcc_lo
	s_delay_alu instid0(VALU_DEP_1) | instskip(SKIP_4) | instid1(VALU_DEP_3)
	v_lshlrev_b64_e32 v[5:6], 6, v[0:1]
	s_wait_loadcnt 0x0
	v_sub_co_u32 v2, vcc_lo, v2, s16
	s_wait_alu 0xfffd
	v_subrev_co_ci_u32_e64 v3, null, 0, v3, vcc_lo
	v_add_co_u32 v5, vcc_lo, s10, v5
	s_delay_alu instid0(VALU_DEP_2)
	v_cmp_lt_i64_e64 s2, v[0:1], v[2:3]
	s_wait_alu 0xfffd
	v_add_co_ci_u32_e64 v6, null, s11, v6, vcc_lo
	s_cbranch_scc1 .LBB21_25
; %bb.14:
	v_dual_mov_b32 v23, 0 :: v_dual_mov_b32 v24, 0
	v_mov_b32_e32 v8, 0
	s_and_saveexec_b32 s5, s2
	s_cbranch_execz .LBB21_24
; %bb.15:
	v_or_b32_e32 v7, 8, v21
	v_not_b32_e32 v12, v9
	v_not_b32_e32 v11, v10
	s_delay_alu instid0(VALU_DEP_3) | instskip(SKIP_3) | instid1(VALU_DEP_3)
	v_sub_co_u32 v7, s3, v7, s16
	s_wait_alu 0xf1ff
	v_sub_co_ci_u32_e64 v8, null, 0, 0, s3
	v_sub_co_u32 v13, s3, s16, v21
	v_add_co_u32 v7, vcc_lo, v7, v9
	s_wait_alu 0xfffd
	s_delay_alu instid0(VALU_DEP_3)
	v_add_co_ci_u32_e64 v8, null, v8, v10, vcc_lo
	s_wait_alu 0xf1ff
	v_sub_co_ci_u32_e64 v14, null, 0, 0, s3
	s_mov_b32 s3, exec_lo
	v_cmp_gt_i64_e32 vcc_lo, v[7:8], v[2:3]
	s_wait_alu 0xfffd
	v_dual_cndmask_b32 v16, v3, v8 :: v_dual_cndmask_b32 v7, v2, v7
	v_add_co_u32 v8, vcc_lo, v13, v12
	s_wait_alu 0xfffd
	v_add_co_ci_u32_e64 v11, null, v14, v11, vcc_lo
	v_mov_b32_e32 v14, v6
	s_delay_alu instid0(VALU_DEP_3) | instskip(SKIP_4) | instid1(VALU_DEP_3)
	v_add_co_u32 v15, vcc_lo, v8, v7
	v_mov_b32_e32 v8, 0
	s_wait_alu 0xfffd
	v_add_co_ci_u32_e64 v16, null, v11, v16, vcc_lo
	v_dual_mov_b32 v12, v1 :: v_dual_mov_b32 v13, v5
	v_dual_mov_b32 v24, v8 :: v_dual_and_b32 v7, 24, v15
	v_dual_mov_b32 v23, v8 :: v_dual_mov_b32 v22, v8
	v_mov_b32_e32 v11, v0
	s_delay_alu instid0(VALU_DEP_3)
	v_cmpx_ne_u64_e32 24, v[7:8]
	s_cbranch_execz .LBB21_19
; %bb.16:
	v_lshrrev_b32_e32 v7, 3, v15
	v_mov_b32_e32 v22, 0
	v_dual_mov_b32 v14, v6 :: v_dual_mov_b32 v13, v5
	v_dual_mov_b32 v12, v1 :: v_dual_mov_b32 v11, v0
	s_delay_alu instid0(VALU_DEP_4) | instskip(SKIP_2) | instid1(VALU_DEP_3)
	v_add_nc_u32_e32 v17, 1, v7
	v_lshlrev_b64_e32 v[7:8], 2, v[0:1]
	v_dual_mov_b32 v23, 0 :: v_dual_mov_b32 v24, 0
	v_and_b32_e32 v19, 3, v17
	s_delay_alu instid0(VALU_DEP_3) | instskip(SKIP_1) | instid1(VALU_DEP_4)
	v_add_co_u32 v17, vcc_lo, s8, v7
	s_wait_alu 0xfffd
	v_add_co_ci_u32_e64 v18, null, s9, v8, vcc_lo
	v_mov_b32_e32 v8, 0
	v_sub_co_u32 v19, s4, 0, v19
	s_wait_alu 0xf1ff
	v_sub_co_ci_u32_e64 v20, null, 0, 0, s4
	s_mov_b32 s4, 0
.LBB21_17:                              ; =>This Inner Loop Header: Depth=1
	global_load_b32 v7, v[17:18], off
	s_clause 0x3
	global_load_b128 v[25:28], v[13:14], off offset:48
	global_load_b128 v[29:32], v[13:14], off offset:32
	;; [unrolled: 1-line block ×3, first 2 shown]
	global_load_b128 v[37:40], v[13:14], off
	s_wait_loadcnt 0x4
	v_subrev_nc_u32_e32 v7, s16, v7
	s_delay_alu instid0(VALU_DEP_1) | instskip(NEXT) | instid1(VALU_DEP_1)
	v_lshlrev_b32_e32 v41, 2, v7
	v_ashrrev_i32_e32 v42, 31, v41
	s_delay_alu instid0(VALU_DEP_1) | instskip(SKIP_1) | instid1(VALU_DEP_1)
	v_lshlrev_b64_e32 v[41:42], 2, v[41:42]
	s_wait_kmcnt 0x0
	v_add_co_u32 v41, vcc_lo, s6, v41
	s_wait_alu 0xfffd
	s_delay_alu instid0(VALU_DEP_2)
	v_add_co_ci_u32_e64 v42, null, s7, v42, vcc_lo
	v_add_co_u32 v13, vcc_lo, 0x200, v13
	s_wait_alu 0xfffd
	v_add_co_ci_u32_e64 v14, null, 0, v14, vcc_lo
	global_load_b128 v[41:44], v[41:42], off
	v_add_co_u32 v11, vcc_lo, v11, 8
	s_wait_alu 0xfffd
	v_add_co_ci_u32_e64 v12, null, 0, v12, vcc_lo
	v_add_co_u32 v17, vcc_lo, v17, 32
	s_wait_alu 0xfffd
	v_add_co_ci_u32_e64 v18, null, 0, v18, vcc_lo
	;; [unrolled: 3-line block ×3, first 2 shown]
	s_delay_alu instid0(VALU_DEP_1) | instskip(SKIP_4) | instid1(VALU_DEP_1)
	v_cmp_eq_u64_e32 vcc_lo, 0, v[19:20]
	s_wait_alu 0xfffe
	s_or_b32 s4, vcc_lo, s4
	s_wait_loadcnt 0x0
	v_fmac_f32_e32 v23, v29, v41
	v_dual_fmac_f32 v8, v37, v41 :: v_dual_fmac_f32 v23, v30, v42
	v_fmac_f32_e32 v24, v33, v41
	s_delay_alu instid0(VALU_DEP_2) | instskip(SKIP_1) | instid1(VALU_DEP_3)
	v_dual_fmac_f32 v8, v38, v42 :: v_dual_fmac_f32 v23, v31, v43
	v_fmac_f32_e32 v22, v25, v41
	v_fmac_f32_e32 v24, v34, v42
	s_delay_alu instid0(VALU_DEP_3) | instskip(NEXT) | instid1(VALU_DEP_3)
	v_dual_fmac_f32 v8, v39, v43 :: v_dual_fmac_f32 v23, v32, v44
	v_fmac_f32_e32 v22, v26, v42
	s_delay_alu instid0(VALU_DEP_3) | instskip(NEXT) | instid1(VALU_DEP_3)
	v_fmac_f32_e32 v24, v35, v43
	v_fmac_f32_e32 v8, v40, v44
	s_delay_alu instid0(VALU_DEP_3) | instskip(NEXT) | instid1(VALU_DEP_3)
	v_fmac_f32_e32 v22, v27, v43
	v_fmac_f32_e32 v24, v36, v44
	s_delay_alu instid0(VALU_DEP_2)
	v_fmac_f32_e32 v22, v28, v44
	s_wait_alu 0xfffe
	s_and_not1_b32 exec_lo, exec_lo, s4
	s_cbranch_execnz .LBB21_17
; %bb.18:
	s_or_b32 exec_lo, exec_lo, s4
.LBB21_19:
	s_wait_alu 0xfffe
	s_or_b32 exec_lo, exec_lo, s3
	s_delay_alu instid0(SALU_CYCLE_1)
	s_mov_b32 s10, exec_lo
	v_cmpx_lt_u64_e32 23, v[15:16]
	s_cbranch_execz .LBB21_23
; %bb.20:
	v_lshlrev_b64_e32 v[15:16], 2, v[11:12]
	s_mov_b32 s11, 0
	s_delay_alu instid0(VALU_DEP_1) | instskip(SKIP_1) | instid1(VALU_DEP_2)
	v_add_co_u32 v7, vcc_lo, s8, v15
	s_wait_alu 0xfffd
	v_add_co_ci_u32_e64 v16, null, s9, v16, vcc_lo
	s_delay_alu instid0(VALU_DEP_2) | instskip(SKIP_1) | instid1(VALU_DEP_2)
	v_add_co_u32 v15, vcc_lo, v7, 64
	s_wait_alu 0xfffd
	v_add_co_ci_u32_e64 v16, null, 0, v16, vcc_lo
.LBB21_21:                              ; =>This Inner Loop Header: Depth=1
	s_clause 0x3
	global_load_b32 v7, v[15:16], off offset:-64
	global_load_b32 v85, v[15:16], off offset:-32
	global_load_b32 v86, v[15:16], off
	global_load_b32 v87, v[15:16], off offset:32
	s_clause 0xf
	global_load_b128 v[17:20], v[13:14], off offset:48
	global_load_b128 v[25:28], v[13:14], off offset:32
	;; [unrolled: 1-line block ×3, first 2 shown]
	global_load_b128 v[33:36], v[13:14], off
	global_load_b128 v[37:40], v[13:14], off offset:560
	global_load_b128 v[41:44], v[13:14], off offset:544
	;; [unrolled: 1-line block ×12, first 2 shown]
	v_add_co_u32 v11, s3, v11, 32
	s_wait_alu 0xf1ff
	v_add_co_ci_u32_e64 v12, null, 0, v12, s3
	v_add_co_u32 v15, s4, 0x80, v15
	s_wait_alu 0xf1ff
	v_add_co_ci_u32_e64 v16, null, 0, v16, s4
	s_wait_loadcnt 0x13
	v_subrev_nc_u32_e32 v7, s16, v7
	s_wait_loadcnt 0x12
	v_subrev_nc_u32_e32 v88, s16, v85
	;; [unrolled: 2-line block ×4, first 2 shown]
	v_lshlrev_b32_e32 v85, 2, v7
	v_lshlrev_b32_e32 v89, 2, v88
	;; [unrolled: 1-line block ×3, first 2 shown]
	s_delay_alu instid0(VALU_DEP_4) | instskip(NEXT) | instid1(VALU_DEP_4)
	v_lshlrev_b32_e32 v95, 2, v87
	v_ashrrev_i32_e32 v86, 31, v85
	s_delay_alu instid0(VALU_DEP_4) | instskip(NEXT) | instid1(VALU_DEP_2)
	v_ashrrev_i32_e32 v90, 31, v89
	v_lshlrev_b64_e32 v[85:86], 2, v[85:86]
	s_delay_alu instid0(VALU_DEP_2) | instskip(SKIP_1) | instid1(VALU_DEP_2)
	v_lshlrev_b64_e32 v[89:90], 2, v[89:90]
	s_wait_kmcnt 0x0
	v_add_co_u32 v85, vcc_lo, s6, v85
	s_wait_alu 0xfffd
	s_delay_alu instid0(VALU_DEP_3) | instskip(NEXT) | instid1(VALU_DEP_3)
	v_add_co_ci_u32_e64 v86, null, s7, v86, vcc_lo
	v_add_co_u32 v89, vcc_lo, s6, v89
	s_wait_alu 0xfffd
	v_add_co_ci_u32_e64 v90, null, s7, v90, vcc_lo
	s_clause 0x1
	global_load_b128 v[85:88], v[85:86], off
	global_load_b128 v[89:92], v[89:90], off
	s_wait_loadcnt 0x1
	v_fmac_f32_e32 v8, v33, v85
	v_fmac_f32_e32 v23, v25, v85
	;; [unrolled: 1-line block ×3, first 2 shown]
	s_delay_alu instid0(VALU_DEP_3) | instskip(NEXT) | instid1(VALU_DEP_3)
	v_fmac_f32_e32 v8, v34, v86
	v_dual_fmac_f32 v23, v26, v86 :: v_dual_fmac_f32 v22, v17, v85
	s_delay_alu instid0(VALU_DEP_3) | instskip(NEXT) | instid1(VALU_DEP_3)
	v_fmac_f32_e32 v24, v30, v86
	v_fmac_f32_e32 v8, v35, v87
	v_ashrrev_i32_e32 v94, 31, v93
	s_delay_alu instid0(VALU_DEP_4) | instskip(NEXT) | instid1(VALU_DEP_3)
	v_dual_fmac_f32 v23, v27, v87 :: v_dual_fmac_f32 v22, v18, v86
	v_fmac_f32_e32 v8, v36, v88
	v_ashrrev_i32_e32 v96, 31, v95
	s_delay_alu instid0(VALU_DEP_4) | instskip(NEXT) | instid1(VALU_DEP_4)
	v_lshlrev_b64_e32 v[93:94], 2, v[93:94]
	v_dual_fmac_f32 v23, v28, v88 :: v_dual_fmac_f32 v24, v31, v87
	s_delay_alu instid0(VALU_DEP_3) | instskip(NEXT) | instid1(VALU_DEP_3)
	v_lshlrev_b64_e32 v[95:96], 2, v[95:96]
	v_add_co_u32 v93, vcc_lo, s6, v93
	s_wait_alu 0xfffd
	s_delay_alu instid0(VALU_DEP_4) | instskip(NEXT) | instid1(VALU_DEP_3)
	v_add_co_ci_u32_e64 v94, null, s7, v94, vcc_lo
	v_add_co_u32 v97, vcc_lo, s6, v95
	s_wait_alu 0xfffd
	v_add_co_ci_u32_e64 v98, null, s7, v96, vcc_lo
	global_load_b128 v[93:96], v[93:94], off
	s_wait_loadcnt 0x1
	v_dual_fmac_f32 v23, v41, v89 :: v_dual_fmac_f32 v22, v19, v87
	global_load_b128 v[33:36], v[97:98], off
	v_add_co_u32 v13, vcc_lo, 0x800, v13
	v_dual_fmac_f32 v23, v42, v90 :: v_dual_fmac_f32 v24, v32, v88
	s_wait_alu 0xfffd
	v_add_co_ci_u32_e64 v14, null, 0, v14, vcc_lo
	v_cmp_ge_i64_e32 vcc_lo, v[11:12], v[2:3]
	s_delay_alu instid0(VALU_DEP_3) | instskip(NEXT) | instid1(VALU_DEP_1)
	v_dual_fmac_f32 v23, v43, v91 :: v_dual_fmac_f32 v8, v49, v89
	v_fmac_f32_e32 v23, v44, v92
	v_fmac_f32_e32 v22, v20, v88
	s_wait_alu 0xfffe
	s_or_b32 s11, vcc_lo, s11
	s_wait_loadcnt 0x1
	v_fmac_f32_e32 v23, v57, v93
	s_delay_alu instid0(VALU_DEP_1) | instskip(NEXT) | instid1(VALU_DEP_1)
	v_dual_fmac_f32 v24, v45, v89 :: v_dual_fmac_f32 v23, v58, v94
	v_dual_fmac_f32 v22, v37, v89 :: v_dual_fmac_f32 v23, v59, v95
	s_delay_alu instid0(VALU_DEP_1) | instskip(SKIP_1) | instid1(VALU_DEP_1)
	v_dual_fmac_f32 v8, v50, v90 :: v_dual_fmac_f32 v23, v60, v96
	s_wait_loadcnt 0x0
	v_dual_fmac_f32 v24, v46, v90 :: v_dual_fmac_f32 v23, v73, v33
	s_delay_alu instid0(VALU_DEP_1) | instskip(SKIP_1) | instid1(VALU_DEP_2)
	v_dual_fmac_f32 v8, v51, v91 :: v_dual_fmac_f32 v23, v74, v34
	v_fmac_f32_e32 v22, v38, v90
	v_dual_fmac_f32 v8, v52, v92 :: v_dual_fmac_f32 v23, v75, v35
	s_delay_alu instid0(VALU_DEP_4) | instskip(NEXT) | instid1(VALU_DEP_3)
	v_fmac_f32_e32 v24, v47, v91
	v_fmac_f32_e32 v22, v39, v91
	s_delay_alu instid0(VALU_DEP_3) | instskip(NEXT) | instid1(VALU_DEP_3)
	v_dual_fmac_f32 v8, v65, v93 :: v_dual_fmac_f32 v23, v76, v36
	v_fmac_f32_e32 v24, v48, v92
	s_delay_alu instid0(VALU_DEP_3) | instskip(NEXT) | instid1(VALU_DEP_3)
	v_fmac_f32_e32 v22, v40, v92
	v_fmac_f32_e32 v8, v66, v94
	s_delay_alu instid0(VALU_DEP_3) | instskip(NEXT) | instid1(VALU_DEP_3)
	v_fmac_f32_e32 v24, v61, v93
	;; [unrolled: 3-line block ×11, first 2 shown]
	v_fmac_f32_e32 v22, v71, v35
	s_delay_alu instid0(VALU_DEP_2) | instskip(NEXT) | instid1(VALU_DEP_2)
	v_fmac_f32_e32 v24, v80, v36
	v_fmac_f32_e32 v22, v72, v36
	s_wait_alu 0xfffe
	s_and_not1_b32 exec_lo, exec_lo, s11
	s_cbranch_execnz .LBB21_21
; %bb.22:
	s_or_b32 exec_lo, exec_lo, s11
.LBB21_23:
	s_wait_alu 0xfffe
	s_or_b32 exec_lo, exec_lo, s10
.LBB21_24:
	s_wait_alu 0xfffe
	s_or_b32 exec_lo, exec_lo, s5
	s_cbranch_execz .LBB21_26
	s_branch .LBB21_37
.LBB21_25:
                                        ; implicit-def: $vgpr22
                                        ; implicit-def: $vgpr23
                                        ; implicit-def: $vgpr24
                                        ; implicit-def: $vgpr8
.LBB21_26:
	v_dual_mov_b32 v22, 0 :: v_dual_mov_b32 v23, 0
	v_mov_b32_e32 v24, 0
	v_mov_b32_e32 v8, 0
	s_and_saveexec_b32 s3, s2
	s_cbranch_execz .LBB21_36
; %bb.27:
	v_or_b32_e32 v7, 8, v21
	s_delay_alu instid0(VALU_DEP_1) | instskip(SKIP_3) | instid1(VALU_DEP_3)
	v_sub_co_u32 v7, s2, v7, s16
	s_wait_alu 0xf1ff
	v_sub_co_ci_u32_e64 v8, null, 0, 0, s2
	v_sub_co_u32 v11, s2, s16, v21
	v_add_co_u32 v7, vcc_lo, v7, v9
	s_wait_alu 0xfffd
	s_delay_alu instid0(VALU_DEP_3)
	v_add_co_ci_u32_e64 v8, null, v8, v10, vcc_lo
	v_not_b32_e32 v9, v9
	v_not_b32_e32 v10, v10
	s_wait_alu 0xf1ff
	v_sub_co_ci_u32_e64 v12, null, 0, 0, s2
	v_cmp_gt_i64_e32 vcc_lo, v[7:8], v[2:3]
	s_mov_b32 s2, exec_lo
	s_wait_alu 0xfffd
	v_cndmask_b32_e32 v13, v3, v8, vcc_lo
	v_cndmask_b32_e32 v7, v2, v7, vcc_lo
	v_add_co_u32 v8, vcc_lo, v11, v9
	s_wait_alu 0xfffd
	v_add_co_ci_u32_e64 v10, null, v12, v10, vcc_lo
	s_delay_alu instid0(VALU_DEP_2) | instskip(SKIP_2) | instid1(VALU_DEP_3)
	v_add_co_u32 v9, vcc_lo, v8, v7
	v_mov_b32_e32 v8, 0
	s_wait_alu 0xfffd
	v_add_co_ci_u32_e64 v10, null, v10, v13, vcc_lo
	s_delay_alu instid0(VALU_DEP_2) | instskip(SKIP_1) | instid1(VALU_DEP_2)
	v_dual_mov_b32 v22, v8 :: v_dual_and_b32 v7, 24, v9
	v_dual_mov_b32 v24, v8 :: v_dual_mov_b32 v23, v8
	v_cmpx_ne_u64_e32 24, v[7:8]
	s_cbranch_execz .LBB21_31
; %bb.28:
	v_lshrrev_b32_e32 v7, 3, v9
	v_dual_mov_b32 v23, 0 :: v_dual_mov_b32 v24, 0
	s_delay_alu instid0(VALU_DEP_2) | instskip(SKIP_1) | instid1(VALU_DEP_2)
	v_dual_mov_b32 v22, 0 :: v_dual_add_nc_u32 v11, 1, v7
	v_lshlrev_b64_e32 v[7:8], 2, v[0:1]
	v_and_b32_e32 v13, 3, v11
	s_delay_alu instid0(VALU_DEP_2) | instskip(SKIP_1) | instid1(VALU_DEP_3)
	v_add_co_u32 v11, vcc_lo, s8, v7
	s_wait_alu 0xfffd
	v_add_co_ci_u32_e64 v12, null, s9, v8, vcc_lo
	v_mov_b32_e32 v8, 0
	v_sub_co_u32 v13, s4, 0, v13
	s_wait_alu 0xf1ff
	v_sub_co_ci_u32_e64 v14, null, 0, 0, s4
	s_mov_b32 s4, 0
.LBB21_29:                              ; =>This Inner Loop Header: Depth=1
	global_load_b32 v7, v[11:12], off
	s_clause 0x1
	global_load_b128 v[15:18], v[5:6], off offset:16
	global_load_b128 v[25:28], v[5:6], off
	s_wait_loadcnt 0x2
	v_subrev_nc_u32_e32 v7, s16, v7
	s_delay_alu instid0(VALU_DEP_1) | instskip(NEXT) | instid1(VALU_DEP_1)
	v_lshlrev_b32_e32 v19, 2, v7
	v_ashrrev_i32_e32 v20, 31, v19
	s_delay_alu instid0(VALU_DEP_1) | instskip(SKIP_1) | instid1(VALU_DEP_1)
	v_lshlrev_b64_e32 v[19:20], 2, v[19:20]
	s_wait_kmcnt 0x0
	v_add_co_u32 v19, vcc_lo, s6, v19
	s_wait_alu 0xfffd
	s_delay_alu instid0(VALU_DEP_2)
	v_add_co_ci_u32_e64 v20, null, s7, v20, vcc_lo
	global_load_b128 v[29:32], v[19:20], off
	s_clause 0x1
	global_load_b128 v[33:36], v[5:6], off offset:32
	global_load_b128 v[37:40], v[5:6], off offset:48
	v_add_co_u32 v5, vcc_lo, 0x200, v5
	s_wait_alu 0xfffd
	v_add_co_ci_u32_e64 v6, null, 0, v6, vcc_lo
	v_add_co_u32 v0, vcc_lo, v0, 8
	s_wait_alu 0xfffd
	v_add_co_ci_u32_e64 v1, null, 0, v1, vcc_lo
	;; [unrolled: 3-line block ×4, first 2 shown]
	s_delay_alu instid0(VALU_DEP_1)
	v_cmp_eq_u64_e32 vcc_lo, 0, v[13:14]
	s_wait_alu 0xfffe
	s_or_b32 s4, vcc_lo, s4
	s_wait_loadcnt 0x2
	v_fmac_f32_e32 v23, v27, v29
	v_fmac_f32_e32 v8, v25, v29
	s_delay_alu instid0(VALU_DEP_2) | instskip(SKIP_1) | instid1(VALU_DEP_3)
	v_dual_fmac_f32 v24, v26, v29 :: v_dual_fmac_f32 v23, v17, v30
	v_fmac_f32_e32 v22, v28, v29
	v_fmac_f32_e32 v8, v15, v30
	s_wait_loadcnt 0x1
	s_delay_alu instid0(VALU_DEP_3) | instskip(NEXT) | instid1(VALU_DEP_3)
	v_dual_fmac_f32 v24, v16, v30 :: v_dual_fmac_f32 v23, v35, v31
	v_fmac_f32_e32 v22, v18, v30
	s_delay_alu instid0(VALU_DEP_3) | instskip(SKIP_1) | instid1(VALU_DEP_3)
	v_fmac_f32_e32 v8, v33, v31
	s_wait_loadcnt 0x0
	v_dual_fmac_f32 v24, v34, v31 :: v_dual_fmac_f32 v23, v39, v32
	s_delay_alu instid0(VALU_DEP_3) | instskip(NEXT) | instid1(VALU_DEP_3)
	v_fmac_f32_e32 v22, v36, v31
	v_fmac_f32_e32 v8, v37, v32
	s_delay_alu instid0(VALU_DEP_3) | instskip(NEXT) | instid1(VALU_DEP_3)
	v_fmac_f32_e32 v24, v38, v32
	v_fmac_f32_e32 v22, v40, v32
	s_wait_alu 0xfffe
	s_and_not1_b32 exec_lo, exec_lo, s4
	s_cbranch_execnz .LBB21_29
; %bb.30:
	s_or_b32 exec_lo, exec_lo, s4
.LBB21_31:
	s_wait_alu 0xfffe
	s_or_b32 exec_lo, exec_lo, s2
	s_delay_alu instid0(SALU_CYCLE_1)
	s_mov_b32 s2, exec_lo
	v_cmpx_lt_u64_e32 23, v[9:10]
	s_cbranch_execz .LBB21_35
; %bb.32:
	v_lshlrev_b64_e32 v[9:10], 2, v[0:1]
	s_mov_b32 s4, 0
	s_delay_alu instid0(VALU_DEP_1) | instskip(SKIP_1) | instid1(VALU_DEP_2)
	v_add_co_u32 v7, vcc_lo, s8, v9
	s_wait_alu 0xfffd
	v_add_co_ci_u32_e64 v10, null, s9, v10, vcc_lo
	s_delay_alu instid0(VALU_DEP_2) | instskip(SKIP_1) | instid1(VALU_DEP_2)
	v_add_co_u32 v9, vcc_lo, v7, 64
	s_wait_alu 0xfffd
	v_add_co_ci_u32_e64 v10, null, 0, v10, vcc_lo
.LBB21_33:                              ; =>This Inner Loop Header: Depth=1
	s_clause 0x3
	global_load_b32 v7, v[9:10], off offset:-64
	global_load_b32 v19, v[9:10], off offset:-32
	global_load_b32 v20, v[9:10], off
	global_load_b32 v73, v[9:10], off offset:32
	s_clause 0xd
	global_load_b128 v[11:14], v[5:6], off offset:48
	global_load_b128 v[15:18], v[5:6], off offset:32
	;; [unrolled: 1-line block ×3, first 2 shown]
	global_load_b128 v[29:32], v[5:6], off
	global_load_b128 v[33:36], v[5:6], off offset:560
	global_load_b128 v[37:40], v[5:6], off offset:544
	;; [unrolled: 1-line block ×10, first 2 shown]
	s_wait_loadcnt 0x11
	v_subrev_nc_u32_e32 v7, s16, v7
	s_wait_loadcnt 0x10
	v_subrev_nc_u32_e32 v74, s16, v19
	;; [unrolled: 2-line block ×4, first 2 shown]
	v_lshlrev_b32_e32 v19, 2, v7
	v_lshlrev_b32_e32 v77, 2, v74
	;; [unrolled: 1-line block ×3, first 2 shown]
	s_delay_alu instid0(VALU_DEP_4) | instskip(NEXT) | instid1(VALU_DEP_4)
	v_lshlrev_b32_e32 v85, 2, v73
	v_ashrrev_i32_e32 v20, 31, v19
	s_delay_alu instid0(VALU_DEP_1) | instskip(SKIP_1) | instid1(VALU_DEP_1)
	v_lshlrev_b64_e32 v[19:20], 2, v[19:20]
	s_wait_kmcnt 0x0
	v_add_co_u32 v19, vcc_lo, s6, v19
	s_wait_alu 0xfffd
	s_delay_alu instid0(VALU_DEP_2)
	v_add_co_ci_u32_e64 v20, null, s7, v20, vcc_lo
	global_load_b128 v[73:76], v[19:20], off
	s_wait_loadcnt 0x0
	v_fmac_f32_e32 v24, v30, v73
	v_ashrrev_i32_e32 v78, 31, v77
	v_fmac_f32_e32 v22, v32, v73
	v_ashrrev_i32_e32 v82, 31, v81
	v_fmac_f32_e32 v8, v29, v73
	v_dual_fmac_f32 v23, v31, v73 :: v_dual_fmac_f32 v24, v26, v74
	v_lshlrev_b64_e32 v[19:20], 2, v[77:78]
	s_delay_alu instid0(VALU_DEP_3) | instskip(SKIP_1) | instid1(VALU_DEP_4)
	v_fmac_f32_e32 v8, v25, v74
	v_ashrrev_i32_e32 v86, 31, v85
	v_dual_fmac_f32 v23, v27, v74 :: v_dual_fmac_f32 v24, v16, v75
	s_delay_alu instid0(VALU_DEP_4) | instskip(SKIP_2) | instid1(VALU_DEP_3)
	v_add_co_u32 v19, vcc_lo, s6, v19
	s_wait_alu 0xfffd
	v_add_co_ci_u32_e64 v20, null, s7, v20, vcc_lo
	v_dual_fmac_f32 v22, v28, v74 :: v_dual_fmac_f32 v23, v17, v75
	v_fmac_f32_e32 v8, v15, v75
	global_load_b128 v[77:80], v[19:20], off
	v_lshlrev_b64_e32 v[19:20], 2, v[81:82]
	v_dual_fmac_f32 v23, v13, v76 :: v_dual_fmac_f32 v22, v18, v75
	v_fmac_f32_e32 v8, v11, v76
	s_delay_alu instid0(VALU_DEP_3) | instskip(SKIP_1) | instid1(VALU_DEP_4)
	v_add_co_u32 v19, vcc_lo, s6, v19
	s_wait_alu 0xfffd
	v_add_co_ci_u32_e64 v20, null, s7, v20, vcc_lo
	global_load_b128 v[81:84], v[19:20], off
	v_lshlrev_b64_e32 v[19:20], 2, v[85:86]
	s_delay_alu instid0(VALU_DEP_1) | instskip(SKIP_1) | instid1(VALU_DEP_2)
	v_add_co_u32 v19, vcc_lo, s6, v19
	s_wait_alu 0xfffd
	v_add_co_ci_u32_e64 v20, null, s7, v20, vcc_lo
	global_load_b128 v[85:88], v[19:20], off
	s_clause 0x1
	global_load_b128 v[89:92], v[5:6], off offset:1568
	global_load_b128 v[29:32], v[5:6], off offset:1584
	v_add_co_u32 v5, vcc_lo, 0x800, v5
	s_wait_alu 0xfffd
	v_add_co_ci_u32_e64 v6, null, 0, v6, vcc_lo
	v_add_co_u32 v0, vcc_lo, v0, 32
	s_wait_alu 0xfffd
	v_add_co_ci_u32_e64 v1, null, 0, v1, vcc_lo
	;; [unrolled: 3-line block ×3, first 2 shown]
	s_delay_alu instid0(VALU_DEP_3) | instskip(SKIP_4) | instid1(VALU_DEP_1)
	v_cmp_ge_i64_e32 vcc_lo, v[0:1], v[2:3]
	s_wait_alu 0xfffe
	s_or_b32 s4, vcc_lo, s4
	s_wait_loadcnt 0x4
	v_dual_fmac_f32 v23, v47, v77 :: v_dual_fmac_f32 v24, v12, v76
	v_dual_fmac_f32 v23, v43, v78 :: v_dual_fmac_f32 v22, v14, v76
	s_delay_alu instid0(VALU_DEP_1) | instskip(NEXT) | instid1(VALU_DEP_1)
	v_dual_fmac_f32 v23, v39, v79 :: v_dual_fmac_f32 v8, v45, v77
	v_dual_fmac_f32 v23, v35, v80 :: v_dual_fmac_f32 v8, v41, v78
	s_wait_loadcnt 0x3
	s_delay_alu instid0(VALU_DEP_1) | instskip(NEXT) | instid1(VALU_DEP_1)
	v_fmac_f32_e32 v23, v63, v81
	v_dual_fmac_f32 v24, v46, v77 :: v_dual_fmac_f32 v23, v59, v82
	s_delay_alu instid0(VALU_DEP_1) | instskip(NEXT) | instid1(VALU_DEP_1)
	v_dual_fmac_f32 v22, v48, v77 :: v_dual_fmac_f32 v23, v55, v83
	v_dual_fmac_f32 v24, v42, v78 :: v_dual_fmac_f32 v23, v51, v84
	s_wait_loadcnt 0x2
	s_delay_alu instid0(VALU_DEP_1) | instskip(SKIP_1) | instid1(VALU_DEP_2)
	v_dual_fmac_f32 v22, v44, v78 :: v_dual_fmac_f32 v23, v71, v85
	v_fmac_f32_e32 v8, v37, v79
	v_dual_fmac_f32 v22, v40, v79 :: v_dual_fmac_f32 v23, v67, v86
	s_delay_alu instid0(VALU_DEP_2) | instskip(SKIP_1) | instid1(VALU_DEP_2)
	v_fmac_f32_e32 v8, v33, v80
	s_wait_loadcnt 0x1
	v_dual_fmac_f32 v22, v36, v80 :: v_dual_fmac_f32 v23, v91, v87
	v_fmac_f32_e32 v24, v38, v79
	s_delay_alu instid0(VALU_DEP_3) | instskip(SKIP_1) | instid1(VALU_DEP_3)
	v_fmac_f32_e32 v8, v61, v81
	s_wait_loadcnt 0x0
	v_dual_fmac_f32 v22, v64, v81 :: v_dual_fmac_f32 v23, v31, v88
	s_delay_alu instid0(VALU_DEP_3) | instskip(NEXT) | instid1(VALU_DEP_3)
	v_fmac_f32_e32 v24, v34, v80
	v_fmac_f32_e32 v8, v57, v82
	s_delay_alu instid0(VALU_DEP_3) | instskip(NEXT) | instid1(VALU_DEP_3)
	v_fmac_f32_e32 v22, v60, v82
	v_fmac_f32_e32 v24, v62, v81
	;; [unrolled: 3-line block ×11, first 2 shown]
	s_delay_alu instid0(VALU_DEP_1)
	v_fmac_f32_e32 v24, v30, v88
	s_wait_alu 0xfffe
	s_and_not1_b32 exec_lo, exec_lo, s4
	s_cbranch_execnz .LBB21_33
; %bb.34:
	s_or_b32 exec_lo, exec_lo, s4
.LBB21_35:
	s_wait_alu 0xfffe
	s_or_b32 exec_lo, exec_lo, s2
.LBB21_36:
	s_wait_alu 0xfffe
	s_or_b32 exec_lo, exec_lo, s3
.LBB21_37:
	v_mbcnt_lo_u32_b32 v0, -1, 0
	s_mov_b32 s2, -1
	s_delay_alu instid0(VALU_DEP_1) | instskip(SKIP_2) | instid1(VALU_DEP_3)
	v_xor_b32_e32 v1, 4, v0
	v_xor_b32_e32 v6, 2, v0
	;; [unrolled: 1-line block ×3, first 2 shown]
	v_cmp_gt_i32_e32 vcc_lo, 32, v1
	s_wait_alu 0xfffd
	v_cndmask_b32_e32 v1, v0, v1, vcc_lo
	v_cmp_gt_i32_e32 vcc_lo, 32, v6
	s_wait_alu 0xfffd
	v_cndmask_b32_e32 v6, v0, v6, vcc_lo
	v_cmp_gt_i32_e32 vcc_lo, 32, v10
	s_delay_alu instid0(VALU_DEP_2)
	v_lshlrev_b32_e32 v6, 2, v6
	s_wait_alu 0xfffd
	v_dual_cndmask_b32 v0, v0, v10 :: v_dual_lshlrev_b32 v1, 2, v1
	v_cmp_eq_u32_e32 vcc_lo, 7, v21
	ds_bpermute_b32 v2, v1, v8
	v_lshlrev_b32_e32 v10, 2, v0
	s_wait_dscnt 0x0
	v_add_f32_e32 v2, v8, v2
	ds_bpermute_b32 v3, v1, v24
	ds_bpermute_b32 v5, v1, v23
	;; [unrolled: 1-line block ×3, first 2 shown]
	s_wait_dscnt 0x2
	v_add_f32_e32 v3, v24, v3
	s_wait_dscnt 0x1
	v_add_f32_e32 v5, v23, v5
	;; [unrolled: 2-line block ×3, first 2 shown]
	ds_bpermute_b32 v1, v6, v2
	ds_bpermute_b32 v8, v6, v3
	;; [unrolled: 1-line block ×4, first 2 shown]
	s_wait_dscnt 0x2
	v_dual_add_f32 v0, v2, v1 :: v_dual_add_f32 v1, v3, v8
	s_wait_dscnt 0x0
	v_dual_add_f32 v2, v5, v9 :: v_dual_add_f32 v3, v7, v6
	ds_bpermute_b32 v5, v10, v0
	ds_bpermute_b32 v6, v10, v1
	;; [unrolled: 1-line block ×4, first 2 shown]
	s_and_b32 exec_lo, exec_lo, vcc_lo
	s_cbranch_execz .LBB21_10
; %bb.38:
	s_load_b64 s[0:1], s[0:1], 0x50
	s_wait_dscnt 0x2
	v_dual_add_f32 v0, v0, v5 :: v_dual_add_f32 v1, v1, v6
	s_wait_dscnt 0x0
	v_dual_add_f32 v2, v2, v7 :: v_dual_add_f32 v3, v3, v8
	v_lshlrev_b32_e32 v4, 2, v4
	s_delay_alu instid0(VALU_DEP_3) | instskip(NEXT) | instid1(VALU_DEP_3)
	v_dual_mul_f32 v0, s14, v0 :: v_dual_mul_f32 v1, s14, v1
	v_dual_mul_f32 v2, s14, v2 :: v_dual_mul_f32 v3, s14, v3
	s_cmp_eq_f32 s12, 0
	s_cbranch_scc0 .LBB21_40
; %bb.39:
	v_ashrrev_i32_e32 v5, 31, v4
	s_mov_b32 s2, 0
	s_delay_alu instid0(VALU_DEP_1) | instskip(SKIP_1) | instid1(VALU_DEP_1)
	v_lshlrev_b64_e32 v[5:6], 2, v[4:5]
	s_wait_kmcnt 0x0
	v_add_co_u32 v5, vcc_lo, s0, v5
	s_wait_alu 0xfffd
	s_delay_alu instid0(VALU_DEP_2)
	v_add_co_ci_u32_e64 v6, null, s1, v6, vcc_lo
	global_store_b128 v[5:6], v[0:3], off
.LBB21_40:
	s_wait_alu 0xfffe
	s_and_not1_b32 vcc_lo, exec_lo, s2
	s_wait_alu 0xfffe
	s_cbranch_vccnz .LBB21_10
; %bb.41:
	v_ashrrev_i32_e32 v5, 31, v4
	s_delay_alu instid0(VALU_DEP_1) | instskip(SKIP_1) | instid1(VALU_DEP_1)
	v_lshlrev_b64_e32 v[4:5], 2, v[4:5]
	s_wait_kmcnt 0x0
	v_add_co_u32 v8, vcc_lo, s0, v4
	s_wait_alu 0xfffd
	s_delay_alu instid0(VALU_DEP_2)
	v_add_co_ci_u32_e64 v9, null, s1, v5, vcc_lo
	global_load_b128 v[4:7], v[8:9], off
	s_wait_loadcnt 0x0
	v_dual_fmac_f32 v0, s12, v4 :: v_dual_fmac_f32 v1, s12, v5
	v_dual_fmac_f32 v2, s12, v6 :: v_dual_fmac_f32 v3, s12, v7
	global_store_b128 v[8:9], v[0:3], off
	s_nop 0
	s_sendmsg sendmsg(MSG_DEALLOC_VGPRS)
	s_endpgm
	.section	.rodata,"a",@progbits
	.p2align	6, 0x0
	.amdhsa_kernel _ZN9rocsparseL18bsrxmvn_4x4_kernelILj128ELj8EflifffEEvT3_20rocsparse_direction_NS_24const_host_device_scalarIT1_EES1_PKS1_PKT2_SA_S7_PKT4_PKT5_S5_PT6_21rocsparse_index_base_b
		.amdhsa_group_segment_fixed_size 0
		.amdhsa_private_segment_fixed_size 0
		.amdhsa_kernarg_size 96
		.amdhsa_user_sgpr_count 2
		.amdhsa_user_sgpr_dispatch_ptr 0
		.amdhsa_user_sgpr_queue_ptr 0
		.amdhsa_user_sgpr_kernarg_segment_ptr 1
		.amdhsa_user_sgpr_dispatch_id 0
		.amdhsa_user_sgpr_private_segment_size 0
		.amdhsa_wavefront_size32 1
		.amdhsa_uses_dynamic_stack 0
		.amdhsa_enable_private_segment 0
		.amdhsa_system_sgpr_workgroup_id_x 1
		.amdhsa_system_sgpr_workgroup_id_y 0
		.amdhsa_system_sgpr_workgroup_id_z 0
		.amdhsa_system_sgpr_workgroup_info 0
		.amdhsa_system_vgpr_workitem_id 0
		.amdhsa_next_free_vgpr 99
		.amdhsa_next_free_sgpr 18
		.amdhsa_reserve_vcc 1
		.amdhsa_float_round_mode_32 0
		.amdhsa_float_round_mode_16_64 0
		.amdhsa_float_denorm_mode_32 3
		.amdhsa_float_denorm_mode_16_64 3
		.amdhsa_fp16_overflow 0
		.amdhsa_workgroup_processor_mode 1
		.amdhsa_memory_ordered 1
		.amdhsa_forward_progress 1
		.amdhsa_inst_pref_size 35
		.amdhsa_round_robin_scheduling 0
		.amdhsa_exception_fp_ieee_invalid_op 0
		.amdhsa_exception_fp_denorm_src 0
		.amdhsa_exception_fp_ieee_div_zero 0
		.amdhsa_exception_fp_ieee_overflow 0
		.amdhsa_exception_fp_ieee_underflow 0
		.amdhsa_exception_fp_ieee_inexact 0
		.amdhsa_exception_int_div_zero 0
	.end_amdhsa_kernel
	.section	.text._ZN9rocsparseL18bsrxmvn_4x4_kernelILj128ELj8EflifffEEvT3_20rocsparse_direction_NS_24const_host_device_scalarIT1_EES1_PKS1_PKT2_SA_S7_PKT4_PKT5_S5_PT6_21rocsparse_index_base_b,"axG",@progbits,_ZN9rocsparseL18bsrxmvn_4x4_kernelILj128ELj8EflifffEEvT3_20rocsparse_direction_NS_24const_host_device_scalarIT1_EES1_PKS1_PKT2_SA_S7_PKT4_PKT5_S5_PT6_21rocsparse_index_base_b,comdat
.Lfunc_end21:
	.size	_ZN9rocsparseL18bsrxmvn_4x4_kernelILj128ELj8EflifffEEvT3_20rocsparse_direction_NS_24const_host_device_scalarIT1_EES1_PKS1_PKT2_SA_S7_PKT4_PKT5_S5_PT6_21rocsparse_index_base_b, .Lfunc_end21-_ZN9rocsparseL18bsrxmvn_4x4_kernelILj128ELj8EflifffEEvT3_20rocsparse_direction_NS_24const_host_device_scalarIT1_EES1_PKS1_PKT2_SA_S7_PKT4_PKT5_S5_PT6_21rocsparse_index_base_b
                                        ; -- End function
	.set _ZN9rocsparseL18bsrxmvn_4x4_kernelILj128ELj8EflifffEEvT3_20rocsparse_direction_NS_24const_host_device_scalarIT1_EES1_PKS1_PKT2_SA_S7_PKT4_PKT5_S5_PT6_21rocsparse_index_base_b.num_vgpr, 99
	.set _ZN9rocsparseL18bsrxmvn_4x4_kernelILj128ELj8EflifffEEvT3_20rocsparse_direction_NS_24const_host_device_scalarIT1_EES1_PKS1_PKT2_SA_S7_PKT4_PKT5_S5_PT6_21rocsparse_index_base_b.num_agpr, 0
	.set _ZN9rocsparseL18bsrxmvn_4x4_kernelILj128ELj8EflifffEEvT3_20rocsparse_direction_NS_24const_host_device_scalarIT1_EES1_PKS1_PKT2_SA_S7_PKT4_PKT5_S5_PT6_21rocsparse_index_base_b.numbered_sgpr, 18
	.set _ZN9rocsparseL18bsrxmvn_4x4_kernelILj128ELj8EflifffEEvT3_20rocsparse_direction_NS_24const_host_device_scalarIT1_EES1_PKS1_PKT2_SA_S7_PKT4_PKT5_S5_PT6_21rocsparse_index_base_b.num_named_barrier, 0
	.set _ZN9rocsparseL18bsrxmvn_4x4_kernelILj128ELj8EflifffEEvT3_20rocsparse_direction_NS_24const_host_device_scalarIT1_EES1_PKS1_PKT2_SA_S7_PKT4_PKT5_S5_PT6_21rocsparse_index_base_b.private_seg_size, 0
	.set _ZN9rocsparseL18bsrxmvn_4x4_kernelILj128ELj8EflifffEEvT3_20rocsparse_direction_NS_24const_host_device_scalarIT1_EES1_PKS1_PKT2_SA_S7_PKT4_PKT5_S5_PT6_21rocsparse_index_base_b.uses_vcc, 1
	.set _ZN9rocsparseL18bsrxmvn_4x4_kernelILj128ELj8EflifffEEvT3_20rocsparse_direction_NS_24const_host_device_scalarIT1_EES1_PKS1_PKT2_SA_S7_PKT4_PKT5_S5_PT6_21rocsparse_index_base_b.uses_flat_scratch, 0
	.set _ZN9rocsparseL18bsrxmvn_4x4_kernelILj128ELj8EflifffEEvT3_20rocsparse_direction_NS_24const_host_device_scalarIT1_EES1_PKS1_PKT2_SA_S7_PKT4_PKT5_S5_PT6_21rocsparse_index_base_b.has_dyn_sized_stack, 0
	.set _ZN9rocsparseL18bsrxmvn_4x4_kernelILj128ELj8EflifffEEvT3_20rocsparse_direction_NS_24const_host_device_scalarIT1_EES1_PKS1_PKT2_SA_S7_PKT4_PKT5_S5_PT6_21rocsparse_index_base_b.has_recursion, 0
	.set _ZN9rocsparseL18bsrxmvn_4x4_kernelILj128ELj8EflifffEEvT3_20rocsparse_direction_NS_24const_host_device_scalarIT1_EES1_PKS1_PKT2_SA_S7_PKT4_PKT5_S5_PT6_21rocsparse_index_base_b.has_indirect_call, 0
	.section	.AMDGPU.csdata,"",@progbits
; Kernel info:
; codeLenInByte = 4456
; TotalNumSgprs: 20
; NumVgprs: 99
; ScratchSize: 0
; MemoryBound: 0
; FloatMode: 240
; IeeeMode: 1
; LDSByteSize: 0 bytes/workgroup (compile time only)
; SGPRBlocks: 0
; VGPRBlocks: 12
; NumSGPRsForWavesPerEU: 20
; NumVGPRsForWavesPerEU: 99
; Occupancy: 12
; WaveLimiterHint : 1
; COMPUTE_PGM_RSRC2:SCRATCH_EN: 0
; COMPUTE_PGM_RSRC2:USER_SGPR: 2
; COMPUTE_PGM_RSRC2:TRAP_HANDLER: 0
; COMPUTE_PGM_RSRC2:TGID_X_EN: 1
; COMPUTE_PGM_RSRC2:TGID_Y_EN: 0
; COMPUTE_PGM_RSRC2:TGID_Z_EN: 0
; COMPUTE_PGM_RSRC2:TIDIG_COMP_CNT: 0
	.section	.text._ZN9rocsparseL18bsrxmvn_4x4_kernelILj128ELj16EflifffEEvT3_20rocsparse_direction_NS_24const_host_device_scalarIT1_EES1_PKS1_PKT2_SA_S7_PKT4_PKT5_S5_PT6_21rocsparse_index_base_b,"axG",@progbits,_ZN9rocsparseL18bsrxmvn_4x4_kernelILj128ELj16EflifffEEvT3_20rocsparse_direction_NS_24const_host_device_scalarIT1_EES1_PKS1_PKT2_SA_S7_PKT4_PKT5_S5_PT6_21rocsparse_index_base_b,comdat
	.globl	_ZN9rocsparseL18bsrxmvn_4x4_kernelILj128ELj16EflifffEEvT3_20rocsparse_direction_NS_24const_host_device_scalarIT1_EES1_PKS1_PKT2_SA_S7_PKT4_PKT5_S5_PT6_21rocsparse_index_base_b ; -- Begin function _ZN9rocsparseL18bsrxmvn_4x4_kernelILj128ELj16EflifffEEvT3_20rocsparse_direction_NS_24const_host_device_scalarIT1_EES1_PKS1_PKT2_SA_S7_PKT4_PKT5_S5_PT6_21rocsparse_index_base_b
	.p2align	8
	.type	_ZN9rocsparseL18bsrxmvn_4x4_kernelILj128ELj16EflifffEEvT3_20rocsparse_direction_NS_24const_host_device_scalarIT1_EES1_PKS1_PKT2_SA_S7_PKT4_PKT5_S5_PT6_21rocsparse_index_base_b,@function
_ZN9rocsparseL18bsrxmvn_4x4_kernelILj128ELj16EflifffEEvT3_20rocsparse_direction_NS_24const_host_device_scalarIT1_EES1_PKS1_PKT2_SA_S7_PKT4_PKT5_S5_PT6_21rocsparse_index_base_b: ; @_ZN9rocsparseL18bsrxmvn_4x4_kernelILj128ELj16EflifffEEvT3_20rocsparse_direction_NS_24const_host_device_scalarIT1_EES1_PKS1_PKT2_SA_S7_PKT4_PKT5_S5_PT6_21rocsparse_index_base_b
; %bb.0:
	s_clause 0x2
	s_load_b64 s[16:17], s[0:1], 0x58
	s_load_b64 s[14:15], s[0:1], 0x8
	;; [unrolled: 1-line block ×3, first 2 shown]
	s_wait_kmcnt 0x0
	s_bitcmp1_b32 s17, 0
	s_cselect_b32 s2, -1, 0
	s_delay_alu instid0(SALU_CYCLE_1)
	s_and_b32 vcc_lo, exec_lo, s2
	s_xor_b32 s2, s2, -1
	s_cbranch_vccnz .LBB22_2
; %bb.1:
	s_load_b32 s14, s[14:15], 0x0
.LBB22_2:
	s_and_not1_b32 vcc_lo, exec_lo, s2
	s_cbranch_vccnz .LBB22_4
; %bb.3:
	s_load_b32 s12, s[12:13], 0x0
.LBB22_4:
	s_wait_kmcnt 0x0
	s_cmp_neq_f32 s14, 0
	s_mov_b32 s6, 0
	s_cselect_b32 s2, -1, 0
	s_cmp_neq_f32 s12, 1.0
	s_cselect_b32 s3, -1, 0
	s_delay_alu instid0(SALU_CYCLE_1) | instskip(NEXT) | instid1(SALU_CYCLE_1)
	s_or_b32 s2, s2, s3
	s_and_not1_b32 vcc_lo, exec_lo, s2
	s_cbranch_vccnz .LBB22_10
; %bb.5:
	s_clause 0x1
	s_load_b64 s[4:5], s[0:1], 0x18
	s_load_b64 s[2:3], s[0:1], 0x0
	v_lshrrev_b32_e32 v1, 4, v0
	s_delay_alu instid0(VALU_DEP_1)
	v_lshl_or_b32 v4, ttmp9, 3, v1
	s_wait_kmcnt 0x0
	s_cmp_lg_u64 s[4:5], 0
	s_cbranch_scc0 .LBB22_11
; %bb.6:
	s_load_b32 s6, s[0:1], 0x10
	s_mov_b32 s7, 0
                                        ; implicit-def: $vgpr1
	s_wait_kmcnt 0x0
	v_cmp_gt_i32_e32 vcc_lo, s6, v4
	s_mov_b32 s6, 0
	s_and_saveexec_b32 s8, vcc_lo
	s_delay_alu instid0(SALU_CYCLE_1)
	s_xor_b32 s8, exec_lo, s8
	s_cbranch_execz .LBB22_8
; %bb.7:
	v_ashrrev_i32_e32 v5, 31, v4
	s_mov_b32 s6, exec_lo
	s_delay_alu instid0(VALU_DEP_1) | instskip(NEXT) | instid1(VALU_DEP_1)
	v_lshlrev_b64_e32 v[1:2], 2, v[4:5]
	v_add_co_u32 v1, vcc_lo, s4, v1
	s_delay_alu instid0(VALU_DEP_1)
	v_add_co_ci_u32_e64 v2, null, s5, v2, vcc_lo
	global_load_b32 v1, v[1:2], off
	s_wait_loadcnt 0x0
	v_subrev_nc_u32_e32 v1, s16, v1
.LBB22_8:
	s_or_b32 exec_lo, exec_lo, s8
	s_delay_alu instid0(SALU_CYCLE_1)
	s_and_b32 vcc_lo, exec_lo, s7
	s_wait_alu 0xfffe
	s_cbranch_vccz .LBB22_12
.LBB22_9:
	v_cmp_gt_i32_e32 vcc_lo, s2, v4
	s_and_not1_b32 s2, s6, exec_lo
	s_and_b32 s4, vcc_lo, exec_lo
	s_wait_alu 0xfffe
	s_or_b32 s6, s2, s4
	s_wait_alu 0xfffe
	s_and_saveexec_b32 s2, s6
	s_cbranch_execnz .LBB22_13
.LBB22_10:
	s_nop 0
	s_sendmsg sendmsg(MSG_DEALLOC_VGPRS)
	s_endpgm
.LBB22_11:
                                        ; implicit-def: $vgpr1
	s_cbranch_execnz .LBB22_9
.LBB22_12:
	v_mov_b32_e32 v4, v1
	s_and_saveexec_b32 s2, s6
	s_cbranch_execz .LBB22_10
.LBB22_13:
	s_load_b256 s[4:11], s[0:1], 0x20
	s_delay_alu instid0(VALU_DEP_1) | instskip(SKIP_1) | instid1(VALU_DEP_2)
	v_ashrrev_i32_e32 v5, 31, v4
	v_dual_mov_b32 v22, 0 :: v_dual_and_b32 v21, 15, v0
	v_lshlrev_b64_e32 v[1:2], 3, v[4:5]
	s_wait_kmcnt 0x0
	s_delay_alu instid0(VALU_DEP_1) | instskip(SKIP_1) | instid1(VALU_DEP_2)
	v_add_co_u32 v5, vcc_lo, s4, v1
	s_wait_alu 0xfffd
	v_add_co_ci_u32_e64 v6, null, s5, v2, vcc_lo
	v_add_co_u32 v1, vcc_lo, s6, v1
	s_wait_alu 0xfffd
	v_add_co_ci_u32_e64 v2, null, s7, v2, vcc_lo
	v_add_co_u32 v3, vcc_lo, v5, 8
	global_load_b64 v[9:10], v[5:6], off
	s_wait_alu 0xfffd
	v_add_co_ci_u32_e64 v7, null, 0, v6, vcc_lo
	s_cmp_eq_u64 s[6:7], 0
	s_load_b64 s[6:7], s[0:1], 0x40
	s_cselect_b32 vcc_lo, -1, 0
	s_cmp_eq_u32 s3, 1
	s_wait_alu 0xfffe
	v_cndmask_b32_e32 v2, v2, v7, vcc_lo
	v_cndmask_b32_e32 v1, v1, v3, vcc_lo
	global_load_b64 v[2:3], v[1:2], off
	s_wait_loadcnt 0x1
	v_sub_co_u32 v0, vcc_lo, v9, s16
	s_wait_alu 0xfffd
	v_subrev_co_ci_u32_e64 v1, null, 0, v10, vcc_lo
	s_delay_alu instid0(VALU_DEP_2) | instskip(SKIP_1) | instid1(VALU_DEP_2)
	v_add_co_u32 v0, vcc_lo, v0, v21
	s_wait_alu 0xfffd
	v_add_co_ci_u32_e64 v1, null, 0, v1, vcc_lo
	s_delay_alu instid0(VALU_DEP_1) | instskip(SKIP_4) | instid1(VALU_DEP_3)
	v_lshlrev_b64_e32 v[5:6], 6, v[0:1]
	s_wait_loadcnt 0x0
	v_sub_co_u32 v2, vcc_lo, v2, s16
	s_wait_alu 0xfffd
	v_subrev_co_ci_u32_e64 v3, null, 0, v3, vcc_lo
	v_add_co_u32 v5, vcc_lo, s10, v5
	s_delay_alu instid0(VALU_DEP_2)
	v_cmp_lt_i64_e64 s2, v[0:1], v[2:3]
	s_wait_alu 0xfffd
	v_add_co_ci_u32_e64 v6, null, s11, v6, vcc_lo
	s_cbranch_scc1 .LBB22_25
; %bb.14:
	v_dual_mov_b32 v23, 0 :: v_dual_mov_b32 v24, 0
	v_mov_b32_e32 v8, 0
	s_and_saveexec_b32 s5, s2
	s_cbranch_execz .LBB22_24
; %bb.15:
	v_or_b32_e32 v7, 16, v21
	v_not_b32_e32 v12, v9
	v_not_b32_e32 v11, v10
	s_delay_alu instid0(VALU_DEP_3) | instskip(SKIP_3) | instid1(VALU_DEP_3)
	v_sub_co_u32 v7, s3, v7, s16
	s_wait_alu 0xf1ff
	v_sub_co_ci_u32_e64 v8, null, 0, 0, s3
	v_sub_co_u32 v13, s3, s16, v21
	v_add_co_u32 v7, vcc_lo, v7, v9
	s_wait_alu 0xfffd
	s_delay_alu instid0(VALU_DEP_3)
	v_add_co_ci_u32_e64 v8, null, v8, v10, vcc_lo
	s_wait_alu 0xf1ff
	v_sub_co_ci_u32_e64 v14, null, 0, 0, s3
	s_mov_b32 s3, exec_lo
	v_cmp_gt_i64_e32 vcc_lo, v[7:8], v[2:3]
	s_wait_alu 0xfffd
	v_dual_cndmask_b32 v16, v3, v8 :: v_dual_cndmask_b32 v7, v2, v7
	v_add_co_u32 v8, vcc_lo, v13, v12
	s_wait_alu 0xfffd
	v_add_co_ci_u32_e64 v11, null, v14, v11, vcc_lo
	v_mov_b32_e32 v14, v6
	s_delay_alu instid0(VALU_DEP_3) | instskip(SKIP_4) | instid1(VALU_DEP_3)
	v_add_co_u32 v15, vcc_lo, v8, v7
	v_mov_b32_e32 v8, 0
	s_wait_alu 0xfffd
	v_add_co_ci_u32_e64 v16, null, v11, v16, vcc_lo
	v_dual_mov_b32 v12, v1 :: v_dual_mov_b32 v13, v5
	v_dual_mov_b32 v24, v8 :: v_dual_and_b32 v7, 48, v15
	v_dual_mov_b32 v23, v8 :: v_dual_mov_b32 v22, v8
	v_mov_b32_e32 v11, v0
	s_delay_alu instid0(VALU_DEP_3)
	v_cmpx_ne_u64_e32 48, v[7:8]
	s_cbranch_execz .LBB22_19
; %bb.16:
	v_lshrrev_b32_e32 v7, 4, v15
	v_mov_b32_e32 v22, 0
	v_dual_mov_b32 v14, v6 :: v_dual_mov_b32 v13, v5
	v_dual_mov_b32 v12, v1 :: v_dual_mov_b32 v11, v0
	s_delay_alu instid0(VALU_DEP_4) | instskip(SKIP_2) | instid1(VALU_DEP_3)
	v_add_nc_u32_e32 v17, 1, v7
	v_lshlrev_b64_e32 v[7:8], 2, v[0:1]
	v_dual_mov_b32 v23, 0 :: v_dual_mov_b32 v24, 0
	v_and_b32_e32 v19, 3, v17
	s_delay_alu instid0(VALU_DEP_3) | instskip(SKIP_1) | instid1(VALU_DEP_4)
	v_add_co_u32 v17, vcc_lo, s8, v7
	s_wait_alu 0xfffd
	v_add_co_ci_u32_e64 v18, null, s9, v8, vcc_lo
	v_mov_b32_e32 v8, 0
	v_sub_co_u32 v19, s4, 0, v19
	s_wait_alu 0xf1ff
	v_sub_co_ci_u32_e64 v20, null, 0, 0, s4
	s_mov_b32 s4, 0
.LBB22_17:                              ; =>This Inner Loop Header: Depth=1
	global_load_b32 v7, v[17:18], off
	s_clause 0x3
	global_load_b128 v[25:28], v[13:14], off offset:48
	global_load_b128 v[29:32], v[13:14], off offset:32
	global_load_b128 v[33:36], v[13:14], off offset:16
	global_load_b128 v[37:40], v[13:14], off
	s_wait_loadcnt 0x4
	v_subrev_nc_u32_e32 v7, s16, v7
	s_delay_alu instid0(VALU_DEP_1) | instskip(NEXT) | instid1(VALU_DEP_1)
	v_lshlrev_b32_e32 v41, 2, v7
	v_ashrrev_i32_e32 v42, 31, v41
	s_delay_alu instid0(VALU_DEP_1) | instskip(SKIP_1) | instid1(VALU_DEP_1)
	v_lshlrev_b64_e32 v[41:42], 2, v[41:42]
	s_wait_kmcnt 0x0
	v_add_co_u32 v41, vcc_lo, s6, v41
	s_wait_alu 0xfffd
	s_delay_alu instid0(VALU_DEP_2)
	v_add_co_ci_u32_e64 v42, null, s7, v42, vcc_lo
	v_add_co_u32 v13, vcc_lo, 0x400, v13
	s_wait_alu 0xfffd
	v_add_co_ci_u32_e64 v14, null, 0, v14, vcc_lo
	global_load_b128 v[41:44], v[41:42], off
	v_add_co_u32 v11, vcc_lo, v11, 16
	s_wait_alu 0xfffd
	v_add_co_ci_u32_e64 v12, null, 0, v12, vcc_lo
	v_add_co_u32 v17, vcc_lo, v17, 64
	s_wait_alu 0xfffd
	v_add_co_ci_u32_e64 v18, null, 0, v18, vcc_lo
	;; [unrolled: 3-line block ×3, first 2 shown]
	s_delay_alu instid0(VALU_DEP_1) | instskip(SKIP_4) | instid1(VALU_DEP_1)
	v_cmp_eq_u64_e32 vcc_lo, 0, v[19:20]
	s_wait_alu 0xfffe
	s_or_b32 s4, vcc_lo, s4
	s_wait_loadcnt 0x0
	v_fmac_f32_e32 v23, v29, v41
	v_dual_fmac_f32 v8, v37, v41 :: v_dual_fmac_f32 v23, v30, v42
	v_fmac_f32_e32 v24, v33, v41
	s_delay_alu instid0(VALU_DEP_2) | instskip(SKIP_1) | instid1(VALU_DEP_3)
	v_dual_fmac_f32 v8, v38, v42 :: v_dual_fmac_f32 v23, v31, v43
	v_fmac_f32_e32 v22, v25, v41
	v_fmac_f32_e32 v24, v34, v42
	s_delay_alu instid0(VALU_DEP_3) | instskip(NEXT) | instid1(VALU_DEP_3)
	v_dual_fmac_f32 v8, v39, v43 :: v_dual_fmac_f32 v23, v32, v44
	v_fmac_f32_e32 v22, v26, v42
	s_delay_alu instid0(VALU_DEP_3) | instskip(NEXT) | instid1(VALU_DEP_3)
	v_fmac_f32_e32 v24, v35, v43
	v_fmac_f32_e32 v8, v40, v44
	s_delay_alu instid0(VALU_DEP_3) | instskip(NEXT) | instid1(VALU_DEP_3)
	v_fmac_f32_e32 v22, v27, v43
	v_fmac_f32_e32 v24, v36, v44
	s_delay_alu instid0(VALU_DEP_2)
	v_fmac_f32_e32 v22, v28, v44
	s_wait_alu 0xfffe
	s_and_not1_b32 exec_lo, exec_lo, s4
	s_cbranch_execnz .LBB22_17
; %bb.18:
	s_or_b32 exec_lo, exec_lo, s4
.LBB22_19:
	s_wait_alu 0xfffe
	s_or_b32 exec_lo, exec_lo, s3
	s_delay_alu instid0(SALU_CYCLE_1)
	s_mov_b32 s10, exec_lo
	v_cmpx_lt_u64_e32 47, v[15:16]
	s_cbranch_execz .LBB22_23
; %bb.20:
	v_lshlrev_b64_e32 v[15:16], 2, v[11:12]
	s_mov_b32 s11, 0
	s_delay_alu instid0(VALU_DEP_1) | instskip(SKIP_1) | instid1(VALU_DEP_2)
	v_add_co_u32 v7, vcc_lo, s8, v15
	s_wait_alu 0xfffd
	v_add_co_ci_u32_e64 v16, null, s9, v16, vcc_lo
	s_delay_alu instid0(VALU_DEP_2) | instskip(SKIP_1) | instid1(VALU_DEP_2)
	v_add_co_u32 v15, vcc_lo, 0x80, v7
	s_wait_alu 0xfffd
	v_add_co_ci_u32_e64 v16, null, 0, v16, vcc_lo
.LBB22_21:                              ; =>This Inner Loop Header: Depth=1
	s_clause 0x3
	global_load_b32 v7, v[15:16], off offset:-128
	global_load_b32 v85, v[15:16], off offset:-64
	global_load_b32 v86, v[15:16], off
	global_load_b32 v87, v[15:16], off offset:64
	s_clause 0xf
	global_load_b128 v[17:20], v[13:14], off offset:48
	global_load_b128 v[25:28], v[13:14], off offset:32
	;; [unrolled: 1-line block ×3, first 2 shown]
	global_load_b128 v[33:36], v[13:14], off
	global_load_b128 v[37:40], v[13:14], off offset:1072
	global_load_b128 v[41:44], v[13:14], off offset:1056
	;; [unrolled: 1-line block ×12, first 2 shown]
	v_add_co_u32 v11, s3, v11, 64
	s_wait_alu 0xf1ff
	v_add_co_ci_u32_e64 v12, null, 0, v12, s3
	v_add_co_u32 v15, s4, 0x100, v15
	s_wait_alu 0xf1ff
	v_add_co_ci_u32_e64 v16, null, 0, v16, s4
	s_wait_loadcnt 0x13
	v_subrev_nc_u32_e32 v7, s16, v7
	s_wait_loadcnt 0x12
	v_subrev_nc_u32_e32 v88, s16, v85
	;; [unrolled: 2-line block ×4, first 2 shown]
	v_lshlrev_b32_e32 v85, 2, v7
	v_lshlrev_b32_e32 v89, 2, v88
	;; [unrolled: 1-line block ×3, first 2 shown]
	s_delay_alu instid0(VALU_DEP_4) | instskip(NEXT) | instid1(VALU_DEP_4)
	v_lshlrev_b32_e32 v95, 2, v87
	v_ashrrev_i32_e32 v86, 31, v85
	s_delay_alu instid0(VALU_DEP_4) | instskip(NEXT) | instid1(VALU_DEP_2)
	v_ashrrev_i32_e32 v90, 31, v89
	v_lshlrev_b64_e32 v[85:86], 2, v[85:86]
	s_delay_alu instid0(VALU_DEP_2) | instskip(SKIP_1) | instid1(VALU_DEP_2)
	v_lshlrev_b64_e32 v[89:90], 2, v[89:90]
	s_wait_kmcnt 0x0
	v_add_co_u32 v85, vcc_lo, s6, v85
	s_wait_alu 0xfffd
	s_delay_alu instid0(VALU_DEP_3) | instskip(NEXT) | instid1(VALU_DEP_3)
	v_add_co_ci_u32_e64 v86, null, s7, v86, vcc_lo
	v_add_co_u32 v89, vcc_lo, s6, v89
	s_wait_alu 0xfffd
	v_add_co_ci_u32_e64 v90, null, s7, v90, vcc_lo
	s_clause 0x1
	global_load_b128 v[85:88], v[85:86], off
	global_load_b128 v[89:92], v[89:90], off
	s_wait_loadcnt 0x1
	v_fmac_f32_e32 v8, v33, v85
	v_fmac_f32_e32 v23, v25, v85
	;; [unrolled: 1-line block ×3, first 2 shown]
	s_delay_alu instid0(VALU_DEP_3) | instskip(NEXT) | instid1(VALU_DEP_3)
	v_fmac_f32_e32 v8, v34, v86
	v_dual_fmac_f32 v23, v26, v86 :: v_dual_fmac_f32 v22, v17, v85
	s_delay_alu instid0(VALU_DEP_3) | instskip(NEXT) | instid1(VALU_DEP_3)
	v_fmac_f32_e32 v24, v30, v86
	v_fmac_f32_e32 v8, v35, v87
	v_ashrrev_i32_e32 v94, 31, v93
	s_delay_alu instid0(VALU_DEP_4) | instskip(NEXT) | instid1(VALU_DEP_3)
	v_dual_fmac_f32 v23, v27, v87 :: v_dual_fmac_f32 v22, v18, v86
	v_fmac_f32_e32 v8, v36, v88
	v_ashrrev_i32_e32 v96, 31, v95
	s_delay_alu instid0(VALU_DEP_4) | instskip(NEXT) | instid1(VALU_DEP_4)
	v_lshlrev_b64_e32 v[93:94], 2, v[93:94]
	v_dual_fmac_f32 v23, v28, v88 :: v_dual_fmac_f32 v24, v31, v87
	s_delay_alu instid0(VALU_DEP_3) | instskip(NEXT) | instid1(VALU_DEP_3)
	v_lshlrev_b64_e32 v[95:96], 2, v[95:96]
	v_add_co_u32 v93, vcc_lo, s6, v93
	s_wait_alu 0xfffd
	s_delay_alu instid0(VALU_DEP_4) | instskip(NEXT) | instid1(VALU_DEP_3)
	v_add_co_ci_u32_e64 v94, null, s7, v94, vcc_lo
	v_add_co_u32 v97, vcc_lo, s6, v95
	s_wait_alu 0xfffd
	v_add_co_ci_u32_e64 v98, null, s7, v96, vcc_lo
	global_load_b128 v[93:96], v[93:94], off
	s_wait_loadcnt 0x1
	v_dual_fmac_f32 v23, v41, v89 :: v_dual_fmac_f32 v22, v19, v87
	global_load_b128 v[33:36], v[97:98], off
	v_add_co_u32 v13, vcc_lo, 0x1000, v13
	v_dual_fmac_f32 v23, v42, v90 :: v_dual_fmac_f32 v24, v32, v88
	s_wait_alu 0xfffd
	v_add_co_ci_u32_e64 v14, null, 0, v14, vcc_lo
	v_cmp_ge_i64_e32 vcc_lo, v[11:12], v[2:3]
	s_delay_alu instid0(VALU_DEP_3) | instskip(NEXT) | instid1(VALU_DEP_1)
	v_dual_fmac_f32 v23, v43, v91 :: v_dual_fmac_f32 v8, v49, v89
	v_fmac_f32_e32 v23, v44, v92
	v_fmac_f32_e32 v22, v20, v88
	s_wait_alu 0xfffe
	s_or_b32 s11, vcc_lo, s11
	s_wait_loadcnt 0x1
	v_fmac_f32_e32 v23, v57, v93
	s_delay_alu instid0(VALU_DEP_1) | instskip(NEXT) | instid1(VALU_DEP_1)
	v_dual_fmac_f32 v24, v45, v89 :: v_dual_fmac_f32 v23, v58, v94
	v_dual_fmac_f32 v22, v37, v89 :: v_dual_fmac_f32 v23, v59, v95
	s_delay_alu instid0(VALU_DEP_1) | instskip(SKIP_1) | instid1(VALU_DEP_1)
	v_dual_fmac_f32 v8, v50, v90 :: v_dual_fmac_f32 v23, v60, v96
	s_wait_loadcnt 0x0
	v_dual_fmac_f32 v24, v46, v90 :: v_dual_fmac_f32 v23, v73, v33
	s_delay_alu instid0(VALU_DEP_1) | instskip(SKIP_1) | instid1(VALU_DEP_2)
	v_dual_fmac_f32 v8, v51, v91 :: v_dual_fmac_f32 v23, v74, v34
	v_fmac_f32_e32 v22, v38, v90
	v_dual_fmac_f32 v8, v52, v92 :: v_dual_fmac_f32 v23, v75, v35
	s_delay_alu instid0(VALU_DEP_4) | instskip(NEXT) | instid1(VALU_DEP_3)
	v_fmac_f32_e32 v24, v47, v91
	v_fmac_f32_e32 v22, v39, v91
	s_delay_alu instid0(VALU_DEP_3) | instskip(NEXT) | instid1(VALU_DEP_3)
	v_dual_fmac_f32 v8, v65, v93 :: v_dual_fmac_f32 v23, v76, v36
	v_fmac_f32_e32 v24, v48, v92
	s_delay_alu instid0(VALU_DEP_3) | instskip(NEXT) | instid1(VALU_DEP_3)
	v_fmac_f32_e32 v22, v40, v92
	v_fmac_f32_e32 v8, v66, v94
	s_delay_alu instid0(VALU_DEP_3) | instskip(NEXT) | instid1(VALU_DEP_3)
	v_fmac_f32_e32 v24, v61, v93
	;; [unrolled: 3-line block ×11, first 2 shown]
	v_fmac_f32_e32 v22, v71, v35
	s_delay_alu instid0(VALU_DEP_2) | instskip(NEXT) | instid1(VALU_DEP_2)
	v_fmac_f32_e32 v24, v80, v36
	v_fmac_f32_e32 v22, v72, v36
	s_wait_alu 0xfffe
	s_and_not1_b32 exec_lo, exec_lo, s11
	s_cbranch_execnz .LBB22_21
; %bb.22:
	s_or_b32 exec_lo, exec_lo, s11
.LBB22_23:
	s_wait_alu 0xfffe
	s_or_b32 exec_lo, exec_lo, s10
.LBB22_24:
	s_wait_alu 0xfffe
	s_or_b32 exec_lo, exec_lo, s5
	s_cbranch_execz .LBB22_26
	s_branch .LBB22_37
.LBB22_25:
                                        ; implicit-def: $vgpr22
                                        ; implicit-def: $vgpr23
                                        ; implicit-def: $vgpr24
                                        ; implicit-def: $vgpr8
.LBB22_26:
	v_dual_mov_b32 v22, 0 :: v_dual_mov_b32 v23, 0
	v_mov_b32_e32 v24, 0
	v_mov_b32_e32 v8, 0
	s_and_saveexec_b32 s3, s2
	s_cbranch_execz .LBB22_36
; %bb.27:
	v_or_b32_e32 v7, 16, v21
	s_delay_alu instid0(VALU_DEP_1) | instskip(SKIP_3) | instid1(VALU_DEP_3)
	v_sub_co_u32 v7, s2, v7, s16
	s_wait_alu 0xf1ff
	v_sub_co_ci_u32_e64 v8, null, 0, 0, s2
	v_sub_co_u32 v11, s2, s16, v21
	v_add_co_u32 v7, vcc_lo, v7, v9
	s_wait_alu 0xfffd
	s_delay_alu instid0(VALU_DEP_3)
	v_add_co_ci_u32_e64 v8, null, v8, v10, vcc_lo
	v_not_b32_e32 v9, v9
	v_not_b32_e32 v10, v10
	s_wait_alu 0xf1ff
	v_sub_co_ci_u32_e64 v12, null, 0, 0, s2
	v_cmp_gt_i64_e32 vcc_lo, v[7:8], v[2:3]
	s_mov_b32 s2, exec_lo
	s_wait_alu 0xfffd
	v_cndmask_b32_e32 v13, v3, v8, vcc_lo
	v_cndmask_b32_e32 v7, v2, v7, vcc_lo
	v_add_co_u32 v8, vcc_lo, v11, v9
	s_wait_alu 0xfffd
	v_add_co_ci_u32_e64 v10, null, v12, v10, vcc_lo
	s_delay_alu instid0(VALU_DEP_2) | instskip(SKIP_2) | instid1(VALU_DEP_3)
	v_add_co_u32 v9, vcc_lo, v8, v7
	v_mov_b32_e32 v8, 0
	s_wait_alu 0xfffd
	v_add_co_ci_u32_e64 v10, null, v10, v13, vcc_lo
	s_delay_alu instid0(VALU_DEP_2) | instskip(SKIP_1) | instid1(VALU_DEP_2)
	v_dual_mov_b32 v22, v8 :: v_dual_and_b32 v7, 48, v9
	v_dual_mov_b32 v24, v8 :: v_dual_mov_b32 v23, v8
	v_cmpx_ne_u64_e32 48, v[7:8]
	s_cbranch_execz .LBB22_31
; %bb.28:
	v_lshrrev_b32_e32 v7, 4, v9
	v_dual_mov_b32 v23, 0 :: v_dual_mov_b32 v24, 0
	s_delay_alu instid0(VALU_DEP_2) | instskip(SKIP_1) | instid1(VALU_DEP_2)
	v_dual_mov_b32 v22, 0 :: v_dual_add_nc_u32 v11, 1, v7
	v_lshlrev_b64_e32 v[7:8], 2, v[0:1]
	v_and_b32_e32 v13, 3, v11
	s_delay_alu instid0(VALU_DEP_2) | instskip(SKIP_1) | instid1(VALU_DEP_3)
	v_add_co_u32 v11, vcc_lo, s8, v7
	s_wait_alu 0xfffd
	v_add_co_ci_u32_e64 v12, null, s9, v8, vcc_lo
	v_mov_b32_e32 v8, 0
	v_sub_co_u32 v13, s4, 0, v13
	s_wait_alu 0xf1ff
	v_sub_co_ci_u32_e64 v14, null, 0, 0, s4
	s_mov_b32 s4, 0
.LBB22_29:                              ; =>This Inner Loop Header: Depth=1
	global_load_b32 v7, v[11:12], off
	s_clause 0x1
	global_load_b128 v[15:18], v[5:6], off offset:16
	global_load_b128 v[25:28], v[5:6], off
	s_wait_loadcnt 0x2
	v_subrev_nc_u32_e32 v7, s16, v7
	s_delay_alu instid0(VALU_DEP_1) | instskip(NEXT) | instid1(VALU_DEP_1)
	v_lshlrev_b32_e32 v19, 2, v7
	v_ashrrev_i32_e32 v20, 31, v19
	s_delay_alu instid0(VALU_DEP_1) | instskip(SKIP_1) | instid1(VALU_DEP_1)
	v_lshlrev_b64_e32 v[19:20], 2, v[19:20]
	s_wait_kmcnt 0x0
	v_add_co_u32 v19, vcc_lo, s6, v19
	s_wait_alu 0xfffd
	s_delay_alu instid0(VALU_DEP_2)
	v_add_co_ci_u32_e64 v20, null, s7, v20, vcc_lo
	global_load_b128 v[29:32], v[19:20], off
	s_clause 0x1
	global_load_b128 v[33:36], v[5:6], off offset:32
	global_load_b128 v[37:40], v[5:6], off offset:48
	v_add_co_u32 v5, vcc_lo, 0x400, v5
	s_wait_alu 0xfffd
	v_add_co_ci_u32_e64 v6, null, 0, v6, vcc_lo
	v_add_co_u32 v0, vcc_lo, v0, 16
	s_wait_alu 0xfffd
	v_add_co_ci_u32_e64 v1, null, 0, v1, vcc_lo
	;; [unrolled: 3-line block ×4, first 2 shown]
	s_delay_alu instid0(VALU_DEP_1)
	v_cmp_eq_u64_e32 vcc_lo, 0, v[13:14]
	s_wait_alu 0xfffe
	s_or_b32 s4, vcc_lo, s4
	s_wait_loadcnt 0x2
	v_fmac_f32_e32 v23, v27, v29
	v_fmac_f32_e32 v8, v25, v29
	s_delay_alu instid0(VALU_DEP_2) | instskip(SKIP_1) | instid1(VALU_DEP_3)
	v_dual_fmac_f32 v24, v26, v29 :: v_dual_fmac_f32 v23, v17, v30
	v_fmac_f32_e32 v22, v28, v29
	v_fmac_f32_e32 v8, v15, v30
	s_wait_loadcnt 0x1
	s_delay_alu instid0(VALU_DEP_3) | instskip(NEXT) | instid1(VALU_DEP_3)
	v_dual_fmac_f32 v24, v16, v30 :: v_dual_fmac_f32 v23, v35, v31
	v_fmac_f32_e32 v22, v18, v30
	s_delay_alu instid0(VALU_DEP_3) | instskip(SKIP_1) | instid1(VALU_DEP_3)
	v_fmac_f32_e32 v8, v33, v31
	s_wait_loadcnt 0x0
	v_dual_fmac_f32 v24, v34, v31 :: v_dual_fmac_f32 v23, v39, v32
	s_delay_alu instid0(VALU_DEP_3) | instskip(NEXT) | instid1(VALU_DEP_3)
	v_fmac_f32_e32 v22, v36, v31
	v_fmac_f32_e32 v8, v37, v32
	s_delay_alu instid0(VALU_DEP_3) | instskip(NEXT) | instid1(VALU_DEP_3)
	v_fmac_f32_e32 v24, v38, v32
	v_fmac_f32_e32 v22, v40, v32
	s_wait_alu 0xfffe
	s_and_not1_b32 exec_lo, exec_lo, s4
	s_cbranch_execnz .LBB22_29
; %bb.30:
	s_or_b32 exec_lo, exec_lo, s4
.LBB22_31:
	s_wait_alu 0xfffe
	s_or_b32 exec_lo, exec_lo, s2
	s_delay_alu instid0(SALU_CYCLE_1)
	s_mov_b32 s2, exec_lo
	v_cmpx_lt_u64_e32 47, v[9:10]
	s_cbranch_execz .LBB22_35
; %bb.32:
	v_lshlrev_b64_e32 v[9:10], 2, v[0:1]
	s_mov_b32 s4, 0
	s_delay_alu instid0(VALU_DEP_1) | instskip(SKIP_1) | instid1(VALU_DEP_2)
	v_add_co_u32 v7, vcc_lo, s8, v9
	s_wait_alu 0xfffd
	v_add_co_ci_u32_e64 v10, null, s9, v10, vcc_lo
	s_delay_alu instid0(VALU_DEP_2) | instskip(SKIP_1) | instid1(VALU_DEP_2)
	v_add_co_u32 v9, vcc_lo, 0x80, v7
	s_wait_alu 0xfffd
	v_add_co_ci_u32_e64 v10, null, 0, v10, vcc_lo
.LBB22_33:                              ; =>This Inner Loop Header: Depth=1
	s_clause 0x3
	global_load_b32 v7, v[9:10], off offset:-128
	global_load_b32 v19, v[9:10], off offset:-64
	global_load_b32 v20, v[9:10], off
	global_load_b32 v73, v[9:10], off offset:64
	s_clause 0xd
	global_load_b128 v[11:14], v[5:6], off offset:48
	global_load_b128 v[15:18], v[5:6], off offset:32
	global_load_b128 v[25:28], v[5:6], off offset:16
	global_load_b128 v[29:32], v[5:6], off
	global_load_b128 v[33:36], v[5:6], off offset:1072
	global_load_b128 v[37:40], v[5:6], off offset:1056
	;; [unrolled: 1-line block ×10, first 2 shown]
	s_wait_loadcnt 0x11
	v_subrev_nc_u32_e32 v7, s16, v7
	s_wait_loadcnt 0x10
	v_subrev_nc_u32_e32 v74, s16, v19
	s_wait_loadcnt 0xf
	v_subrev_nc_u32_e32 v20, s16, v20
	s_wait_loadcnt 0xe
	v_subrev_nc_u32_e32 v73, s16, v73
	v_lshlrev_b32_e32 v19, 2, v7
	v_lshlrev_b32_e32 v77, 2, v74
	;; [unrolled: 1-line block ×3, first 2 shown]
	s_delay_alu instid0(VALU_DEP_4) | instskip(NEXT) | instid1(VALU_DEP_4)
	v_lshlrev_b32_e32 v85, 2, v73
	v_ashrrev_i32_e32 v20, 31, v19
	s_delay_alu instid0(VALU_DEP_1) | instskip(SKIP_1) | instid1(VALU_DEP_1)
	v_lshlrev_b64_e32 v[19:20], 2, v[19:20]
	s_wait_kmcnt 0x0
	v_add_co_u32 v19, vcc_lo, s6, v19
	s_wait_alu 0xfffd
	s_delay_alu instid0(VALU_DEP_2)
	v_add_co_ci_u32_e64 v20, null, s7, v20, vcc_lo
	global_load_b128 v[73:76], v[19:20], off
	s_wait_loadcnt 0x0
	v_fmac_f32_e32 v24, v30, v73
	v_ashrrev_i32_e32 v78, 31, v77
	v_fmac_f32_e32 v22, v32, v73
	v_ashrrev_i32_e32 v82, 31, v81
	v_fmac_f32_e32 v8, v29, v73
	v_dual_fmac_f32 v23, v31, v73 :: v_dual_fmac_f32 v24, v26, v74
	v_lshlrev_b64_e32 v[19:20], 2, v[77:78]
	s_delay_alu instid0(VALU_DEP_3) | instskip(SKIP_1) | instid1(VALU_DEP_4)
	v_fmac_f32_e32 v8, v25, v74
	v_ashrrev_i32_e32 v86, 31, v85
	v_dual_fmac_f32 v23, v27, v74 :: v_dual_fmac_f32 v24, v16, v75
	s_delay_alu instid0(VALU_DEP_4) | instskip(SKIP_2) | instid1(VALU_DEP_3)
	v_add_co_u32 v19, vcc_lo, s6, v19
	s_wait_alu 0xfffd
	v_add_co_ci_u32_e64 v20, null, s7, v20, vcc_lo
	v_dual_fmac_f32 v22, v28, v74 :: v_dual_fmac_f32 v23, v17, v75
	v_fmac_f32_e32 v8, v15, v75
	global_load_b128 v[77:80], v[19:20], off
	v_lshlrev_b64_e32 v[19:20], 2, v[81:82]
	v_dual_fmac_f32 v23, v13, v76 :: v_dual_fmac_f32 v22, v18, v75
	v_fmac_f32_e32 v8, v11, v76
	s_delay_alu instid0(VALU_DEP_3) | instskip(SKIP_1) | instid1(VALU_DEP_4)
	v_add_co_u32 v19, vcc_lo, s6, v19
	s_wait_alu 0xfffd
	v_add_co_ci_u32_e64 v20, null, s7, v20, vcc_lo
	global_load_b128 v[81:84], v[19:20], off
	v_lshlrev_b64_e32 v[19:20], 2, v[85:86]
	s_delay_alu instid0(VALU_DEP_1) | instskip(SKIP_1) | instid1(VALU_DEP_2)
	v_add_co_u32 v19, vcc_lo, s6, v19
	s_wait_alu 0xfffd
	v_add_co_ci_u32_e64 v20, null, s7, v20, vcc_lo
	global_load_b128 v[85:88], v[19:20], off
	s_clause 0x1
	global_load_b128 v[89:92], v[5:6], off offset:3104
	global_load_b128 v[29:32], v[5:6], off offset:3120
	v_add_co_u32 v5, vcc_lo, 0x1000, v5
	s_wait_alu 0xfffd
	v_add_co_ci_u32_e64 v6, null, 0, v6, vcc_lo
	v_add_co_u32 v0, vcc_lo, v0, 64
	s_wait_alu 0xfffd
	v_add_co_ci_u32_e64 v1, null, 0, v1, vcc_lo
	v_add_co_u32 v9, vcc_lo, 0x100, v9
	s_wait_alu 0xfffd
	v_add_co_ci_u32_e64 v10, null, 0, v10, vcc_lo
	s_delay_alu instid0(VALU_DEP_3) | instskip(SKIP_4) | instid1(VALU_DEP_1)
	v_cmp_ge_i64_e32 vcc_lo, v[0:1], v[2:3]
	s_wait_alu 0xfffe
	s_or_b32 s4, vcc_lo, s4
	s_wait_loadcnt 0x4
	v_dual_fmac_f32 v23, v47, v77 :: v_dual_fmac_f32 v24, v12, v76
	v_dual_fmac_f32 v23, v43, v78 :: v_dual_fmac_f32 v22, v14, v76
	s_delay_alu instid0(VALU_DEP_1) | instskip(NEXT) | instid1(VALU_DEP_1)
	v_dual_fmac_f32 v23, v39, v79 :: v_dual_fmac_f32 v8, v45, v77
	v_dual_fmac_f32 v23, v35, v80 :: v_dual_fmac_f32 v8, v41, v78
	s_wait_loadcnt 0x3
	s_delay_alu instid0(VALU_DEP_1) | instskip(NEXT) | instid1(VALU_DEP_1)
	v_fmac_f32_e32 v23, v63, v81
	v_dual_fmac_f32 v24, v46, v77 :: v_dual_fmac_f32 v23, v59, v82
	s_delay_alu instid0(VALU_DEP_1) | instskip(NEXT) | instid1(VALU_DEP_1)
	v_dual_fmac_f32 v22, v48, v77 :: v_dual_fmac_f32 v23, v55, v83
	v_dual_fmac_f32 v24, v42, v78 :: v_dual_fmac_f32 v23, v51, v84
	s_wait_loadcnt 0x2
	s_delay_alu instid0(VALU_DEP_1) | instskip(SKIP_1) | instid1(VALU_DEP_2)
	v_dual_fmac_f32 v22, v44, v78 :: v_dual_fmac_f32 v23, v71, v85
	v_fmac_f32_e32 v8, v37, v79
	v_dual_fmac_f32 v22, v40, v79 :: v_dual_fmac_f32 v23, v67, v86
	s_delay_alu instid0(VALU_DEP_2) | instskip(SKIP_1) | instid1(VALU_DEP_2)
	v_fmac_f32_e32 v8, v33, v80
	s_wait_loadcnt 0x1
	v_dual_fmac_f32 v22, v36, v80 :: v_dual_fmac_f32 v23, v91, v87
	v_fmac_f32_e32 v24, v38, v79
	s_delay_alu instid0(VALU_DEP_3) | instskip(SKIP_1) | instid1(VALU_DEP_3)
	v_fmac_f32_e32 v8, v61, v81
	s_wait_loadcnt 0x0
	v_dual_fmac_f32 v22, v64, v81 :: v_dual_fmac_f32 v23, v31, v88
	s_delay_alu instid0(VALU_DEP_3) | instskip(NEXT) | instid1(VALU_DEP_3)
	v_fmac_f32_e32 v24, v34, v80
	v_fmac_f32_e32 v8, v57, v82
	s_delay_alu instid0(VALU_DEP_3) | instskip(NEXT) | instid1(VALU_DEP_3)
	v_fmac_f32_e32 v22, v60, v82
	v_fmac_f32_e32 v24, v62, v81
	;; [unrolled: 3-line block ×11, first 2 shown]
	s_delay_alu instid0(VALU_DEP_1)
	v_fmac_f32_e32 v24, v30, v88
	s_wait_alu 0xfffe
	s_and_not1_b32 exec_lo, exec_lo, s4
	s_cbranch_execnz .LBB22_33
; %bb.34:
	s_or_b32 exec_lo, exec_lo, s4
.LBB22_35:
	s_wait_alu 0xfffe
	s_or_b32 exec_lo, exec_lo, s2
.LBB22_36:
	s_wait_alu 0xfffe
	s_or_b32 exec_lo, exec_lo, s3
.LBB22_37:
	v_mbcnt_lo_u32_b32 v0, -1, 0
	s_mov_b32 s2, -1
	s_delay_alu instid0(VALU_DEP_1) | instskip(SKIP_2) | instid1(VALU_DEP_3)
	v_xor_b32_e32 v1, 8, v0
	v_xor_b32_e32 v6, 4, v0
	;; [unrolled: 1-line block ×3, first 2 shown]
	v_cmp_gt_i32_e32 vcc_lo, 32, v1
	s_wait_alu 0xfffd
	v_cndmask_b32_e32 v1, v0, v1, vcc_lo
	v_cmp_gt_i32_e32 vcc_lo, 32, v6
	s_wait_alu 0xfffd
	v_cndmask_b32_e32 v6, v0, v6, vcc_lo
	v_cmp_gt_i32_e32 vcc_lo, 32, v10
	s_delay_alu instid0(VALU_DEP_2)
	v_lshlrev_b32_e32 v6, 2, v6
	s_wait_alu 0xfffd
	v_dual_cndmask_b32 v10, v0, v10 :: v_dual_lshlrev_b32 v1, 2, v1
	ds_bpermute_b32 v2, v1, v8
	v_lshlrev_b32_e32 v10, 2, v10
	s_wait_dscnt 0x0
	v_add_f32_e32 v2, v8, v2
	ds_bpermute_b32 v3, v1, v24
	ds_bpermute_b32 v5, v1, v23
	;; [unrolled: 1-line block ×4, first 2 shown]
	s_wait_dscnt 0x3
	v_add_f32_e32 v3, v24, v3
	s_wait_dscnt 0x2
	v_add_f32_e32 v5, v23, v5
	;; [unrolled: 2-line block ×3, first 2 shown]
	ds_bpermute_b32 v8, v6, v3
	ds_bpermute_b32 v9, v6, v5
	;; [unrolled: 1-line block ×3, first 2 shown]
	s_wait_dscnt 0x2
	v_dual_add_f32 v2, v2, v7 :: v_dual_add_f32 v3, v3, v8
	s_wait_dscnt 0x1
	v_add_f32_e32 v5, v5, v9
	ds_bpermute_b32 v7, v10, v3
	s_wait_dscnt 0x1
	v_add_f32_e32 v6, v1, v6
	ds_bpermute_b32 v1, v10, v2
	ds_bpermute_b32 v8, v10, v5
	;; [unrolled: 1-line block ×3, first 2 shown]
	v_xor_b32_e32 v10, 1, v0
	s_delay_alu instid0(VALU_DEP_1) | instskip(SKIP_3) | instid1(VALU_DEP_2)
	v_cmp_gt_i32_e32 vcc_lo, 32, v10
	s_wait_alu 0xfffd
	v_cndmask_b32_e32 v0, v0, v10, vcc_lo
	v_cmp_eq_u32_e32 vcc_lo, 15, v21
	v_lshlrev_b32_e32 v10, 2, v0
	s_wait_dscnt 0x2
	v_dual_add_f32 v0, v2, v1 :: v_dual_add_f32 v1, v3, v7
	s_wait_dscnt 0x0
	v_dual_add_f32 v2, v5, v8 :: v_dual_add_f32 v3, v6, v9
	ds_bpermute_b32 v5, v10, v0
	ds_bpermute_b32 v6, v10, v1
	;; [unrolled: 1-line block ×4, first 2 shown]
	s_and_b32 exec_lo, exec_lo, vcc_lo
	s_cbranch_execz .LBB22_10
; %bb.38:
	s_load_b64 s[0:1], s[0:1], 0x50
	s_wait_dscnt 0x2
	v_dual_add_f32 v0, v0, v5 :: v_dual_add_f32 v1, v1, v6
	s_wait_dscnt 0x0
	v_dual_add_f32 v2, v2, v7 :: v_dual_add_f32 v3, v3, v8
	v_lshlrev_b32_e32 v4, 2, v4
	s_delay_alu instid0(VALU_DEP_3) | instskip(NEXT) | instid1(VALU_DEP_3)
	v_dual_mul_f32 v0, s14, v0 :: v_dual_mul_f32 v1, s14, v1
	v_dual_mul_f32 v2, s14, v2 :: v_dual_mul_f32 v3, s14, v3
	s_cmp_eq_f32 s12, 0
	s_cbranch_scc0 .LBB22_40
; %bb.39:
	v_ashrrev_i32_e32 v5, 31, v4
	s_mov_b32 s2, 0
	s_delay_alu instid0(VALU_DEP_1) | instskip(SKIP_1) | instid1(VALU_DEP_1)
	v_lshlrev_b64_e32 v[5:6], 2, v[4:5]
	s_wait_kmcnt 0x0
	v_add_co_u32 v5, vcc_lo, s0, v5
	s_wait_alu 0xfffd
	s_delay_alu instid0(VALU_DEP_2)
	v_add_co_ci_u32_e64 v6, null, s1, v6, vcc_lo
	global_store_b128 v[5:6], v[0:3], off
.LBB22_40:
	s_wait_alu 0xfffe
	s_and_not1_b32 vcc_lo, exec_lo, s2
	s_wait_alu 0xfffe
	s_cbranch_vccnz .LBB22_10
; %bb.41:
	v_ashrrev_i32_e32 v5, 31, v4
	s_delay_alu instid0(VALU_DEP_1) | instskip(SKIP_1) | instid1(VALU_DEP_1)
	v_lshlrev_b64_e32 v[4:5], 2, v[4:5]
	s_wait_kmcnt 0x0
	v_add_co_u32 v8, vcc_lo, s0, v4
	s_wait_alu 0xfffd
	s_delay_alu instid0(VALU_DEP_2)
	v_add_co_ci_u32_e64 v9, null, s1, v5, vcc_lo
	global_load_b128 v[4:7], v[8:9], off
	s_wait_loadcnt 0x0
	v_dual_fmac_f32 v0, s12, v4 :: v_dual_fmac_f32 v1, s12, v5
	v_dual_fmac_f32 v2, s12, v6 :: v_dual_fmac_f32 v3, s12, v7
	global_store_b128 v[8:9], v[0:3], off
	s_nop 0
	s_sendmsg sendmsg(MSG_DEALLOC_VGPRS)
	s_endpgm
	.section	.rodata,"a",@progbits
	.p2align	6, 0x0
	.amdhsa_kernel _ZN9rocsparseL18bsrxmvn_4x4_kernelILj128ELj16EflifffEEvT3_20rocsparse_direction_NS_24const_host_device_scalarIT1_EES1_PKS1_PKT2_SA_S7_PKT4_PKT5_S5_PT6_21rocsparse_index_base_b
		.amdhsa_group_segment_fixed_size 0
		.amdhsa_private_segment_fixed_size 0
		.amdhsa_kernarg_size 96
		.amdhsa_user_sgpr_count 2
		.amdhsa_user_sgpr_dispatch_ptr 0
		.amdhsa_user_sgpr_queue_ptr 0
		.amdhsa_user_sgpr_kernarg_segment_ptr 1
		.amdhsa_user_sgpr_dispatch_id 0
		.amdhsa_user_sgpr_private_segment_size 0
		.amdhsa_wavefront_size32 1
		.amdhsa_uses_dynamic_stack 0
		.amdhsa_enable_private_segment 0
		.amdhsa_system_sgpr_workgroup_id_x 1
		.amdhsa_system_sgpr_workgroup_id_y 0
		.amdhsa_system_sgpr_workgroup_id_z 0
		.amdhsa_system_sgpr_workgroup_info 0
		.amdhsa_system_vgpr_workitem_id 0
		.amdhsa_next_free_vgpr 99
		.amdhsa_next_free_sgpr 18
		.amdhsa_reserve_vcc 1
		.amdhsa_float_round_mode_32 0
		.amdhsa_float_round_mode_16_64 0
		.amdhsa_float_denorm_mode_32 3
		.amdhsa_float_denorm_mode_16_64 3
		.amdhsa_fp16_overflow 0
		.amdhsa_workgroup_processor_mode 1
		.amdhsa_memory_ordered 1
		.amdhsa_forward_progress 1
		.amdhsa_inst_pref_size 36
		.amdhsa_round_robin_scheduling 0
		.amdhsa_exception_fp_ieee_invalid_op 0
		.amdhsa_exception_fp_denorm_src 0
		.amdhsa_exception_fp_ieee_div_zero 0
		.amdhsa_exception_fp_ieee_overflow 0
		.amdhsa_exception_fp_ieee_underflow 0
		.amdhsa_exception_fp_ieee_inexact 0
		.amdhsa_exception_int_div_zero 0
	.end_amdhsa_kernel
	.section	.text._ZN9rocsparseL18bsrxmvn_4x4_kernelILj128ELj16EflifffEEvT3_20rocsparse_direction_NS_24const_host_device_scalarIT1_EES1_PKS1_PKT2_SA_S7_PKT4_PKT5_S5_PT6_21rocsparse_index_base_b,"axG",@progbits,_ZN9rocsparseL18bsrxmvn_4x4_kernelILj128ELj16EflifffEEvT3_20rocsparse_direction_NS_24const_host_device_scalarIT1_EES1_PKS1_PKT2_SA_S7_PKT4_PKT5_S5_PT6_21rocsparse_index_base_b,comdat
.Lfunc_end22:
	.size	_ZN9rocsparseL18bsrxmvn_4x4_kernelILj128ELj16EflifffEEvT3_20rocsparse_direction_NS_24const_host_device_scalarIT1_EES1_PKS1_PKT2_SA_S7_PKT4_PKT5_S5_PT6_21rocsparse_index_base_b, .Lfunc_end22-_ZN9rocsparseL18bsrxmvn_4x4_kernelILj128ELj16EflifffEEvT3_20rocsparse_direction_NS_24const_host_device_scalarIT1_EES1_PKS1_PKT2_SA_S7_PKT4_PKT5_S5_PT6_21rocsparse_index_base_b
                                        ; -- End function
	.set _ZN9rocsparseL18bsrxmvn_4x4_kernelILj128ELj16EflifffEEvT3_20rocsparse_direction_NS_24const_host_device_scalarIT1_EES1_PKS1_PKT2_SA_S7_PKT4_PKT5_S5_PT6_21rocsparse_index_base_b.num_vgpr, 99
	.set _ZN9rocsparseL18bsrxmvn_4x4_kernelILj128ELj16EflifffEEvT3_20rocsparse_direction_NS_24const_host_device_scalarIT1_EES1_PKS1_PKT2_SA_S7_PKT4_PKT5_S5_PT6_21rocsparse_index_base_b.num_agpr, 0
	.set _ZN9rocsparseL18bsrxmvn_4x4_kernelILj128ELj16EflifffEEvT3_20rocsparse_direction_NS_24const_host_device_scalarIT1_EES1_PKS1_PKT2_SA_S7_PKT4_PKT5_S5_PT6_21rocsparse_index_base_b.numbered_sgpr, 18
	.set _ZN9rocsparseL18bsrxmvn_4x4_kernelILj128ELj16EflifffEEvT3_20rocsparse_direction_NS_24const_host_device_scalarIT1_EES1_PKS1_PKT2_SA_S7_PKT4_PKT5_S5_PT6_21rocsparse_index_base_b.num_named_barrier, 0
	.set _ZN9rocsparseL18bsrxmvn_4x4_kernelILj128ELj16EflifffEEvT3_20rocsparse_direction_NS_24const_host_device_scalarIT1_EES1_PKS1_PKT2_SA_S7_PKT4_PKT5_S5_PT6_21rocsparse_index_base_b.private_seg_size, 0
	.set _ZN9rocsparseL18bsrxmvn_4x4_kernelILj128ELj16EflifffEEvT3_20rocsparse_direction_NS_24const_host_device_scalarIT1_EES1_PKS1_PKT2_SA_S7_PKT4_PKT5_S5_PT6_21rocsparse_index_base_b.uses_vcc, 1
	.set _ZN9rocsparseL18bsrxmvn_4x4_kernelILj128ELj16EflifffEEvT3_20rocsparse_direction_NS_24const_host_device_scalarIT1_EES1_PKS1_PKT2_SA_S7_PKT4_PKT5_S5_PT6_21rocsparse_index_base_b.uses_flat_scratch, 0
	.set _ZN9rocsparseL18bsrxmvn_4x4_kernelILj128ELj16EflifffEEvT3_20rocsparse_direction_NS_24const_host_device_scalarIT1_EES1_PKS1_PKT2_SA_S7_PKT4_PKT5_S5_PT6_21rocsparse_index_base_b.has_dyn_sized_stack, 0
	.set _ZN9rocsparseL18bsrxmvn_4x4_kernelILj128ELj16EflifffEEvT3_20rocsparse_direction_NS_24const_host_device_scalarIT1_EES1_PKS1_PKT2_SA_S7_PKT4_PKT5_S5_PT6_21rocsparse_index_base_b.has_recursion, 0
	.set _ZN9rocsparseL18bsrxmvn_4x4_kernelILj128ELj16EflifffEEvT3_20rocsparse_direction_NS_24const_host_device_scalarIT1_EES1_PKS1_PKT2_SA_S7_PKT4_PKT5_S5_PT6_21rocsparse_index_base_b.has_indirect_call, 0
	.section	.AMDGPU.csdata,"",@progbits
; Kernel info:
; codeLenInByte = 4548
; TotalNumSgprs: 20
; NumVgprs: 99
; ScratchSize: 0
; MemoryBound: 0
; FloatMode: 240
; IeeeMode: 1
; LDSByteSize: 0 bytes/workgroup (compile time only)
; SGPRBlocks: 0
; VGPRBlocks: 12
; NumSGPRsForWavesPerEU: 20
; NumVGPRsForWavesPerEU: 99
; Occupancy: 12
; WaveLimiterHint : 1
; COMPUTE_PGM_RSRC2:SCRATCH_EN: 0
; COMPUTE_PGM_RSRC2:USER_SGPR: 2
; COMPUTE_PGM_RSRC2:TRAP_HANDLER: 0
; COMPUTE_PGM_RSRC2:TGID_X_EN: 1
; COMPUTE_PGM_RSRC2:TGID_Y_EN: 0
; COMPUTE_PGM_RSRC2:TGID_Z_EN: 0
; COMPUTE_PGM_RSRC2:TIDIG_COMP_CNT: 0
	.section	.text._ZN9rocsparseL18bsrxmvn_4x4_kernelILj128ELj32EflifffEEvT3_20rocsparse_direction_NS_24const_host_device_scalarIT1_EES1_PKS1_PKT2_SA_S7_PKT4_PKT5_S5_PT6_21rocsparse_index_base_b,"axG",@progbits,_ZN9rocsparseL18bsrxmvn_4x4_kernelILj128ELj32EflifffEEvT3_20rocsparse_direction_NS_24const_host_device_scalarIT1_EES1_PKS1_PKT2_SA_S7_PKT4_PKT5_S5_PT6_21rocsparse_index_base_b,comdat
	.globl	_ZN9rocsparseL18bsrxmvn_4x4_kernelILj128ELj32EflifffEEvT3_20rocsparse_direction_NS_24const_host_device_scalarIT1_EES1_PKS1_PKT2_SA_S7_PKT4_PKT5_S5_PT6_21rocsparse_index_base_b ; -- Begin function _ZN9rocsparseL18bsrxmvn_4x4_kernelILj128ELj32EflifffEEvT3_20rocsparse_direction_NS_24const_host_device_scalarIT1_EES1_PKS1_PKT2_SA_S7_PKT4_PKT5_S5_PT6_21rocsparse_index_base_b
	.p2align	8
	.type	_ZN9rocsparseL18bsrxmvn_4x4_kernelILj128ELj32EflifffEEvT3_20rocsparse_direction_NS_24const_host_device_scalarIT1_EES1_PKS1_PKT2_SA_S7_PKT4_PKT5_S5_PT6_21rocsparse_index_base_b,@function
_ZN9rocsparseL18bsrxmvn_4x4_kernelILj128ELj32EflifffEEvT3_20rocsparse_direction_NS_24const_host_device_scalarIT1_EES1_PKS1_PKT2_SA_S7_PKT4_PKT5_S5_PT6_21rocsparse_index_base_b: ; @_ZN9rocsparseL18bsrxmvn_4x4_kernelILj128ELj32EflifffEEvT3_20rocsparse_direction_NS_24const_host_device_scalarIT1_EES1_PKS1_PKT2_SA_S7_PKT4_PKT5_S5_PT6_21rocsparse_index_base_b
; %bb.0:
	s_clause 0x2
	s_load_b64 s[16:17], s[0:1], 0x58
	s_load_b64 s[14:15], s[0:1], 0x8
	;; [unrolled: 1-line block ×3, first 2 shown]
	s_wait_kmcnt 0x0
	s_bitcmp1_b32 s17, 0
	s_cselect_b32 s2, -1, 0
	s_delay_alu instid0(SALU_CYCLE_1)
	s_and_b32 vcc_lo, exec_lo, s2
	s_xor_b32 s2, s2, -1
	s_cbranch_vccnz .LBB23_2
; %bb.1:
	s_load_b32 s14, s[14:15], 0x0
.LBB23_2:
	s_and_not1_b32 vcc_lo, exec_lo, s2
	s_cbranch_vccnz .LBB23_4
; %bb.3:
	s_load_b32 s12, s[12:13], 0x0
.LBB23_4:
	s_wait_kmcnt 0x0
	s_cmp_neq_f32 s14, 0
	s_mov_b32 s6, 0
	s_cselect_b32 s2, -1, 0
	s_cmp_neq_f32 s12, 1.0
	s_cselect_b32 s3, -1, 0
	s_delay_alu instid0(SALU_CYCLE_1) | instskip(NEXT) | instid1(SALU_CYCLE_1)
	s_or_b32 s2, s2, s3
	s_and_not1_b32 vcc_lo, exec_lo, s2
	s_cbranch_vccnz .LBB23_10
; %bb.5:
	s_clause 0x1
	s_load_b64 s[4:5], s[0:1], 0x18
	s_load_b64 s[2:3], s[0:1], 0x0
	v_lshrrev_b32_e32 v1, 5, v0
	s_delay_alu instid0(VALU_DEP_1)
	v_lshl_or_b32 v4, ttmp9, 2, v1
	s_wait_kmcnt 0x0
	s_cmp_lg_u64 s[4:5], 0
	s_cbranch_scc0 .LBB23_11
; %bb.6:
	s_load_b32 s6, s[0:1], 0x10
	s_mov_b32 s7, 0
                                        ; implicit-def: $vgpr1
	s_wait_kmcnt 0x0
	v_cmp_gt_i32_e32 vcc_lo, s6, v4
	s_mov_b32 s6, 0
	s_and_saveexec_b32 s8, vcc_lo
	s_delay_alu instid0(SALU_CYCLE_1)
	s_xor_b32 s8, exec_lo, s8
	s_cbranch_execz .LBB23_8
; %bb.7:
	v_ashrrev_i32_e32 v5, 31, v4
	s_mov_b32 s6, exec_lo
	s_delay_alu instid0(VALU_DEP_1) | instskip(NEXT) | instid1(VALU_DEP_1)
	v_lshlrev_b64_e32 v[1:2], 2, v[4:5]
	v_add_co_u32 v1, vcc_lo, s4, v1
	s_delay_alu instid0(VALU_DEP_1)
	v_add_co_ci_u32_e64 v2, null, s5, v2, vcc_lo
	global_load_b32 v1, v[1:2], off
	s_wait_loadcnt 0x0
	v_subrev_nc_u32_e32 v1, s16, v1
.LBB23_8:
	s_or_b32 exec_lo, exec_lo, s8
	s_delay_alu instid0(SALU_CYCLE_1)
	s_and_b32 vcc_lo, exec_lo, s7
	s_wait_alu 0xfffe
	s_cbranch_vccz .LBB23_12
.LBB23_9:
	v_cmp_gt_i32_e32 vcc_lo, s2, v4
	s_and_not1_b32 s2, s6, exec_lo
	s_and_b32 s4, vcc_lo, exec_lo
	s_wait_alu 0xfffe
	s_or_b32 s6, s2, s4
	s_wait_alu 0xfffe
	s_and_saveexec_b32 s2, s6
	s_cbranch_execnz .LBB23_13
.LBB23_10:
	s_nop 0
	s_sendmsg sendmsg(MSG_DEALLOC_VGPRS)
	s_endpgm
.LBB23_11:
                                        ; implicit-def: $vgpr1
	s_cbranch_execnz .LBB23_9
.LBB23_12:
	v_mov_b32_e32 v4, v1
	s_and_saveexec_b32 s2, s6
	s_cbranch_execz .LBB23_10
.LBB23_13:
	s_load_b256 s[4:11], s[0:1], 0x20
	s_delay_alu instid0(VALU_DEP_1) | instskip(SKIP_1) | instid1(VALU_DEP_2)
	v_ashrrev_i32_e32 v5, 31, v4
	v_dual_mov_b32 v22, 0 :: v_dual_and_b32 v21, 31, v0
	v_lshlrev_b64_e32 v[1:2], 3, v[4:5]
	s_wait_kmcnt 0x0
	s_delay_alu instid0(VALU_DEP_1) | instskip(SKIP_1) | instid1(VALU_DEP_2)
	v_add_co_u32 v5, vcc_lo, s4, v1
	s_wait_alu 0xfffd
	v_add_co_ci_u32_e64 v6, null, s5, v2, vcc_lo
	v_add_co_u32 v1, vcc_lo, s6, v1
	s_wait_alu 0xfffd
	v_add_co_ci_u32_e64 v2, null, s7, v2, vcc_lo
	v_add_co_u32 v3, vcc_lo, v5, 8
	global_load_b64 v[9:10], v[5:6], off
	s_wait_alu 0xfffd
	v_add_co_ci_u32_e64 v7, null, 0, v6, vcc_lo
	s_cmp_eq_u64 s[6:7], 0
	s_load_b64 s[6:7], s[0:1], 0x40
	s_cselect_b32 vcc_lo, -1, 0
	s_cmp_eq_u32 s3, 1
	s_wait_alu 0xfffe
	v_cndmask_b32_e32 v2, v2, v7, vcc_lo
	v_cndmask_b32_e32 v1, v1, v3, vcc_lo
	global_load_b64 v[2:3], v[1:2], off
	s_wait_loadcnt 0x1
	v_sub_co_u32 v0, vcc_lo, v9, s16
	s_wait_alu 0xfffd
	v_subrev_co_ci_u32_e64 v1, null, 0, v10, vcc_lo
	s_delay_alu instid0(VALU_DEP_2) | instskip(SKIP_1) | instid1(VALU_DEP_2)
	v_add_co_u32 v0, vcc_lo, v0, v21
	s_wait_alu 0xfffd
	v_add_co_ci_u32_e64 v1, null, 0, v1, vcc_lo
	s_delay_alu instid0(VALU_DEP_1) | instskip(SKIP_4) | instid1(VALU_DEP_3)
	v_lshlrev_b64_e32 v[5:6], 6, v[0:1]
	s_wait_loadcnt 0x0
	v_sub_co_u32 v2, vcc_lo, v2, s16
	s_wait_alu 0xfffd
	v_subrev_co_ci_u32_e64 v3, null, 0, v3, vcc_lo
	v_add_co_u32 v5, vcc_lo, s10, v5
	s_delay_alu instid0(VALU_DEP_2)
	v_cmp_lt_i64_e64 s2, v[0:1], v[2:3]
	s_wait_alu 0xfffd
	v_add_co_ci_u32_e64 v6, null, s11, v6, vcc_lo
	s_cbranch_scc1 .LBB23_25
; %bb.14:
	v_dual_mov_b32 v23, 0 :: v_dual_mov_b32 v24, 0
	v_mov_b32_e32 v8, 0
	s_and_saveexec_b32 s5, s2
	s_cbranch_execz .LBB23_24
; %bb.15:
	v_or_b32_e32 v7, 32, v21
	v_not_b32_e32 v12, v9
	v_not_b32_e32 v11, v10
	s_delay_alu instid0(VALU_DEP_3) | instskip(SKIP_3) | instid1(VALU_DEP_3)
	v_sub_co_u32 v7, s3, v7, s16
	s_wait_alu 0xf1ff
	v_sub_co_ci_u32_e64 v8, null, 0, 0, s3
	v_sub_co_u32 v13, s3, s16, v21
	v_add_co_u32 v7, vcc_lo, v7, v9
	s_wait_alu 0xfffd
	s_delay_alu instid0(VALU_DEP_3)
	v_add_co_ci_u32_e64 v8, null, v8, v10, vcc_lo
	s_wait_alu 0xf1ff
	v_sub_co_ci_u32_e64 v14, null, 0, 0, s3
	s_mov_b32 s3, exec_lo
	v_cmp_gt_i64_e32 vcc_lo, v[7:8], v[2:3]
	s_wait_alu 0xfffd
	v_dual_cndmask_b32 v16, v3, v8 :: v_dual_cndmask_b32 v7, v2, v7
	v_add_co_u32 v8, vcc_lo, v13, v12
	s_wait_alu 0xfffd
	v_add_co_ci_u32_e64 v11, null, v14, v11, vcc_lo
	v_mov_b32_e32 v14, v6
	s_delay_alu instid0(VALU_DEP_3) | instskip(SKIP_4) | instid1(VALU_DEP_3)
	v_add_co_u32 v15, vcc_lo, v8, v7
	v_mov_b32_e32 v8, 0
	s_wait_alu 0xfffd
	v_add_co_ci_u32_e64 v16, null, v11, v16, vcc_lo
	v_dual_mov_b32 v12, v1 :: v_dual_mov_b32 v13, v5
	v_dual_mov_b32 v24, v8 :: v_dual_and_b32 v7, 0x60, v15
	v_dual_mov_b32 v23, v8 :: v_dual_mov_b32 v22, v8
	v_mov_b32_e32 v11, v0
	s_delay_alu instid0(VALU_DEP_3)
	v_cmpx_ne_u64_e32 0x60, v[7:8]
	s_cbranch_execz .LBB23_19
; %bb.16:
	v_lshrrev_b32_e32 v7, 5, v15
	v_mov_b32_e32 v22, 0
	v_dual_mov_b32 v14, v6 :: v_dual_mov_b32 v13, v5
	v_dual_mov_b32 v12, v1 :: v_dual_mov_b32 v11, v0
	s_delay_alu instid0(VALU_DEP_4) | instskip(SKIP_2) | instid1(VALU_DEP_3)
	v_add_nc_u32_e32 v17, 1, v7
	v_lshlrev_b64_e32 v[7:8], 2, v[0:1]
	v_dual_mov_b32 v23, 0 :: v_dual_mov_b32 v24, 0
	v_and_b32_e32 v19, 3, v17
	s_delay_alu instid0(VALU_DEP_3) | instskip(SKIP_1) | instid1(VALU_DEP_4)
	v_add_co_u32 v17, vcc_lo, s8, v7
	s_wait_alu 0xfffd
	v_add_co_ci_u32_e64 v18, null, s9, v8, vcc_lo
	v_mov_b32_e32 v8, 0
	v_sub_co_u32 v19, s4, 0, v19
	s_wait_alu 0xf1ff
	v_sub_co_ci_u32_e64 v20, null, 0, 0, s4
	s_mov_b32 s4, 0
.LBB23_17:                              ; =>This Inner Loop Header: Depth=1
	global_load_b32 v7, v[17:18], off
	s_clause 0x3
	global_load_b128 v[25:28], v[13:14], off offset:48
	global_load_b128 v[29:32], v[13:14], off offset:32
	;; [unrolled: 1-line block ×3, first 2 shown]
	global_load_b128 v[37:40], v[13:14], off
	s_wait_loadcnt 0x4
	v_subrev_nc_u32_e32 v7, s16, v7
	s_delay_alu instid0(VALU_DEP_1) | instskip(NEXT) | instid1(VALU_DEP_1)
	v_lshlrev_b32_e32 v41, 2, v7
	v_ashrrev_i32_e32 v42, 31, v41
	s_delay_alu instid0(VALU_DEP_1) | instskip(SKIP_1) | instid1(VALU_DEP_1)
	v_lshlrev_b64_e32 v[41:42], 2, v[41:42]
	s_wait_kmcnt 0x0
	v_add_co_u32 v41, vcc_lo, s6, v41
	s_wait_alu 0xfffd
	s_delay_alu instid0(VALU_DEP_2)
	v_add_co_ci_u32_e64 v42, null, s7, v42, vcc_lo
	v_add_co_u32 v13, vcc_lo, 0x800, v13
	s_wait_alu 0xfffd
	v_add_co_ci_u32_e64 v14, null, 0, v14, vcc_lo
	global_load_b128 v[41:44], v[41:42], off
	v_add_co_u32 v11, vcc_lo, v11, 32
	s_wait_alu 0xfffd
	v_add_co_ci_u32_e64 v12, null, 0, v12, vcc_lo
	v_add_co_u32 v17, vcc_lo, 0x80, v17
	s_wait_alu 0xfffd
	v_add_co_ci_u32_e64 v18, null, 0, v18, vcc_lo
	;; [unrolled: 3-line block ×3, first 2 shown]
	s_delay_alu instid0(VALU_DEP_1) | instskip(SKIP_4) | instid1(VALU_DEP_1)
	v_cmp_eq_u64_e32 vcc_lo, 0, v[19:20]
	s_wait_alu 0xfffe
	s_or_b32 s4, vcc_lo, s4
	s_wait_loadcnt 0x0
	v_fmac_f32_e32 v23, v29, v41
	v_dual_fmac_f32 v8, v37, v41 :: v_dual_fmac_f32 v23, v30, v42
	v_fmac_f32_e32 v24, v33, v41
	s_delay_alu instid0(VALU_DEP_2) | instskip(SKIP_1) | instid1(VALU_DEP_3)
	v_dual_fmac_f32 v8, v38, v42 :: v_dual_fmac_f32 v23, v31, v43
	v_fmac_f32_e32 v22, v25, v41
	v_fmac_f32_e32 v24, v34, v42
	s_delay_alu instid0(VALU_DEP_3) | instskip(NEXT) | instid1(VALU_DEP_3)
	v_dual_fmac_f32 v8, v39, v43 :: v_dual_fmac_f32 v23, v32, v44
	v_fmac_f32_e32 v22, v26, v42
	s_delay_alu instid0(VALU_DEP_3) | instskip(NEXT) | instid1(VALU_DEP_3)
	v_fmac_f32_e32 v24, v35, v43
	v_fmac_f32_e32 v8, v40, v44
	s_delay_alu instid0(VALU_DEP_3) | instskip(NEXT) | instid1(VALU_DEP_3)
	v_fmac_f32_e32 v22, v27, v43
	v_fmac_f32_e32 v24, v36, v44
	s_delay_alu instid0(VALU_DEP_2)
	v_fmac_f32_e32 v22, v28, v44
	s_wait_alu 0xfffe
	s_and_not1_b32 exec_lo, exec_lo, s4
	s_cbranch_execnz .LBB23_17
; %bb.18:
	s_or_b32 exec_lo, exec_lo, s4
.LBB23_19:
	s_wait_alu 0xfffe
	s_or_b32 exec_lo, exec_lo, s3
	s_delay_alu instid0(SALU_CYCLE_1)
	s_mov_b32 s10, exec_lo
	v_cmpx_lt_u64_e32 0x5f, v[15:16]
	s_cbranch_execz .LBB23_23
; %bb.20:
	v_lshlrev_b64_e32 v[15:16], 2, v[11:12]
	s_mov_b32 s11, 0
	s_delay_alu instid0(VALU_DEP_1) | instskip(SKIP_1) | instid1(VALU_DEP_2)
	v_add_co_u32 v7, vcc_lo, s8, v15
	s_wait_alu 0xfffd
	v_add_co_ci_u32_e64 v16, null, s9, v16, vcc_lo
	s_delay_alu instid0(VALU_DEP_2) | instskip(SKIP_1) | instid1(VALU_DEP_2)
	v_add_co_u32 v15, vcc_lo, 0x100, v7
	s_wait_alu 0xfffd
	v_add_co_ci_u32_e64 v16, null, 0, v16, vcc_lo
.LBB23_21:                              ; =>This Inner Loop Header: Depth=1
	s_clause 0x3
	global_load_b32 v7, v[15:16], off offset:-256
	global_load_b32 v85, v[15:16], off offset:-128
	global_load_b32 v86, v[15:16], off
	global_load_b32 v87, v[15:16], off offset:128
	s_clause 0xf
	global_load_b128 v[17:20], v[13:14], off offset:48
	global_load_b128 v[25:28], v[13:14], off offset:32
	;; [unrolled: 1-line block ×3, first 2 shown]
	global_load_b128 v[33:36], v[13:14], off
	global_load_b128 v[37:40], v[13:14], off offset:2096
	global_load_b128 v[41:44], v[13:14], off offset:2080
	;; [unrolled: 1-line block ×12, first 2 shown]
	v_add_co_u32 v11, s3, 0x80, v11
	s_wait_alu 0xf1ff
	v_add_co_ci_u32_e64 v12, null, 0, v12, s3
	v_add_co_u32 v15, s4, 0x200, v15
	s_wait_alu 0xf1ff
	v_add_co_ci_u32_e64 v16, null, 0, v16, s4
	s_wait_loadcnt 0x13
	v_subrev_nc_u32_e32 v7, s16, v7
	s_wait_loadcnt 0x12
	v_subrev_nc_u32_e32 v88, s16, v85
	;; [unrolled: 2-line block ×4, first 2 shown]
	v_lshlrev_b32_e32 v85, 2, v7
	v_lshlrev_b32_e32 v89, 2, v88
	;; [unrolled: 1-line block ×3, first 2 shown]
	s_delay_alu instid0(VALU_DEP_4) | instskip(NEXT) | instid1(VALU_DEP_4)
	v_lshlrev_b32_e32 v95, 2, v87
	v_ashrrev_i32_e32 v86, 31, v85
	s_delay_alu instid0(VALU_DEP_4) | instskip(NEXT) | instid1(VALU_DEP_2)
	v_ashrrev_i32_e32 v90, 31, v89
	v_lshlrev_b64_e32 v[85:86], 2, v[85:86]
	s_delay_alu instid0(VALU_DEP_2) | instskip(SKIP_1) | instid1(VALU_DEP_2)
	v_lshlrev_b64_e32 v[89:90], 2, v[89:90]
	s_wait_kmcnt 0x0
	v_add_co_u32 v85, vcc_lo, s6, v85
	s_wait_alu 0xfffd
	s_delay_alu instid0(VALU_DEP_3) | instskip(NEXT) | instid1(VALU_DEP_3)
	v_add_co_ci_u32_e64 v86, null, s7, v86, vcc_lo
	v_add_co_u32 v89, vcc_lo, s6, v89
	s_wait_alu 0xfffd
	v_add_co_ci_u32_e64 v90, null, s7, v90, vcc_lo
	s_clause 0x1
	global_load_b128 v[85:88], v[85:86], off
	global_load_b128 v[89:92], v[89:90], off
	s_wait_loadcnt 0x1
	v_fmac_f32_e32 v8, v33, v85
	v_fmac_f32_e32 v23, v25, v85
	;; [unrolled: 1-line block ×3, first 2 shown]
	s_delay_alu instid0(VALU_DEP_3) | instskip(NEXT) | instid1(VALU_DEP_3)
	v_fmac_f32_e32 v8, v34, v86
	v_dual_fmac_f32 v23, v26, v86 :: v_dual_fmac_f32 v22, v17, v85
	s_delay_alu instid0(VALU_DEP_3) | instskip(NEXT) | instid1(VALU_DEP_3)
	v_fmac_f32_e32 v24, v30, v86
	v_fmac_f32_e32 v8, v35, v87
	v_ashrrev_i32_e32 v94, 31, v93
	s_delay_alu instid0(VALU_DEP_4) | instskip(NEXT) | instid1(VALU_DEP_3)
	v_dual_fmac_f32 v23, v27, v87 :: v_dual_fmac_f32 v22, v18, v86
	v_fmac_f32_e32 v8, v36, v88
	v_ashrrev_i32_e32 v96, 31, v95
	s_delay_alu instid0(VALU_DEP_4) | instskip(NEXT) | instid1(VALU_DEP_4)
	v_lshlrev_b64_e32 v[93:94], 2, v[93:94]
	v_dual_fmac_f32 v23, v28, v88 :: v_dual_fmac_f32 v24, v31, v87
	s_delay_alu instid0(VALU_DEP_3) | instskip(NEXT) | instid1(VALU_DEP_3)
	v_lshlrev_b64_e32 v[95:96], 2, v[95:96]
	v_add_co_u32 v93, vcc_lo, s6, v93
	s_wait_alu 0xfffd
	s_delay_alu instid0(VALU_DEP_4) | instskip(NEXT) | instid1(VALU_DEP_3)
	v_add_co_ci_u32_e64 v94, null, s7, v94, vcc_lo
	v_add_co_u32 v97, vcc_lo, s6, v95
	s_wait_alu 0xfffd
	v_add_co_ci_u32_e64 v98, null, s7, v96, vcc_lo
	global_load_b128 v[93:96], v[93:94], off
	s_wait_loadcnt 0x1
	v_dual_fmac_f32 v23, v41, v89 :: v_dual_fmac_f32 v22, v19, v87
	global_load_b128 v[33:36], v[97:98], off
	v_add_co_u32 v13, vcc_lo, 0x2000, v13
	v_dual_fmac_f32 v23, v42, v90 :: v_dual_fmac_f32 v24, v32, v88
	s_wait_alu 0xfffd
	v_add_co_ci_u32_e64 v14, null, 0, v14, vcc_lo
	v_cmp_ge_i64_e32 vcc_lo, v[11:12], v[2:3]
	s_delay_alu instid0(VALU_DEP_3) | instskip(NEXT) | instid1(VALU_DEP_1)
	v_dual_fmac_f32 v23, v43, v91 :: v_dual_fmac_f32 v8, v49, v89
	v_fmac_f32_e32 v23, v44, v92
	v_fmac_f32_e32 v22, v20, v88
	s_wait_alu 0xfffe
	s_or_b32 s11, vcc_lo, s11
	s_wait_loadcnt 0x1
	v_fmac_f32_e32 v23, v57, v93
	s_delay_alu instid0(VALU_DEP_1) | instskip(NEXT) | instid1(VALU_DEP_1)
	v_dual_fmac_f32 v24, v45, v89 :: v_dual_fmac_f32 v23, v58, v94
	v_dual_fmac_f32 v22, v37, v89 :: v_dual_fmac_f32 v23, v59, v95
	s_delay_alu instid0(VALU_DEP_1) | instskip(SKIP_1) | instid1(VALU_DEP_1)
	v_dual_fmac_f32 v8, v50, v90 :: v_dual_fmac_f32 v23, v60, v96
	s_wait_loadcnt 0x0
	v_dual_fmac_f32 v24, v46, v90 :: v_dual_fmac_f32 v23, v73, v33
	s_delay_alu instid0(VALU_DEP_1) | instskip(SKIP_1) | instid1(VALU_DEP_2)
	v_dual_fmac_f32 v8, v51, v91 :: v_dual_fmac_f32 v23, v74, v34
	v_fmac_f32_e32 v22, v38, v90
	v_dual_fmac_f32 v8, v52, v92 :: v_dual_fmac_f32 v23, v75, v35
	s_delay_alu instid0(VALU_DEP_4) | instskip(NEXT) | instid1(VALU_DEP_3)
	v_fmac_f32_e32 v24, v47, v91
	v_fmac_f32_e32 v22, v39, v91
	s_delay_alu instid0(VALU_DEP_3) | instskip(NEXT) | instid1(VALU_DEP_3)
	v_dual_fmac_f32 v8, v65, v93 :: v_dual_fmac_f32 v23, v76, v36
	v_fmac_f32_e32 v24, v48, v92
	s_delay_alu instid0(VALU_DEP_3) | instskip(NEXT) | instid1(VALU_DEP_3)
	v_fmac_f32_e32 v22, v40, v92
	v_fmac_f32_e32 v8, v66, v94
	s_delay_alu instid0(VALU_DEP_3) | instskip(NEXT) | instid1(VALU_DEP_3)
	v_fmac_f32_e32 v24, v61, v93
	;; [unrolled: 3-line block ×11, first 2 shown]
	v_fmac_f32_e32 v22, v71, v35
	s_delay_alu instid0(VALU_DEP_2) | instskip(NEXT) | instid1(VALU_DEP_2)
	v_fmac_f32_e32 v24, v80, v36
	v_fmac_f32_e32 v22, v72, v36
	s_wait_alu 0xfffe
	s_and_not1_b32 exec_lo, exec_lo, s11
	s_cbranch_execnz .LBB23_21
; %bb.22:
	s_or_b32 exec_lo, exec_lo, s11
.LBB23_23:
	s_wait_alu 0xfffe
	s_or_b32 exec_lo, exec_lo, s10
.LBB23_24:
	s_wait_alu 0xfffe
	s_or_b32 exec_lo, exec_lo, s5
	s_cbranch_execz .LBB23_26
	s_branch .LBB23_37
.LBB23_25:
                                        ; implicit-def: $vgpr22
                                        ; implicit-def: $vgpr23
                                        ; implicit-def: $vgpr24
                                        ; implicit-def: $vgpr8
.LBB23_26:
	v_dual_mov_b32 v22, 0 :: v_dual_mov_b32 v23, 0
	v_mov_b32_e32 v24, 0
	v_mov_b32_e32 v8, 0
	s_and_saveexec_b32 s3, s2
	s_cbranch_execz .LBB23_36
; %bb.27:
	v_or_b32_e32 v7, 32, v21
	s_delay_alu instid0(VALU_DEP_1) | instskip(SKIP_3) | instid1(VALU_DEP_3)
	v_sub_co_u32 v7, s2, v7, s16
	s_wait_alu 0xf1ff
	v_sub_co_ci_u32_e64 v8, null, 0, 0, s2
	v_sub_co_u32 v11, s2, s16, v21
	v_add_co_u32 v7, vcc_lo, v7, v9
	s_wait_alu 0xfffd
	s_delay_alu instid0(VALU_DEP_3)
	v_add_co_ci_u32_e64 v8, null, v8, v10, vcc_lo
	v_not_b32_e32 v9, v9
	v_not_b32_e32 v10, v10
	s_wait_alu 0xf1ff
	v_sub_co_ci_u32_e64 v12, null, 0, 0, s2
	v_cmp_gt_i64_e32 vcc_lo, v[7:8], v[2:3]
	s_mov_b32 s2, exec_lo
	s_wait_alu 0xfffd
	v_cndmask_b32_e32 v13, v3, v8, vcc_lo
	v_cndmask_b32_e32 v7, v2, v7, vcc_lo
	v_add_co_u32 v8, vcc_lo, v11, v9
	s_wait_alu 0xfffd
	v_add_co_ci_u32_e64 v10, null, v12, v10, vcc_lo
	s_delay_alu instid0(VALU_DEP_2) | instskip(SKIP_2) | instid1(VALU_DEP_3)
	v_add_co_u32 v9, vcc_lo, v8, v7
	v_mov_b32_e32 v8, 0
	s_wait_alu 0xfffd
	v_add_co_ci_u32_e64 v10, null, v10, v13, vcc_lo
	s_delay_alu instid0(VALU_DEP_2) | instskip(SKIP_1) | instid1(VALU_DEP_2)
	v_dual_mov_b32 v22, v8 :: v_dual_and_b32 v7, 0x60, v9
	v_dual_mov_b32 v24, v8 :: v_dual_mov_b32 v23, v8
	v_cmpx_ne_u64_e32 0x60, v[7:8]
	s_cbranch_execz .LBB23_31
; %bb.28:
	v_lshrrev_b32_e32 v7, 5, v9
	v_dual_mov_b32 v23, 0 :: v_dual_mov_b32 v24, 0
	s_delay_alu instid0(VALU_DEP_2) | instskip(SKIP_1) | instid1(VALU_DEP_2)
	v_dual_mov_b32 v22, 0 :: v_dual_add_nc_u32 v11, 1, v7
	v_lshlrev_b64_e32 v[7:8], 2, v[0:1]
	v_and_b32_e32 v13, 3, v11
	s_delay_alu instid0(VALU_DEP_2) | instskip(SKIP_1) | instid1(VALU_DEP_3)
	v_add_co_u32 v11, vcc_lo, s8, v7
	s_wait_alu 0xfffd
	v_add_co_ci_u32_e64 v12, null, s9, v8, vcc_lo
	v_mov_b32_e32 v8, 0
	v_sub_co_u32 v13, s4, 0, v13
	s_wait_alu 0xf1ff
	v_sub_co_ci_u32_e64 v14, null, 0, 0, s4
	s_mov_b32 s4, 0
.LBB23_29:                              ; =>This Inner Loop Header: Depth=1
	global_load_b32 v7, v[11:12], off
	s_clause 0x1
	global_load_b128 v[15:18], v[5:6], off offset:16
	global_load_b128 v[25:28], v[5:6], off
	s_wait_loadcnt 0x2
	v_subrev_nc_u32_e32 v7, s16, v7
	s_delay_alu instid0(VALU_DEP_1) | instskip(NEXT) | instid1(VALU_DEP_1)
	v_lshlrev_b32_e32 v19, 2, v7
	v_ashrrev_i32_e32 v20, 31, v19
	s_delay_alu instid0(VALU_DEP_1) | instskip(SKIP_1) | instid1(VALU_DEP_1)
	v_lshlrev_b64_e32 v[19:20], 2, v[19:20]
	s_wait_kmcnt 0x0
	v_add_co_u32 v19, vcc_lo, s6, v19
	s_wait_alu 0xfffd
	s_delay_alu instid0(VALU_DEP_2)
	v_add_co_ci_u32_e64 v20, null, s7, v20, vcc_lo
	global_load_b128 v[29:32], v[19:20], off
	s_clause 0x1
	global_load_b128 v[33:36], v[5:6], off offset:32
	global_load_b128 v[37:40], v[5:6], off offset:48
	v_add_co_u32 v5, vcc_lo, 0x800, v5
	s_wait_alu 0xfffd
	v_add_co_ci_u32_e64 v6, null, 0, v6, vcc_lo
	v_add_co_u32 v0, vcc_lo, v0, 32
	s_wait_alu 0xfffd
	v_add_co_ci_u32_e64 v1, null, 0, v1, vcc_lo
	;; [unrolled: 3-line block ×4, first 2 shown]
	s_delay_alu instid0(VALU_DEP_1)
	v_cmp_eq_u64_e32 vcc_lo, 0, v[13:14]
	s_wait_alu 0xfffe
	s_or_b32 s4, vcc_lo, s4
	s_wait_loadcnt 0x2
	v_fmac_f32_e32 v23, v27, v29
	v_fmac_f32_e32 v8, v25, v29
	s_delay_alu instid0(VALU_DEP_2) | instskip(SKIP_1) | instid1(VALU_DEP_3)
	v_dual_fmac_f32 v24, v26, v29 :: v_dual_fmac_f32 v23, v17, v30
	v_fmac_f32_e32 v22, v28, v29
	v_fmac_f32_e32 v8, v15, v30
	s_wait_loadcnt 0x1
	s_delay_alu instid0(VALU_DEP_3) | instskip(NEXT) | instid1(VALU_DEP_3)
	v_dual_fmac_f32 v24, v16, v30 :: v_dual_fmac_f32 v23, v35, v31
	v_fmac_f32_e32 v22, v18, v30
	s_delay_alu instid0(VALU_DEP_3) | instskip(SKIP_1) | instid1(VALU_DEP_3)
	v_fmac_f32_e32 v8, v33, v31
	s_wait_loadcnt 0x0
	v_dual_fmac_f32 v24, v34, v31 :: v_dual_fmac_f32 v23, v39, v32
	s_delay_alu instid0(VALU_DEP_3) | instskip(NEXT) | instid1(VALU_DEP_3)
	v_fmac_f32_e32 v22, v36, v31
	v_fmac_f32_e32 v8, v37, v32
	s_delay_alu instid0(VALU_DEP_3) | instskip(NEXT) | instid1(VALU_DEP_3)
	v_fmac_f32_e32 v24, v38, v32
	v_fmac_f32_e32 v22, v40, v32
	s_wait_alu 0xfffe
	s_and_not1_b32 exec_lo, exec_lo, s4
	s_cbranch_execnz .LBB23_29
; %bb.30:
	s_or_b32 exec_lo, exec_lo, s4
.LBB23_31:
	s_wait_alu 0xfffe
	s_or_b32 exec_lo, exec_lo, s2
	s_delay_alu instid0(SALU_CYCLE_1)
	s_mov_b32 s2, exec_lo
	v_cmpx_lt_u64_e32 0x5f, v[9:10]
	s_cbranch_execz .LBB23_35
; %bb.32:
	v_lshlrev_b64_e32 v[9:10], 2, v[0:1]
	s_mov_b32 s4, 0
	s_delay_alu instid0(VALU_DEP_1) | instskip(SKIP_1) | instid1(VALU_DEP_2)
	v_add_co_u32 v7, vcc_lo, s8, v9
	s_wait_alu 0xfffd
	v_add_co_ci_u32_e64 v10, null, s9, v10, vcc_lo
	s_delay_alu instid0(VALU_DEP_2) | instskip(SKIP_1) | instid1(VALU_DEP_2)
	v_add_co_u32 v9, vcc_lo, 0x100, v7
	s_wait_alu 0xfffd
	v_add_co_ci_u32_e64 v10, null, 0, v10, vcc_lo
.LBB23_33:                              ; =>This Inner Loop Header: Depth=1
	s_clause 0x3
	global_load_b32 v7, v[9:10], off offset:-256
	global_load_b32 v19, v[9:10], off offset:-128
	global_load_b32 v20, v[9:10], off
	global_load_b32 v73, v[9:10], off offset:128
	s_clause 0xd
	global_load_b128 v[11:14], v[5:6], off offset:48
	global_load_b128 v[15:18], v[5:6], off offset:32
	;; [unrolled: 1-line block ×3, first 2 shown]
	global_load_b128 v[29:32], v[5:6], off
	global_load_b128 v[33:36], v[5:6], off offset:2096
	global_load_b128 v[37:40], v[5:6], off offset:2080
	;; [unrolled: 1-line block ×10, first 2 shown]
	s_wait_loadcnt 0x11
	v_subrev_nc_u32_e32 v7, s16, v7
	s_wait_loadcnt 0x10
	v_subrev_nc_u32_e32 v74, s16, v19
	;; [unrolled: 2-line block ×4, first 2 shown]
	v_lshlrev_b32_e32 v19, 2, v7
	v_lshlrev_b32_e32 v77, 2, v74
	;; [unrolled: 1-line block ×3, first 2 shown]
	s_delay_alu instid0(VALU_DEP_4) | instskip(NEXT) | instid1(VALU_DEP_4)
	v_lshlrev_b32_e32 v85, 2, v73
	v_ashrrev_i32_e32 v20, 31, v19
	s_delay_alu instid0(VALU_DEP_1) | instskip(SKIP_1) | instid1(VALU_DEP_1)
	v_lshlrev_b64_e32 v[19:20], 2, v[19:20]
	s_wait_kmcnt 0x0
	v_add_co_u32 v19, vcc_lo, s6, v19
	s_wait_alu 0xfffd
	s_delay_alu instid0(VALU_DEP_2)
	v_add_co_ci_u32_e64 v20, null, s7, v20, vcc_lo
	global_load_b128 v[73:76], v[19:20], off
	s_wait_loadcnt 0x0
	v_fmac_f32_e32 v24, v30, v73
	v_ashrrev_i32_e32 v78, 31, v77
	v_fmac_f32_e32 v22, v32, v73
	v_ashrrev_i32_e32 v82, 31, v81
	v_fmac_f32_e32 v8, v29, v73
	v_dual_fmac_f32 v23, v31, v73 :: v_dual_fmac_f32 v24, v26, v74
	v_lshlrev_b64_e32 v[19:20], 2, v[77:78]
	s_delay_alu instid0(VALU_DEP_3) | instskip(SKIP_1) | instid1(VALU_DEP_4)
	v_fmac_f32_e32 v8, v25, v74
	v_ashrrev_i32_e32 v86, 31, v85
	v_dual_fmac_f32 v23, v27, v74 :: v_dual_fmac_f32 v24, v16, v75
	s_delay_alu instid0(VALU_DEP_4) | instskip(SKIP_2) | instid1(VALU_DEP_3)
	v_add_co_u32 v19, vcc_lo, s6, v19
	s_wait_alu 0xfffd
	v_add_co_ci_u32_e64 v20, null, s7, v20, vcc_lo
	v_dual_fmac_f32 v22, v28, v74 :: v_dual_fmac_f32 v23, v17, v75
	v_fmac_f32_e32 v8, v15, v75
	global_load_b128 v[77:80], v[19:20], off
	v_lshlrev_b64_e32 v[19:20], 2, v[81:82]
	v_dual_fmac_f32 v23, v13, v76 :: v_dual_fmac_f32 v22, v18, v75
	v_fmac_f32_e32 v8, v11, v76
	s_delay_alu instid0(VALU_DEP_3) | instskip(SKIP_1) | instid1(VALU_DEP_4)
	v_add_co_u32 v19, vcc_lo, s6, v19
	s_wait_alu 0xfffd
	v_add_co_ci_u32_e64 v20, null, s7, v20, vcc_lo
	global_load_b128 v[81:84], v[19:20], off
	v_lshlrev_b64_e32 v[19:20], 2, v[85:86]
	s_delay_alu instid0(VALU_DEP_1) | instskip(SKIP_1) | instid1(VALU_DEP_2)
	v_add_co_u32 v19, vcc_lo, s6, v19
	s_wait_alu 0xfffd
	v_add_co_ci_u32_e64 v20, null, s7, v20, vcc_lo
	global_load_b128 v[85:88], v[19:20], off
	s_clause 0x1
	global_load_b128 v[89:92], v[5:6], off offset:6176
	global_load_b128 v[29:32], v[5:6], off offset:6192
	v_add_co_u32 v5, vcc_lo, 0x2000, v5
	s_wait_alu 0xfffd
	v_add_co_ci_u32_e64 v6, null, 0, v6, vcc_lo
	v_add_co_u32 v0, vcc_lo, 0x80, v0
	s_wait_alu 0xfffd
	v_add_co_ci_u32_e64 v1, null, 0, v1, vcc_lo
	;; [unrolled: 3-line block ×3, first 2 shown]
	s_delay_alu instid0(VALU_DEP_3) | instskip(SKIP_4) | instid1(VALU_DEP_1)
	v_cmp_ge_i64_e32 vcc_lo, v[0:1], v[2:3]
	s_wait_alu 0xfffe
	s_or_b32 s4, vcc_lo, s4
	s_wait_loadcnt 0x4
	v_dual_fmac_f32 v23, v47, v77 :: v_dual_fmac_f32 v24, v12, v76
	v_dual_fmac_f32 v23, v43, v78 :: v_dual_fmac_f32 v22, v14, v76
	s_delay_alu instid0(VALU_DEP_1) | instskip(NEXT) | instid1(VALU_DEP_1)
	v_dual_fmac_f32 v23, v39, v79 :: v_dual_fmac_f32 v8, v45, v77
	v_dual_fmac_f32 v23, v35, v80 :: v_dual_fmac_f32 v8, v41, v78
	s_wait_loadcnt 0x3
	s_delay_alu instid0(VALU_DEP_1) | instskip(NEXT) | instid1(VALU_DEP_1)
	v_fmac_f32_e32 v23, v63, v81
	v_dual_fmac_f32 v24, v46, v77 :: v_dual_fmac_f32 v23, v59, v82
	s_delay_alu instid0(VALU_DEP_1) | instskip(NEXT) | instid1(VALU_DEP_1)
	v_dual_fmac_f32 v22, v48, v77 :: v_dual_fmac_f32 v23, v55, v83
	v_dual_fmac_f32 v24, v42, v78 :: v_dual_fmac_f32 v23, v51, v84
	s_wait_loadcnt 0x2
	s_delay_alu instid0(VALU_DEP_1) | instskip(SKIP_1) | instid1(VALU_DEP_2)
	v_dual_fmac_f32 v22, v44, v78 :: v_dual_fmac_f32 v23, v71, v85
	v_fmac_f32_e32 v8, v37, v79
	v_dual_fmac_f32 v22, v40, v79 :: v_dual_fmac_f32 v23, v67, v86
	s_delay_alu instid0(VALU_DEP_2) | instskip(SKIP_1) | instid1(VALU_DEP_2)
	v_fmac_f32_e32 v8, v33, v80
	s_wait_loadcnt 0x1
	v_dual_fmac_f32 v22, v36, v80 :: v_dual_fmac_f32 v23, v91, v87
	v_fmac_f32_e32 v24, v38, v79
	s_delay_alu instid0(VALU_DEP_3) | instskip(SKIP_1) | instid1(VALU_DEP_3)
	v_fmac_f32_e32 v8, v61, v81
	s_wait_loadcnt 0x0
	v_dual_fmac_f32 v22, v64, v81 :: v_dual_fmac_f32 v23, v31, v88
	s_delay_alu instid0(VALU_DEP_3) | instskip(NEXT) | instid1(VALU_DEP_3)
	v_fmac_f32_e32 v24, v34, v80
	v_fmac_f32_e32 v8, v57, v82
	s_delay_alu instid0(VALU_DEP_3) | instskip(NEXT) | instid1(VALU_DEP_3)
	v_fmac_f32_e32 v22, v60, v82
	v_fmac_f32_e32 v24, v62, v81
	;; [unrolled: 3-line block ×11, first 2 shown]
	s_delay_alu instid0(VALU_DEP_1)
	v_fmac_f32_e32 v24, v30, v88
	s_wait_alu 0xfffe
	s_and_not1_b32 exec_lo, exec_lo, s4
	s_cbranch_execnz .LBB23_33
; %bb.34:
	s_or_b32 exec_lo, exec_lo, s4
.LBB23_35:
	s_wait_alu 0xfffe
	s_or_b32 exec_lo, exec_lo, s2
.LBB23_36:
	s_wait_alu 0xfffe
	s_or_b32 exec_lo, exec_lo, s3
.LBB23_37:
	v_mbcnt_lo_u32_b32 v0, -1, 0
	s_mov_b32 s2, -1
	s_delay_alu instid0(VALU_DEP_1) | instskip(SKIP_2) | instid1(VALU_DEP_3)
	v_xor_b32_e32 v1, 16, v0
	v_xor_b32_e32 v6, 8, v0
	v_xor_b32_e32 v10, 4, v0
	v_cmp_gt_i32_e32 vcc_lo, 32, v1
	s_wait_alu 0xfffd
	v_cndmask_b32_e32 v1, v0, v1, vcc_lo
	v_cmp_gt_i32_e32 vcc_lo, 32, v6
	s_wait_alu 0xfffd
	v_cndmask_b32_e32 v6, v0, v6, vcc_lo
	v_cmp_gt_i32_e32 vcc_lo, 32, v10
	s_delay_alu instid0(VALU_DEP_2)
	v_lshlrev_b32_e32 v6, 2, v6
	s_wait_alu 0xfffd
	v_dual_cndmask_b32 v10, v0, v10 :: v_dual_lshlrev_b32 v1, 2, v1
	ds_bpermute_b32 v2, v1, v8
	v_lshlrev_b32_e32 v10, 2, v10
	s_wait_dscnt 0x0
	v_add_f32_e32 v2, v8, v2
	ds_bpermute_b32 v3, v1, v24
	ds_bpermute_b32 v5, v1, v23
	ds_bpermute_b32 v1, v1, v22
	ds_bpermute_b32 v7, v6, v2
	s_wait_dscnt 0x3
	v_add_f32_e32 v3, v24, v3
	s_wait_dscnt 0x2
	v_add_f32_e32 v5, v23, v5
	;; [unrolled: 2-line block ×3, first 2 shown]
	ds_bpermute_b32 v8, v6, v3
	ds_bpermute_b32 v9, v6, v5
	;; [unrolled: 1-line block ×3, first 2 shown]
	s_wait_dscnt 0x2
	v_dual_add_f32 v2, v2, v7 :: v_dual_add_f32 v3, v3, v8
	s_wait_dscnt 0x1
	v_add_f32_e32 v5, v5, v9
	s_wait_dscnt 0x0
	v_add_f32_e32 v1, v1, v6
	ds_bpermute_b32 v6, v10, v2
	ds_bpermute_b32 v7, v10, v3
	;; [unrolled: 1-line block ×4, first 2 shown]
	v_xor_b32_e32 v10, 2, v0
	s_delay_alu instid0(VALU_DEP_1) | instskip(SKIP_2) | instid1(VALU_DEP_1)
	v_cmp_gt_i32_e32 vcc_lo, 32, v10
	s_wait_alu 0xfffd
	v_cndmask_b32_e32 v10, v0, v10, vcc_lo
	v_lshlrev_b32_e32 v10, 2, v10
	s_wait_dscnt 0x2
	v_dual_add_f32 v2, v2, v6 :: v_dual_add_f32 v3, v3, v7
	s_wait_dscnt 0x1
	v_add_f32_e32 v5, v5, v8
	ds_bpermute_b32 v7, v10, v3
	s_wait_dscnt 0x1
	v_add_f32_e32 v6, v1, v9
	ds_bpermute_b32 v1, v10, v2
	ds_bpermute_b32 v8, v10, v5
	;; [unrolled: 1-line block ×3, first 2 shown]
	v_xor_b32_e32 v10, 1, v0
	s_delay_alu instid0(VALU_DEP_1) | instskip(SKIP_3) | instid1(VALU_DEP_2)
	v_cmp_gt_i32_e32 vcc_lo, 32, v10
	s_wait_alu 0xfffd
	v_cndmask_b32_e32 v0, v0, v10, vcc_lo
	v_cmp_eq_u32_e32 vcc_lo, 31, v21
	v_lshlrev_b32_e32 v10, 2, v0
	s_wait_dscnt 0x2
	v_dual_add_f32 v0, v2, v1 :: v_dual_add_f32 v1, v3, v7
	s_wait_dscnt 0x0
	v_dual_add_f32 v2, v5, v8 :: v_dual_add_f32 v3, v6, v9
	ds_bpermute_b32 v5, v10, v0
	ds_bpermute_b32 v6, v10, v1
	;; [unrolled: 1-line block ×4, first 2 shown]
	s_and_b32 exec_lo, exec_lo, vcc_lo
	s_cbranch_execz .LBB23_10
; %bb.38:
	s_load_b64 s[0:1], s[0:1], 0x50
	s_wait_dscnt 0x2
	v_dual_add_f32 v0, v0, v5 :: v_dual_add_f32 v1, v1, v6
	s_wait_dscnt 0x0
	v_dual_add_f32 v2, v2, v7 :: v_dual_add_f32 v3, v3, v8
	v_lshlrev_b32_e32 v4, 2, v4
	s_delay_alu instid0(VALU_DEP_3) | instskip(NEXT) | instid1(VALU_DEP_3)
	v_dual_mul_f32 v0, s14, v0 :: v_dual_mul_f32 v1, s14, v1
	v_dual_mul_f32 v2, s14, v2 :: v_dual_mul_f32 v3, s14, v3
	s_cmp_eq_f32 s12, 0
	s_cbranch_scc0 .LBB23_40
; %bb.39:
	v_ashrrev_i32_e32 v5, 31, v4
	s_mov_b32 s2, 0
	s_delay_alu instid0(VALU_DEP_1) | instskip(SKIP_1) | instid1(VALU_DEP_1)
	v_lshlrev_b64_e32 v[5:6], 2, v[4:5]
	s_wait_kmcnt 0x0
	v_add_co_u32 v5, vcc_lo, s0, v5
	s_wait_alu 0xfffd
	s_delay_alu instid0(VALU_DEP_2)
	v_add_co_ci_u32_e64 v6, null, s1, v6, vcc_lo
	global_store_b128 v[5:6], v[0:3], off
.LBB23_40:
	s_wait_alu 0xfffe
	s_and_not1_b32 vcc_lo, exec_lo, s2
	s_wait_alu 0xfffe
	s_cbranch_vccnz .LBB23_10
; %bb.41:
	v_ashrrev_i32_e32 v5, 31, v4
	s_delay_alu instid0(VALU_DEP_1) | instskip(SKIP_1) | instid1(VALU_DEP_1)
	v_lshlrev_b64_e32 v[4:5], 2, v[4:5]
	s_wait_kmcnt 0x0
	v_add_co_u32 v8, vcc_lo, s0, v4
	s_wait_alu 0xfffd
	s_delay_alu instid0(VALU_DEP_2)
	v_add_co_ci_u32_e64 v9, null, s1, v5, vcc_lo
	global_load_b128 v[4:7], v[8:9], off
	s_wait_loadcnt 0x0
	v_dual_fmac_f32 v0, s12, v4 :: v_dual_fmac_f32 v1, s12, v5
	v_dual_fmac_f32 v2, s12, v6 :: v_dual_fmac_f32 v3, s12, v7
	global_store_b128 v[8:9], v[0:3], off
	s_nop 0
	s_sendmsg sendmsg(MSG_DEALLOC_VGPRS)
	s_endpgm
	.section	.rodata,"a",@progbits
	.p2align	6, 0x0
	.amdhsa_kernel _ZN9rocsparseL18bsrxmvn_4x4_kernelILj128ELj32EflifffEEvT3_20rocsparse_direction_NS_24const_host_device_scalarIT1_EES1_PKS1_PKT2_SA_S7_PKT4_PKT5_S5_PT6_21rocsparse_index_base_b
		.amdhsa_group_segment_fixed_size 0
		.amdhsa_private_segment_fixed_size 0
		.amdhsa_kernarg_size 96
		.amdhsa_user_sgpr_count 2
		.amdhsa_user_sgpr_dispatch_ptr 0
		.amdhsa_user_sgpr_queue_ptr 0
		.amdhsa_user_sgpr_kernarg_segment_ptr 1
		.amdhsa_user_sgpr_dispatch_id 0
		.amdhsa_user_sgpr_private_segment_size 0
		.amdhsa_wavefront_size32 1
		.amdhsa_uses_dynamic_stack 0
		.amdhsa_enable_private_segment 0
		.amdhsa_system_sgpr_workgroup_id_x 1
		.amdhsa_system_sgpr_workgroup_id_y 0
		.amdhsa_system_sgpr_workgroup_id_z 0
		.amdhsa_system_sgpr_workgroup_info 0
		.amdhsa_system_vgpr_workitem_id 0
		.amdhsa_next_free_vgpr 99
		.amdhsa_next_free_sgpr 18
		.amdhsa_reserve_vcc 1
		.amdhsa_float_round_mode_32 0
		.amdhsa_float_round_mode_16_64 0
		.amdhsa_float_denorm_mode_32 3
		.amdhsa_float_denorm_mode_16_64 3
		.amdhsa_fp16_overflow 0
		.amdhsa_workgroup_processor_mode 1
		.amdhsa_memory_ordered 1
		.amdhsa_forward_progress 1
		.amdhsa_inst_pref_size 37
		.amdhsa_round_robin_scheduling 0
		.amdhsa_exception_fp_ieee_invalid_op 0
		.amdhsa_exception_fp_denorm_src 0
		.amdhsa_exception_fp_ieee_div_zero 0
		.amdhsa_exception_fp_ieee_overflow 0
		.amdhsa_exception_fp_ieee_underflow 0
		.amdhsa_exception_fp_ieee_inexact 0
		.amdhsa_exception_int_div_zero 0
	.end_amdhsa_kernel
	.section	.text._ZN9rocsparseL18bsrxmvn_4x4_kernelILj128ELj32EflifffEEvT3_20rocsparse_direction_NS_24const_host_device_scalarIT1_EES1_PKS1_PKT2_SA_S7_PKT4_PKT5_S5_PT6_21rocsparse_index_base_b,"axG",@progbits,_ZN9rocsparseL18bsrxmvn_4x4_kernelILj128ELj32EflifffEEvT3_20rocsparse_direction_NS_24const_host_device_scalarIT1_EES1_PKS1_PKT2_SA_S7_PKT4_PKT5_S5_PT6_21rocsparse_index_base_b,comdat
.Lfunc_end23:
	.size	_ZN9rocsparseL18bsrxmvn_4x4_kernelILj128ELj32EflifffEEvT3_20rocsparse_direction_NS_24const_host_device_scalarIT1_EES1_PKS1_PKT2_SA_S7_PKT4_PKT5_S5_PT6_21rocsparse_index_base_b, .Lfunc_end23-_ZN9rocsparseL18bsrxmvn_4x4_kernelILj128ELj32EflifffEEvT3_20rocsparse_direction_NS_24const_host_device_scalarIT1_EES1_PKS1_PKT2_SA_S7_PKT4_PKT5_S5_PT6_21rocsparse_index_base_b
                                        ; -- End function
	.set _ZN9rocsparseL18bsrxmvn_4x4_kernelILj128ELj32EflifffEEvT3_20rocsparse_direction_NS_24const_host_device_scalarIT1_EES1_PKS1_PKT2_SA_S7_PKT4_PKT5_S5_PT6_21rocsparse_index_base_b.num_vgpr, 99
	.set _ZN9rocsparseL18bsrxmvn_4x4_kernelILj128ELj32EflifffEEvT3_20rocsparse_direction_NS_24const_host_device_scalarIT1_EES1_PKS1_PKT2_SA_S7_PKT4_PKT5_S5_PT6_21rocsparse_index_base_b.num_agpr, 0
	.set _ZN9rocsparseL18bsrxmvn_4x4_kernelILj128ELj32EflifffEEvT3_20rocsparse_direction_NS_24const_host_device_scalarIT1_EES1_PKS1_PKT2_SA_S7_PKT4_PKT5_S5_PT6_21rocsparse_index_base_b.numbered_sgpr, 18
	.set _ZN9rocsparseL18bsrxmvn_4x4_kernelILj128ELj32EflifffEEvT3_20rocsparse_direction_NS_24const_host_device_scalarIT1_EES1_PKS1_PKT2_SA_S7_PKT4_PKT5_S5_PT6_21rocsparse_index_base_b.num_named_barrier, 0
	.set _ZN9rocsparseL18bsrxmvn_4x4_kernelILj128ELj32EflifffEEvT3_20rocsparse_direction_NS_24const_host_device_scalarIT1_EES1_PKS1_PKT2_SA_S7_PKT4_PKT5_S5_PT6_21rocsparse_index_base_b.private_seg_size, 0
	.set _ZN9rocsparseL18bsrxmvn_4x4_kernelILj128ELj32EflifffEEvT3_20rocsparse_direction_NS_24const_host_device_scalarIT1_EES1_PKS1_PKT2_SA_S7_PKT4_PKT5_S5_PT6_21rocsparse_index_base_b.uses_vcc, 1
	.set _ZN9rocsparseL18bsrxmvn_4x4_kernelILj128ELj32EflifffEEvT3_20rocsparse_direction_NS_24const_host_device_scalarIT1_EES1_PKS1_PKT2_SA_S7_PKT4_PKT5_S5_PT6_21rocsparse_index_base_b.uses_flat_scratch, 0
	.set _ZN9rocsparseL18bsrxmvn_4x4_kernelILj128ELj32EflifffEEvT3_20rocsparse_direction_NS_24const_host_device_scalarIT1_EES1_PKS1_PKT2_SA_S7_PKT4_PKT5_S5_PT6_21rocsparse_index_base_b.has_dyn_sized_stack, 0
	.set _ZN9rocsparseL18bsrxmvn_4x4_kernelILj128ELj32EflifffEEvT3_20rocsparse_direction_NS_24const_host_device_scalarIT1_EES1_PKS1_PKT2_SA_S7_PKT4_PKT5_S5_PT6_21rocsparse_index_base_b.has_recursion, 0
	.set _ZN9rocsparseL18bsrxmvn_4x4_kernelILj128ELj32EflifffEEvT3_20rocsparse_direction_NS_24const_host_device_scalarIT1_EES1_PKS1_PKT2_SA_S7_PKT4_PKT5_S5_PT6_21rocsparse_index_base_b.has_indirect_call, 0
	.section	.AMDGPU.csdata,"",@progbits
; Kernel info:
; codeLenInByte = 4672
; TotalNumSgprs: 20
; NumVgprs: 99
; ScratchSize: 0
; MemoryBound: 0
; FloatMode: 240
; IeeeMode: 1
; LDSByteSize: 0 bytes/workgroup (compile time only)
; SGPRBlocks: 0
; VGPRBlocks: 12
; NumSGPRsForWavesPerEU: 20
; NumVGPRsForWavesPerEU: 99
; Occupancy: 12
; WaveLimiterHint : 1
; COMPUTE_PGM_RSRC2:SCRATCH_EN: 0
; COMPUTE_PGM_RSRC2:USER_SGPR: 2
; COMPUTE_PGM_RSRC2:TRAP_HANDLER: 0
; COMPUTE_PGM_RSRC2:TGID_X_EN: 1
; COMPUTE_PGM_RSRC2:TGID_Y_EN: 0
; COMPUTE_PGM_RSRC2:TGID_Z_EN: 0
; COMPUTE_PGM_RSRC2:TIDIG_COMP_CNT: 0
	.section	.text._ZN9rocsparseL18bsrxmvn_4x4_kernelILj128ELj64EflifffEEvT3_20rocsparse_direction_NS_24const_host_device_scalarIT1_EES1_PKS1_PKT2_SA_S7_PKT4_PKT5_S5_PT6_21rocsparse_index_base_b,"axG",@progbits,_ZN9rocsparseL18bsrxmvn_4x4_kernelILj128ELj64EflifffEEvT3_20rocsparse_direction_NS_24const_host_device_scalarIT1_EES1_PKS1_PKT2_SA_S7_PKT4_PKT5_S5_PT6_21rocsparse_index_base_b,comdat
	.globl	_ZN9rocsparseL18bsrxmvn_4x4_kernelILj128ELj64EflifffEEvT3_20rocsparse_direction_NS_24const_host_device_scalarIT1_EES1_PKS1_PKT2_SA_S7_PKT4_PKT5_S5_PT6_21rocsparse_index_base_b ; -- Begin function _ZN9rocsparseL18bsrxmvn_4x4_kernelILj128ELj64EflifffEEvT3_20rocsparse_direction_NS_24const_host_device_scalarIT1_EES1_PKS1_PKT2_SA_S7_PKT4_PKT5_S5_PT6_21rocsparse_index_base_b
	.p2align	8
	.type	_ZN9rocsparseL18bsrxmvn_4x4_kernelILj128ELj64EflifffEEvT3_20rocsparse_direction_NS_24const_host_device_scalarIT1_EES1_PKS1_PKT2_SA_S7_PKT4_PKT5_S5_PT6_21rocsparse_index_base_b,@function
_ZN9rocsparseL18bsrxmvn_4x4_kernelILj128ELj64EflifffEEvT3_20rocsparse_direction_NS_24const_host_device_scalarIT1_EES1_PKS1_PKT2_SA_S7_PKT4_PKT5_S5_PT6_21rocsparse_index_base_b: ; @_ZN9rocsparseL18bsrxmvn_4x4_kernelILj128ELj64EflifffEEvT3_20rocsparse_direction_NS_24const_host_device_scalarIT1_EES1_PKS1_PKT2_SA_S7_PKT4_PKT5_S5_PT6_21rocsparse_index_base_b
; %bb.0:
	s_clause 0x2
	s_load_b64 s[16:17], s[0:1], 0x58
	s_load_b64 s[14:15], s[0:1], 0x8
	;; [unrolled: 1-line block ×3, first 2 shown]
	s_wait_kmcnt 0x0
	s_bitcmp1_b32 s17, 0
	s_cselect_b32 s2, -1, 0
	s_delay_alu instid0(SALU_CYCLE_1)
	s_and_b32 vcc_lo, exec_lo, s2
	s_xor_b32 s2, s2, -1
	s_cbranch_vccnz .LBB24_2
; %bb.1:
	s_load_b32 s14, s[14:15], 0x0
.LBB24_2:
	s_and_not1_b32 vcc_lo, exec_lo, s2
	s_cbranch_vccnz .LBB24_4
; %bb.3:
	s_load_b32 s12, s[12:13], 0x0
.LBB24_4:
	s_wait_kmcnt 0x0
	s_cmp_neq_f32 s14, 0
	s_mov_b32 s6, 0
	s_cselect_b32 s2, -1, 0
	s_cmp_neq_f32 s12, 1.0
	s_cselect_b32 s3, -1, 0
	s_delay_alu instid0(SALU_CYCLE_1) | instskip(NEXT) | instid1(SALU_CYCLE_1)
	s_or_b32 s2, s2, s3
	s_and_not1_b32 vcc_lo, exec_lo, s2
	s_cbranch_vccnz .LBB24_10
; %bb.5:
	s_clause 0x1
	s_load_b64 s[4:5], s[0:1], 0x18
	s_load_b64 s[2:3], s[0:1], 0x0
	v_lshrrev_b32_e32 v1, 6, v0
	s_delay_alu instid0(VALU_DEP_1)
	v_lshl_or_b32 v4, ttmp9, 1, v1
	s_wait_kmcnt 0x0
	s_cmp_lg_u64 s[4:5], 0
	s_cbranch_scc0 .LBB24_11
; %bb.6:
	s_load_b32 s6, s[0:1], 0x10
	s_mov_b32 s7, 0
                                        ; implicit-def: $vgpr1
	s_wait_kmcnt 0x0
	v_cmp_gt_i32_e32 vcc_lo, s6, v4
	s_mov_b32 s6, 0
	s_and_saveexec_b32 s8, vcc_lo
	s_delay_alu instid0(SALU_CYCLE_1)
	s_xor_b32 s8, exec_lo, s8
	s_cbranch_execz .LBB24_8
; %bb.7:
	v_ashrrev_i32_e32 v5, 31, v4
	s_mov_b32 s6, exec_lo
	s_delay_alu instid0(VALU_DEP_1) | instskip(NEXT) | instid1(VALU_DEP_1)
	v_lshlrev_b64_e32 v[1:2], 2, v[4:5]
	v_add_co_u32 v1, vcc_lo, s4, v1
	s_delay_alu instid0(VALU_DEP_1)
	v_add_co_ci_u32_e64 v2, null, s5, v2, vcc_lo
	global_load_b32 v1, v[1:2], off
	s_wait_loadcnt 0x0
	v_subrev_nc_u32_e32 v1, s16, v1
.LBB24_8:
	s_or_b32 exec_lo, exec_lo, s8
	s_delay_alu instid0(SALU_CYCLE_1)
	s_and_b32 vcc_lo, exec_lo, s7
	s_wait_alu 0xfffe
	s_cbranch_vccz .LBB24_12
.LBB24_9:
	v_cmp_gt_i32_e32 vcc_lo, s2, v4
	s_and_not1_b32 s2, s6, exec_lo
	s_and_b32 s4, vcc_lo, exec_lo
	s_wait_alu 0xfffe
	s_or_b32 s6, s2, s4
	s_wait_alu 0xfffe
	s_and_saveexec_b32 s2, s6
	s_cbranch_execnz .LBB24_13
.LBB24_10:
	s_nop 0
	s_sendmsg sendmsg(MSG_DEALLOC_VGPRS)
	s_endpgm
.LBB24_11:
                                        ; implicit-def: $vgpr1
	s_cbranch_execnz .LBB24_9
.LBB24_12:
	v_mov_b32_e32 v4, v1
	s_and_saveexec_b32 s2, s6
	s_cbranch_execz .LBB24_10
.LBB24_13:
	s_load_b256 s[4:11], s[0:1], 0x20
	s_delay_alu instid0(VALU_DEP_1) | instskip(SKIP_1) | instid1(VALU_DEP_2)
	v_ashrrev_i32_e32 v5, 31, v4
	v_dual_mov_b32 v22, 0 :: v_dual_and_b32 v21, 63, v0
	v_lshlrev_b64_e32 v[1:2], 3, v[4:5]
	s_wait_kmcnt 0x0
	s_delay_alu instid0(VALU_DEP_1) | instskip(SKIP_1) | instid1(VALU_DEP_2)
	v_add_co_u32 v5, vcc_lo, s4, v1
	s_wait_alu 0xfffd
	v_add_co_ci_u32_e64 v6, null, s5, v2, vcc_lo
	v_add_co_u32 v1, vcc_lo, s6, v1
	s_wait_alu 0xfffd
	v_add_co_ci_u32_e64 v2, null, s7, v2, vcc_lo
	v_add_co_u32 v3, vcc_lo, v5, 8
	global_load_b64 v[9:10], v[5:6], off
	s_wait_alu 0xfffd
	v_add_co_ci_u32_e64 v7, null, 0, v6, vcc_lo
	s_cmp_eq_u64 s[6:7], 0
	s_load_b64 s[6:7], s[0:1], 0x40
	s_cselect_b32 vcc_lo, -1, 0
	s_cmp_eq_u32 s3, 1
	s_wait_alu 0xfffe
	v_cndmask_b32_e32 v2, v2, v7, vcc_lo
	v_cndmask_b32_e32 v1, v1, v3, vcc_lo
	global_load_b64 v[2:3], v[1:2], off
	s_wait_loadcnt 0x1
	v_sub_co_u32 v0, vcc_lo, v9, s16
	s_wait_alu 0xfffd
	v_subrev_co_ci_u32_e64 v1, null, 0, v10, vcc_lo
	s_delay_alu instid0(VALU_DEP_2) | instskip(SKIP_1) | instid1(VALU_DEP_2)
	v_add_co_u32 v0, vcc_lo, v0, v21
	s_wait_alu 0xfffd
	v_add_co_ci_u32_e64 v1, null, 0, v1, vcc_lo
	s_delay_alu instid0(VALU_DEP_1) | instskip(SKIP_4) | instid1(VALU_DEP_3)
	v_lshlrev_b64_e32 v[5:6], 6, v[0:1]
	s_wait_loadcnt 0x0
	v_sub_co_u32 v2, vcc_lo, v2, s16
	s_wait_alu 0xfffd
	v_subrev_co_ci_u32_e64 v3, null, 0, v3, vcc_lo
	v_add_co_u32 v5, vcc_lo, s10, v5
	s_delay_alu instid0(VALU_DEP_2)
	v_cmp_lt_i64_e64 s2, v[0:1], v[2:3]
	s_wait_alu 0xfffd
	v_add_co_ci_u32_e64 v6, null, s11, v6, vcc_lo
	s_cbranch_scc1 .LBB24_25
; %bb.14:
	v_dual_mov_b32 v23, 0 :: v_dual_mov_b32 v24, 0
	v_mov_b32_e32 v8, 0
	s_and_saveexec_b32 s5, s2
	s_cbranch_execz .LBB24_24
; %bb.15:
	v_or_b32_e32 v7, 64, v21
	v_not_b32_e32 v12, v9
	v_not_b32_e32 v11, v10
	s_delay_alu instid0(VALU_DEP_3) | instskip(SKIP_3) | instid1(VALU_DEP_3)
	v_sub_co_u32 v7, s3, v7, s16
	s_wait_alu 0xf1ff
	v_sub_co_ci_u32_e64 v8, null, 0, 0, s3
	v_sub_co_u32 v13, s3, s16, v21
	v_add_co_u32 v7, vcc_lo, v7, v9
	s_wait_alu 0xfffd
	s_delay_alu instid0(VALU_DEP_3)
	v_add_co_ci_u32_e64 v8, null, v8, v10, vcc_lo
	s_wait_alu 0xf1ff
	v_sub_co_ci_u32_e64 v14, null, 0, 0, s3
	s_mov_b32 s3, exec_lo
	v_cmp_gt_i64_e32 vcc_lo, v[7:8], v[2:3]
	s_wait_alu 0xfffd
	v_dual_cndmask_b32 v16, v3, v8 :: v_dual_cndmask_b32 v7, v2, v7
	v_add_co_u32 v8, vcc_lo, v13, v12
	s_wait_alu 0xfffd
	v_add_co_ci_u32_e64 v11, null, v14, v11, vcc_lo
	v_mov_b32_e32 v14, v6
	s_delay_alu instid0(VALU_DEP_3) | instskip(SKIP_4) | instid1(VALU_DEP_3)
	v_add_co_u32 v15, vcc_lo, v8, v7
	v_mov_b32_e32 v8, 0
	s_wait_alu 0xfffd
	v_add_co_ci_u32_e64 v16, null, v11, v16, vcc_lo
	v_dual_mov_b32 v12, v1 :: v_dual_mov_b32 v13, v5
	v_dual_mov_b32 v24, v8 :: v_dual_and_b32 v7, 0xc0, v15
	v_dual_mov_b32 v23, v8 :: v_dual_mov_b32 v22, v8
	v_mov_b32_e32 v11, v0
	s_delay_alu instid0(VALU_DEP_3)
	v_cmpx_ne_u64_e32 0xc0, v[7:8]
	s_cbranch_execz .LBB24_19
; %bb.16:
	v_lshrrev_b32_e32 v7, 6, v15
	v_mov_b32_e32 v22, 0
	v_dual_mov_b32 v14, v6 :: v_dual_mov_b32 v13, v5
	v_dual_mov_b32 v12, v1 :: v_dual_mov_b32 v11, v0
	s_delay_alu instid0(VALU_DEP_4) | instskip(SKIP_2) | instid1(VALU_DEP_3)
	v_add_nc_u32_e32 v17, 1, v7
	v_lshlrev_b64_e32 v[7:8], 2, v[0:1]
	v_dual_mov_b32 v23, 0 :: v_dual_mov_b32 v24, 0
	v_and_b32_e32 v19, 3, v17
	s_delay_alu instid0(VALU_DEP_3) | instskip(SKIP_1) | instid1(VALU_DEP_4)
	v_add_co_u32 v17, vcc_lo, s8, v7
	s_wait_alu 0xfffd
	v_add_co_ci_u32_e64 v18, null, s9, v8, vcc_lo
	v_mov_b32_e32 v8, 0
	v_sub_co_u32 v19, s4, 0, v19
	s_wait_alu 0xf1ff
	v_sub_co_ci_u32_e64 v20, null, 0, 0, s4
	s_mov_b32 s4, 0
.LBB24_17:                              ; =>This Inner Loop Header: Depth=1
	global_load_b32 v7, v[17:18], off
	s_clause 0x3
	global_load_b128 v[25:28], v[13:14], off offset:48
	global_load_b128 v[29:32], v[13:14], off offset:32
	global_load_b128 v[33:36], v[13:14], off offset:16
	global_load_b128 v[37:40], v[13:14], off
	s_wait_loadcnt 0x4
	v_subrev_nc_u32_e32 v7, s16, v7
	s_delay_alu instid0(VALU_DEP_1) | instskip(NEXT) | instid1(VALU_DEP_1)
	v_lshlrev_b32_e32 v41, 2, v7
	v_ashrrev_i32_e32 v42, 31, v41
	s_delay_alu instid0(VALU_DEP_1) | instskip(SKIP_1) | instid1(VALU_DEP_1)
	v_lshlrev_b64_e32 v[41:42], 2, v[41:42]
	s_wait_kmcnt 0x0
	v_add_co_u32 v41, vcc_lo, s6, v41
	s_wait_alu 0xfffd
	s_delay_alu instid0(VALU_DEP_2)
	v_add_co_ci_u32_e64 v42, null, s7, v42, vcc_lo
	v_add_co_u32 v13, vcc_lo, 0x1000, v13
	s_wait_alu 0xfffd
	v_add_co_ci_u32_e64 v14, null, 0, v14, vcc_lo
	global_load_b128 v[41:44], v[41:42], off
	v_add_co_u32 v11, vcc_lo, v11, 64
	s_wait_alu 0xfffd
	v_add_co_ci_u32_e64 v12, null, 0, v12, vcc_lo
	v_add_co_u32 v17, vcc_lo, 0x100, v17
	s_wait_alu 0xfffd
	v_add_co_ci_u32_e64 v18, null, 0, v18, vcc_lo
	;; [unrolled: 3-line block ×3, first 2 shown]
	s_delay_alu instid0(VALU_DEP_1) | instskip(SKIP_4) | instid1(VALU_DEP_1)
	v_cmp_eq_u64_e32 vcc_lo, 0, v[19:20]
	s_wait_alu 0xfffe
	s_or_b32 s4, vcc_lo, s4
	s_wait_loadcnt 0x0
	v_fmac_f32_e32 v23, v29, v41
	v_dual_fmac_f32 v8, v37, v41 :: v_dual_fmac_f32 v23, v30, v42
	v_fmac_f32_e32 v24, v33, v41
	s_delay_alu instid0(VALU_DEP_2) | instskip(SKIP_1) | instid1(VALU_DEP_3)
	v_dual_fmac_f32 v8, v38, v42 :: v_dual_fmac_f32 v23, v31, v43
	v_fmac_f32_e32 v22, v25, v41
	v_fmac_f32_e32 v24, v34, v42
	s_delay_alu instid0(VALU_DEP_3) | instskip(NEXT) | instid1(VALU_DEP_3)
	v_dual_fmac_f32 v8, v39, v43 :: v_dual_fmac_f32 v23, v32, v44
	v_fmac_f32_e32 v22, v26, v42
	s_delay_alu instid0(VALU_DEP_3) | instskip(NEXT) | instid1(VALU_DEP_3)
	v_fmac_f32_e32 v24, v35, v43
	v_fmac_f32_e32 v8, v40, v44
	s_delay_alu instid0(VALU_DEP_3) | instskip(NEXT) | instid1(VALU_DEP_3)
	v_fmac_f32_e32 v22, v27, v43
	v_fmac_f32_e32 v24, v36, v44
	s_delay_alu instid0(VALU_DEP_2)
	v_fmac_f32_e32 v22, v28, v44
	s_wait_alu 0xfffe
	s_and_not1_b32 exec_lo, exec_lo, s4
	s_cbranch_execnz .LBB24_17
; %bb.18:
	s_or_b32 exec_lo, exec_lo, s4
.LBB24_19:
	s_wait_alu 0xfffe
	s_or_b32 exec_lo, exec_lo, s3
	s_delay_alu instid0(SALU_CYCLE_1)
	s_mov_b32 s10, exec_lo
	v_cmpx_lt_u64_e32 0xbf, v[15:16]
	s_cbranch_execz .LBB24_23
; %bb.20:
	v_lshlrev_b64_e32 v[15:16], 2, v[11:12]
	s_mov_b32 s11, 0
	s_delay_alu instid0(VALU_DEP_1) | instskip(SKIP_1) | instid1(VALU_DEP_2)
	v_add_co_u32 v7, vcc_lo, s8, v15
	s_wait_alu 0xfffd
	v_add_co_ci_u32_e64 v16, null, s9, v16, vcc_lo
	s_delay_alu instid0(VALU_DEP_2) | instskip(SKIP_1) | instid1(VALU_DEP_2)
	v_add_co_u32 v15, vcc_lo, 0x200, v7
	s_wait_alu 0xfffd
	v_add_co_ci_u32_e64 v16, null, 0, v16, vcc_lo
.LBB24_21:                              ; =>This Inner Loop Header: Depth=1
	s_clause 0x3
	global_load_b32 v7, v[15:16], off offset:-512
	global_load_b32 v85, v[15:16], off offset:-256
	global_load_b32 v86, v[15:16], off
	global_load_b32 v87, v[15:16], off offset:256
	s_clause 0xf
	global_load_b128 v[17:20], v[13:14], off offset:48
	global_load_b128 v[25:28], v[13:14], off offset:32
	;; [unrolled: 1-line block ×3, first 2 shown]
	global_load_b128 v[33:36], v[13:14], off
	global_load_b128 v[37:40], v[13:14], off offset:4144
	global_load_b128 v[41:44], v[13:14], off offset:4128
	;; [unrolled: 1-line block ×12, first 2 shown]
	v_add_co_u32 v11, s3, 0x100, v11
	s_wait_alu 0xf1ff
	v_add_co_ci_u32_e64 v12, null, 0, v12, s3
	v_add_co_u32 v15, s4, 0x400, v15
	s_wait_alu 0xf1ff
	v_add_co_ci_u32_e64 v16, null, 0, v16, s4
	s_wait_loadcnt 0x13
	v_subrev_nc_u32_e32 v7, s16, v7
	s_wait_loadcnt 0x12
	v_subrev_nc_u32_e32 v88, s16, v85
	;; [unrolled: 2-line block ×4, first 2 shown]
	v_lshlrev_b32_e32 v85, 2, v7
	v_lshlrev_b32_e32 v89, 2, v88
	v_lshlrev_b32_e32 v93, 2, v86
	s_delay_alu instid0(VALU_DEP_4) | instskip(NEXT) | instid1(VALU_DEP_4)
	v_lshlrev_b32_e32 v95, 2, v87
	v_ashrrev_i32_e32 v86, 31, v85
	s_delay_alu instid0(VALU_DEP_4) | instskip(NEXT) | instid1(VALU_DEP_2)
	v_ashrrev_i32_e32 v90, 31, v89
	v_lshlrev_b64_e32 v[85:86], 2, v[85:86]
	s_delay_alu instid0(VALU_DEP_2) | instskip(SKIP_1) | instid1(VALU_DEP_2)
	v_lshlrev_b64_e32 v[89:90], 2, v[89:90]
	s_wait_kmcnt 0x0
	v_add_co_u32 v85, vcc_lo, s6, v85
	s_wait_alu 0xfffd
	s_delay_alu instid0(VALU_DEP_3) | instskip(NEXT) | instid1(VALU_DEP_3)
	v_add_co_ci_u32_e64 v86, null, s7, v86, vcc_lo
	v_add_co_u32 v89, vcc_lo, s6, v89
	s_wait_alu 0xfffd
	v_add_co_ci_u32_e64 v90, null, s7, v90, vcc_lo
	s_clause 0x1
	global_load_b128 v[85:88], v[85:86], off
	global_load_b128 v[89:92], v[89:90], off
	s_wait_loadcnt 0x1
	v_fmac_f32_e32 v8, v33, v85
	v_fmac_f32_e32 v23, v25, v85
	;; [unrolled: 1-line block ×3, first 2 shown]
	s_delay_alu instid0(VALU_DEP_3) | instskip(NEXT) | instid1(VALU_DEP_3)
	v_fmac_f32_e32 v8, v34, v86
	v_dual_fmac_f32 v23, v26, v86 :: v_dual_fmac_f32 v22, v17, v85
	s_delay_alu instid0(VALU_DEP_3) | instskip(NEXT) | instid1(VALU_DEP_3)
	v_fmac_f32_e32 v24, v30, v86
	v_fmac_f32_e32 v8, v35, v87
	v_ashrrev_i32_e32 v94, 31, v93
	s_delay_alu instid0(VALU_DEP_4) | instskip(NEXT) | instid1(VALU_DEP_3)
	v_dual_fmac_f32 v23, v27, v87 :: v_dual_fmac_f32 v22, v18, v86
	v_fmac_f32_e32 v8, v36, v88
	v_ashrrev_i32_e32 v96, 31, v95
	s_delay_alu instid0(VALU_DEP_4) | instskip(NEXT) | instid1(VALU_DEP_4)
	v_lshlrev_b64_e32 v[93:94], 2, v[93:94]
	v_dual_fmac_f32 v23, v28, v88 :: v_dual_fmac_f32 v24, v31, v87
	s_delay_alu instid0(VALU_DEP_3) | instskip(NEXT) | instid1(VALU_DEP_3)
	v_lshlrev_b64_e32 v[95:96], 2, v[95:96]
	v_add_co_u32 v93, vcc_lo, s6, v93
	s_wait_alu 0xfffd
	s_delay_alu instid0(VALU_DEP_4) | instskip(NEXT) | instid1(VALU_DEP_3)
	v_add_co_ci_u32_e64 v94, null, s7, v94, vcc_lo
	v_add_co_u32 v97, vcc_lo, s6, v95
	s_wait_alu 0xfffd
	v_add_co_ci_u32_e64 v98, null, s7, v96, vcc_lo
	global_load_b128 v[93:96], v[93:94], off
	s_wait_loadcnt 0x1
	v_dual_fmac_f32 v23, v41, v89 :: v_dual_fmac_f32 v22, v19, v87
	global_load_b128 v[33:36], v[97:98], off
	v_add_co_u32 v13, vcc_lo, 0x4000, v13
	v_dual_fmac_f32 v23, v42, v90 :: v_dual_fmac_f32 v24, v32, v88
	s_wait_alu 0xfffd
	v_add_co_ci_u32_e64 v14, null, 0, v14, vcc_lo
	v_cmp_ge_i64_e32 vcc_lo, v[11:12], v[2:3]
	s_delay_alu instid0(VALU_DEP_3) | instskip(NEXT) | instid1(VALU_DEP_1)
	v_dual_fmac_f32 v23, v43, v91 :: v_dual_fmac_f32 v8, v49, v89
	v_fmac_f32_e32 v23, v44, v92
	v_fmac_f32_e32 v22, v20, v88
	s_wait_alu 0xfffe
	s_or_b32 s11, vcc_lo, s11
	s_wait_loadcnt 0x1
	v_fmac_f32_e32 v23, v57, v93
	s_delay_alu instid0(VALU_DEP_1) | instskip(NEXT) | instid1(VALU_DEP_1)
	v_dual_fmac_f32 v24, v45, v89 :: v_dual_fmac_f32 v23, v58, v94
	v_dual_fmac_f32 v22, v37, v89 :: v_dual_fmac_f32 v23, v59, v95
	s_delay_alu instid0(VALU_DEP_1) | instskip(SKIP_1) | instid1(VALU_DEP_1)
	v_dual_fmac_f32 v8, v50, v90 :: v_dual_fmac_f32 v23, v60, v96
	s_wait_loadcnt 0x0
	v_dual_fmac_f32 v24, v46, v90 :: v_dual_fmac_f32 v23, v73, v33
	s_delay_alu instid0(VALU_DEP_1) | instskip(SKIP_1) | instid1(VALU_DEP_2)
	v_dual_fmac_f32 v8, v51, v91 :: v_dual_fmac_f32 v23, v74, v34
	v_fmac_f32_e32 v22, v38, v90
	v_dual_fmac_f32 v8, v52, v92 :: v_dual_fmac_f32 v23, v75, v35
	s_delay_alu instid0(VALU_DEP_4) | instskip(NEXT) | instid1(VALU_DEP_3)
	v_fmac_f32_e32 v24, v47, v91
	v_fmac_f32_e32 v22, v39, v91
	s_delay_alu instid0(VALU_DEP_3) | instskip(NEXT) | instid1(VALU_DEP_3)
	v_dual_fmac_f32 v8, v65, v93 :: v_dual_fmac_f32 v23, v76, v36
	v_fmac_f32_e32 v24, v48, v92
	s_delay_alu instid0(VALU_DEP_3) | instskip(NEXT) | instid1(VALU_DEP_3)
	v_fmac_f32_e32 v22, v40, v92
	v_fmac_f32_e32 v8, v66, v94
	s_delay_alu instid0(VALU_DEP_3) | instskip(NEXT) | instid1(VALU_DEP_3)
	v_fmac_f32_e32 v24, v61, v93
	;; [unrolled: 3-line block ×11, first 2 shown]
	v_fmac_f32_e32 v22, v71, v35
	s_delay_alu instid0(VALU_DEP_2) | instskip(NEXT) | instid1(VALU_DEP_2)
	v_fmac_f32_e32 v24, v80, v36
	v_fmac_f32_e32 v22, v72, v36
	s_wait_alu 0xfffe
	s_and_not1_b32 exec_lo, exec_lo, s11
	s_cbranch_execnz .LBB24_21
; %bb.22:
	s_or_b32 exec_lo, exec_lo, s11
.LBB24_23:
	s_wait_alu 0xfffe
	s_or_b32 exec_lo, exec_lo, s10
.LBB24_24:
	s_wait_alu 0xfffe
	s_or_b32 exec_lo, exec_lo, s5
	s_cbranch_execz .LBB24_26
	s_branch .LBB24_37
.LBB24_25:
                                        ; implicit-def: $vgpr22
                                        ; implicit-def: $vgpr23
                                        ; implicit-def: $vgpr24
                                        ; implicit-def: $vgpr8
.LBB24_26:
	v_dual_mov_b32 v22, 0 :: v_dual_mov_b32 v23, 0
	v_mov_b32_e32 v24, 0
	v_mov_b32_e32 v8, 0
	s_and_saveexec_b32 s3, s2
	s_cbranch_execz .LBB24_36
; %bb.27:
	v_or_b32_e32 v7, 64, v21
	s_delay_alu instid0(VALU_DEP_1) | instskip(SKIP_3) | instid1(VALU_DEP_3)
	v_sub_co_u32 v7, s2, v7, s16
	s_wait_alu 0xf1ff
	v_sub_co_ci_u32_e64 v8, null, 0, 0, s2
	v_sub_co_u32 v11, s2, s16, v21
	v_add_co_u32 v7, vcc_lo, v7, v9
	s_wait_alu 0xfffd
	s_delay_alu instid0(VALU_DEP_3)
	v_add_co_ci_u32_e64 v8, null, v8, v10, vcc_lo
	v_not_b32_e32 v9, v9
	v_not_b32_e32 v10, v10
	s_wait_alu 0xf1ff
	v_sub_co_ci_u32_e64 v12, null, 0, 0, s2
	v_cmp_gt_i64_e32 vcc_lo, v[7:8], v[2:3]
	s_mov_b32 s2, exec_lo
	s_wait_alu 0xfffd
	v_cndmask_b32_e32 v13, v3, v8, vcc_lo
	v_cndmask_b32_e32 v7, v2, v7, vcc_lo
	v_add_co_u32 v8, vcc_lo, v11, v9
	s_wait_alu 0xfffd
	v_add_co_ci_u32_e64 v10, null, v12, v10, vcc_lo
	s_delay_alu instid0(VALU_DEP_2) | instskip(SKIP_2) | instid1(VALU_DEP_3)
	v_add_co_u32 v9, vcc_lo, v8, v7
	v_mov_b32_e32 v8, 0
	s_wait_alu 0xfffd
	v_add_co_ci_u32_e64 v10, null, v10, v13, vcc_lo
	s_delay_alu instid0(VALU_DEP_2) | instskip(SKIP_1) | instid1(VALU_DEP_2)
	v_dual_mov_b32 v22, v8 :: v_dual_and_b32 v7, 0xc0, v9
	v_dual_mov_b32 v24, v8 :: v_dual_mov_b32 v23, v8
	v_cmpx_ne_u64_e32 0xc0, v[7:8]
	s_cbranch_execz .LBB24_31
; %bb.28:
	v_lshrrev_b32_e32 v7, 6, v9
	v_dual_mov_b32 v23, 0 :: v_dual_mov_b32 v24, 0
	s_delay_alu instid0(VALU_DEP_2) | instskip(SKIP_1) | instid1(VALU_DEP_2)
	v_dual_mov_b32 v22, 0 :: v_dual_add_nc_u32 v11, 1, v7
	v_lshlrev_b64_e32 v[7:8], 2, v[0:1]
	v_and_b32_e32 v13, 3, v11
	s_delay_alu instid0(VALU_DEP_2) | instskip(SKIP_1) | instid1(VALU_DEP_3)
	v_add_co_u32 v11, vcc_lo, s8, v7
	s_wait_alu 0xfffd
	v_add_co_ci_u32_e64 v12, null, s9, v8, vcc_lo
	v_mov_b32_e32 v8, 0
	v_sub_co_u32 v13, s4, 0, v13
	s_wait_alu 0xf1ff
	v_sub_co_ci_u32_e64 v14, null, 0, 0, s4
	s_mov_b32 s4, 0
.LBB24_29:                              ; =>This Inner Loop Header: Depth=1
	global_load_b32 v7, v[11:12], off
	s_clause 0x1
	global_load_b128 v[15:18], v[5:6], off offset:16
	global_load_b128 v[25:28], v[5:6], off
	s_wait_loadcnt 0x2
	v_subrev_nc_u32_e32 v7, s16, v7
	s_delay_alu instid0(VALU_DEP_1) | instskip(NEXT) | instid1(VALU_DEP_1)
	v_lshlrev_b32_e32 v19, 2, v7
	v_ashrrev_i32_e32 v20, 31, v19
	s_delay_alu instid0(VALU_DEP_1) | instskip(SKIP_1) | instid1(VALU_DEP_1)
	v_lshlrev_b64_e32 v[19:20], 2, v[19:20]
	s_wait_kmcnt 0x0
	v_add_co_u32 v19, vcc_lo, s6, v19
	s_wait_alu 0xfffd
	s_delay_alu instid0(VALU_DEP_2)
	v_add_co_ci_u32_e64 v20, null, s7, v20, vcc_lo
	global_load_b128 v[29:32], v[19:20], off
	s_clause 0x1
	global_load_b128 v[33:36], v[5:6], off offset:32
	global_load_b128 v[37:40], v[5:6], off offset:48
	v_add_co_u32 v5, vcc_lo, 0x1000, v5
	s_wait_alu 0xfffd
	v_add_co_ci_u32_e64 v6, null, 0, v6, vcc_lo
	v_add_co_u32 v0, vcc_lo, v0, 64
	s_wait_alu 0xfffd
	v_add_co_ci_u32_e64 v1, null, 0, v1, vcc_lo
	;; [unrolled: 3-line block ×4, first 2 shown]
	s_delay_alu instid0(VALU_DEP_1)
	v_cmp_eq_u64_e32 vcc_lo, 0, v[13:14]
	s_wait_alu 0xfffe
	s_or_b32 s4, vcc_lo, s4
	s_wait_loadcnt 0x2
	v_fmac_f32_e32 v23, v27, v29
	v_fmac_f32_e32 v8, v25, v29
	s_delay_alu instid0(VALU_DEP_2) | instskip(SKIP_1) | instid1(VALU_DEP_3)
	v_dual_fmac_f32 v24, v26, v29 :: v_dual_fmac_f32 v23, v17, v30
	v_fmac_f32_e32 v22, v28, v29
	v_fmac_f32_e32 v8, v15, v30
	s_wait_loadcnt 0x1
	s_delay_alu instid0(VALU_DEP_3) | instskip(NEXT) | instid1(VALU_DEP_3)
	v_dual_fmac_f32 v24, v16, v30 :: v_dual_fmac_f32 v23, v35, v31
	v_fmac_f32_e32 v22, v18, v30
	s_delay_alu instid0(VALU_DEP_3) | instskip(SKIP_1) | instid1(VALU_DEP_3)
	v_fmac_f32_e32 v8, v33, v31
	s_wait_loadcnt 0x0
	v_dual_fmac_f32 v24, v34, v31 :: v_dual_fmac_f32 v23, v39, v32
	s_delay_alu instid0(VALU_DEP_3) | instskip(NEXT) | instid1(VALU_DEP_3)
	v_fmac_f32_e32 v22, v36, v31
	v_fmac_f32_e32 v8, v37, v32
	s_delay_alu instid0(VALU_DEP_3) | instskip(NEXT) | instid1(VALU_DEP_3)
	v_fmac_f32_e32 v24, v38, v32
	v_fmac_f32_e32 v22, v40, v32
	s_wait_alu 0xfffe
	s_and_not1_b32 exec_lo, exec_lo, s4
	s_cbranch_execnz .LBB24_29
; %bb.30:
	s_or_b32 exec_lo, exec_lo, s4
.LBB24_31:
	s_wait_alu 0xfffe
	s_or_b32 exec_lo, exec_lo, s2
	s_delay_alu instid0(SALU_CYCLE_1)
	s_mov_b32 s2, exec_lo
	v_cmpx_lt_u64_e32 0xbf, v[9:10]
	s_cbranch_execz .LBB24_35
; %bb.32:
	v_lshlrev_b64_e32 v[9:10], 2, v[0:1]
	s_mov_b32 s4, 0
	s_delay_alu instid0(VALU_DEP_1) | instskip(SKIP_1) | instid1(VALU_DEP_2)
	v_add_co_u32 v7, vcc_lo, s8, v9
	s_wait_alu 0xfffd
	v_add_co_ci_u32_e64 v10, null, s9, v10, vcc_lo
	s_delay_alu instid0(VALU_DEP_2) | instskip(SKIP_1) | instid1(VALU_DEP_2)
	v_add_co_u32 v9, vcc_lo, 0x200, v7
	s_wait_alu 0xfffd
	v_add_co_ci_u32_e64 v10, null, 0, v10, vcc_lo
.LBB24_33:                              ; =>This Inner Loop Header: Depth=1
	s_clause 0x3
	global_load_b32 v7, v[9:10], off offset:-512
	global_load_b32 v19, v[9:10], off offset:-256
	global_load_b32 v20, v[9:10], off
	global_load_b32 v73, v[9:10], off offset:256
	s_clause 0xd
	global_load_b128 v[11:14], v[5:6], off offset:48
	global_load_b128 v[15:18], v[5:6], off offset:32
	global_load_b128 v[25:28], v[5:6], off offset:16
	global_load_b128 v[29:32], v[5:6], off
	global_load_b128 v[33:36], v[5:6], off offset:4144
	global_load_b128 v[37:40], v[5:6], off offset:4128
	;; [unrolled: 1-line block ×10, first 2 shown]
	s_wait_loadcnt 0x11
	v_subrev_nc_u32_e32 v7, s16, v7
	s_wait_loadcnt 0x10
	v_subrev_nc_u32_e32 v74, s16, v19
	;; [unrolled: 2-line block ×4, first 2 shown]
	v_lshlrev_b32_e32 v19, 2, v7
	v_lshlrev_b32_e32 v77, 2, v74
	;; [unrolled: 1-line block ×3, first 2 shown]
	s_delay_alu instid0(VALU_DEP_4) | instskip(NEXT) | instid1(VALU_DEP_4)
	v_lshlrev_b32_e32 v85, 2, v73
	v_ashrrev_i32_e32 v20, 31, v19
	s_delay_alu instid0(VALU_DEP_1) | instskip(SKIP_1) | instid1(VALU_DEP_1)
	v_lshlrev_b64_e32 v[19:20], 2, v[19:20]
	s_wait_kmcnt 0x0
	v_add_co_u32 v19, vcc_lo, s6, v19
	s_wait_alu 0xfffd
	s_delay_alu instid0(VALU_DEP_2)
	v_add_co_ci_u32_e64 v20, null, s7, v20, vcc_lo
	global_load_b128 v[73:76], v[19:20], off
	s_wait_loadcnt 0x0
	v_fmac_f32_e32 v24, v30, v73
	v_ashrrev_i32_e32 v78, 31, v77
	v_fmac_f32_e32 v22, v32, v73
	v_ashrrev_i32_e32 v82, 31, v81
	v_fmac_f32_e32 v8, v29, v73
	v_dual_fmac_f32 v23, v31, v73 :: v_dual_fmac_f32 v24, v26, v74
	v_lshlrev_b64_e32 v[19:20], 2, v[77:78]
	s_delay_alu instid0(VALU_DEP_3) | instskip(SKIP_1) | instid1(VALU_DEP_4)
	v_fmac_f32_e32 v8, v25, v74
	v_ashrrev_i32_e32 v86, 31, v85
	v_dual_fmac_f32 v23, v27, v74 :: v_dual_fmac_f32 v24, v16, v75
	s_delay_alu instid0(VALU_DEP_4) | instskip(SKIP_2) | instid1(VALU_DEP_3)
	v_add_co_u32 v19, vcc_lo, s6, v19
	s_wait_alu 0xfffd
	v_add_co_ci_u32_e64 v20, null, s7, v20, vcc_lo
	v_dual_fmac_f32 v22, v28, v74 :: v_dual_fmac_f32 v23, v17, v75
	v_fmac_f32_e32 v8, v15, v75
	global_load_b128 v[77:80], v[19:20], off
	v_lshlrev_b64_e32 v[19:20], 2, v[81:82]
	v_dual_fmac_f32 v23, v13, v76 :: v_dual_fmac_f32 v22, v18, v75
	v_fmac_f32_e32 v8, v11, v76
	s_delay_alu instid0(VALU_DEP_3) | instskip(SKIP_1) | instid1(VALU_DEP_4)
	v_add_co_u32 v19, vcc_lo, s6, v19
	s_wait_alu 0xfffd
	v_add_co_ci_u32_e64 v20, null, s7, v20, vcc_lo
	global_load_b128 v[81:84], v[19:20], off
	v_lshlrev_b64_e32 v[19:20], 2, v[85:86]
	s_delay_alu instid0(VALU_DEP_1) | instskip(SKIP_1) | instid1(VALU_DEP_2)
	v_add_co_u32 v19, vcc_lo, s6, v19
	s_wait_alu 0xfffd
	v_add_co_ci_u32_e64 v20, null, s7, v20, vcc_lo
	global_load_b128 v[85:88], v[19:20], off
	s_clause 0x1
	global_load_b128 v[89:92], v[5:6], off offset:12320
	global_load_b128 v[29:32], v[5:6], off offset:12336
	v_add_co_u32 v5, vcc_lo, 0x4000, v5
	s_wait_alu 0xfffd
	v_add_co_ci_u32_e64 v6, null, 0, v6, vcc_lo
	v_add_co_u32 v0, vcc_lo, 0x100, v0
	s_wait_alu 0xfffd
	v_add_co_ci_u32_e64 v1, null, 0, v1, vcc_lo
	;; [unrolled: 3-line block ×3, first 2 shown]
	s_delay_alu instid0(VALU_DEP_3) | instskip(SKIP_4) | instid1(VALU_DEP_1)
	v_cmp_ge_i64_e32 vcc_lo, v[0:1], v[2:3]
	s_wait_alu 0xfffe
	s_or_b32 s4, vcc_lo, s4
	s_wait_loadcnt 0x4
	v_dual_fmac_f32 v23, v47, v77 :: v_dual_fmac_f32 v24, v12, v76
	v_dual_fmac_f32 v23, v43, v78 :: v_dual_fmac_f32 v22, v14, v76
	s_delay_alu instid0(VALU_DEP_1) | instskip(NEXT) | instid1(VALU_DEP_1)
	v_dual_fmac_f32 v23, v39, v79 :: v_dual_fmac_f32 v8, v45, v77
	v_dual_fmac_f32 v23, v35, v80 :: v_dual_fmac_f32 v8, v41, v78
	s_wait_loadcnt 0x3
	s_delay_alu instid0(VALU_DEP_1) | instskip(NEXT) | instid1(VALU_DEP_1)
	v_fmac_f32_e32 v23, v63, v81
	v_dual_fmac_f32 v24, v46, v77 :: v_dual_fmac_f32 v23, v59, v82
	s_delay_alu instid0(VALU_DEP_1) | instskip(NEXT) | instid1(VALU_DEP_1)
	v_dual_fmac_f32 v22, v48, v77 :: v_dual_fmac_f32 v23, v55, v83
	v_dual_fmac_f32 v24, v42, v78 :: v_dual_fmac_f32 v23, v51, v84
	s_wait_loadcnt 0x2
	s_delay_alu instid0(VALU_DEP_1) | instskip(SKIP_1) | instid1(VALU_DEP_2)
	v_dual_fmac_f32 v22, v44, v78 :: v_dual_fmac_f32 v23, v71, v85
	v_fmac_f32_e32 v8, v37, v79
	v_dual_fmac_f32 v22, v40, v79 :: v_dual_fmac_f32 v23, v67, v86
	s_delay_alu instid0(VALU_DEP_2) | instskip(SKIP_1) | instid1(VALU_DEP_2)
	v_fmac_f32_e32 v8, v33, v80
	s_wait_loadcnt 0x1
	v_dual_fmac_f32 v22, v36, v80 :: v_dual_fmac_f32 v23, v91, v87
	v_fmac_f32_e32 v24, v38, v79
	s_delay_alu instid0(VALU_DEP_3) | instskip(SKIP_1) | instid1(VALU_DEP_3)
	v_fmac_f32_e32 v8, v61, v81
	s_wait_loadcnt 0x0
	v_dual_fmac_f32 v22, v64, v81 :: v_dual_fmac_f32 v23, v31, v88
	s_delay_alu instid0(VALU_DEP_3) | instskip(NEXT) | instid1(VALU_DEP_3)
	v_fmac_f32_e32 v24, v34, v80
	v_fmac_f32_e32 v8, v57, v82
	s_delay_alu instid0(VALU_DEP_3) | instskip(NEXT) | instid1(VALU_DEP_3)
	v_fmac_f32_e32 v22, v60, v82
	v_fmac_f32_e32 v24, v62, v81
	;; [unrolled: 3-line block ×11, first 2 shown]
	s_delay_alu instid0(VALU_DEP_1)
	v_fmac_f32_e32 v24, v30, v88
	s_wait_alu 0xfffe
	s_and_not1_b32 exec_lo, exec_lo, s4
	s_cbranch_execnz .LBB24_33
; %bb.34:
	s_or_b32 exec_lo, exec_lo, s4
.LBB24_35:
	s_wait_alu 0xfffe
	s_or_b32 exec_lo, exec_lo, s2
.LBB24_36:
	s_wait_alu 0xfffe
	s_or_b32 exec_lo, exec_lo, s3
.LBB24_37:
	v_mbcnt_lo_u32_b32 v0, -1, 0
	s_mov_b32 s2, -1
	s_delay_alu instid0(VALU_DEP_1) | instskip(SKIP_2) | instid1(VALU_DEP_3)
	v_or_b32_e32 v1, 32, v0
	v_xor_b32_e32 v6, 16, v0
	v_xor_b32_e32 v10, 8, v0
	v_cmp_gt_i32_e32 vcc_lo, 32, v1
	s_wait_alu 0xfffd
	v_cndmask_b32_e32 v1, v0, v1, vcc_lo
	v_cmp_gt_i32_e32 vcc_lo, 32, v6
	s_wait_alu 0xfffd
	v_cndmask_b32_e32 v6, v0, v6, vcc_lo
	v_cmp_gt_i32_e32 vcc_lo, 32, v10
	s_delay_alu instid0(VALU_DEP_2)
	v_lshlrev_b32_e32 v6, 2, v6
	s_wait_alu 0xfffd
	v_dual_cndmask_b32 v10, v0, v10 :: v_dual_lshlrev_b32 v1, 2, v1
	ds_bpermute_b32 v2, v1, v8
	v_lshlrev_b32_e32 v10, 2, v10
	s_wait_dscnt 0x0
	v_add_f32_e32 v2, v8, v2
	ds_bpermute_b32 v3, v1, v24
	ds_bpermute_b32 v5, v1, v23
	;; [unrolled: 1-line block ×4, first 2 shown]
	s_wait_dscnt 0x3
	v_add_f32_e32 v3, v24, v3
	s_wait_dscnt 0x2
	v_add_f32_e32 v5, v23, v5
	;; [unrolled: 2-line block ×3, first 2 shown]
	ds_bpermute_b32 v8, v6, v3
	ds_bpermute_b32 v9, v6, v5
	;; [unrolled: 1-line block ×3, first 2 shown]
	s_wait_dscnt 0x2
	v_dual_add_f32 v2, v2, v7 :: v_dual_add_f32 v3, v3, v8
	s_wait_dscnt 0x1
	v_add_f32_e32 v5, v5, v9
	s_wait_dscnt 0x0
	v_add_f32_e32 v1, v1, v6
	ds_bpermute_b32 v6, v10, v2
	ds_bpermute_b32 v7, v10, v3
	ds_bpermute_b32 v8, v10, v5
	ds_bpermute_b32 v9, v10, v1
	v_xor_b32_e32 v10, 4, v0
	s_delay_alu instid0(VALU_DEP_1) | instskip(SKIP_2) | instid1(VALU_DEP_1)
	v_cmp_gt_i32_e32 vcc_lo, 32, v10
	s_wait_alu 0xfffd
	v_cndmask_b32_e32 v10, v0, v10, vcc_lo
	v_lshlrev_b32_e32 v10, 2, v10
	s_wait_dscnt 0x2
	v_dual_add_f32 v2, v2, v6 :: v_dual_add_f32 v3, v3, v7
	s_wait_dscnt 0x1
	v_add_f32_e32 v5, v5, v8
	s_wait_dscnt 0x0
	v_add_f32_e32 v1, v1, v9
	ds_bpermute_b32 v6, v10, v2
	ds_bpermute_b32 v7, v10, v3
	;; [unrolled: 1-line block ×4, first 2 shown]
	v_xor_b32_e32 v10, 2, v0
	s_delay_alu instid0(VALU_DEP_1) | instskip(SKIP_2) | instid1(VALU_DEP_1)
	v_cmp_gt_i32_e32 vcc_lo, 32, v10
	s_wait_alu 0xfffd
	v_cndmask_b32_e32 v10, v0, v10, vcc_lo
	v_lshlrev_b32_e32 v10, 2, v10
	s_wait_dscnt 0x2
	v_dual_add_f32 v2, v2, v6 :: v_dual_add_f32 v3, v3, v7
	s_wait_dscnt 0x1
	v_add_f32_e32 v5, v5, v8
	ds_bpermute_b32 v7, v10, v3
	s_wait_dscnt 0x1
	v_add_f32_e32 v6, v1, v9
	ds_bpermute_b32 v1, v10, v2
	ds_bpermute_b32 v8, v10, v5
	;; [unrolled: 1-line block ×3, first 2 shown]
	v_xor_b32_e32 v10, 1, v0
	s_delay_alu instid0(VALU_DEP_1) | instskip(SKIP_3) | instid1(VALU_DEP_2)
	v_cmp_gt_i32_e32 vcc_lo, 32, v10
	s_wait_alu 0xfffd
	v_cndmask_b32_e32 v0, v0, v10, vcc_lo
	v_cmp_eq_u32_e32 vcc_lo, 63, v21
	v_lshlrev_b32_e32 v10, 2, v0
	s_wait_dscnt 0x2
	v_dual_add_f32 v0, v2, v1 :: v_dual_add_f32 v1, v3, v7
	s_wait_dscnt 0x0
	v_dual_add_f32 v2, v5, v8 :: v_dual_add_f32 v3, v6, v9
	ds_bpermute_b32 v5, v10, v0
	ds_bpermute_b32 v6, v10, v1
	ds_bpermute_b32 v7, v10, v2
	ds_bpermute_b32 v8, v10, v3
	s_and_b32 exec_lo, exec_lo, vcc_lo
	s_cbranch_execz .LBB24_10
; %bb.38:
	s_load_b64 s[0:1], s[0:1], 0x50
	s_wait_dscnt 0x2
	v_dual_add_f32 v0, v0, v5 :: v_dual_add_f32 v1, v1, v6
	s_wait_dscnt 0x0
	v_dual_add_f32 v2, v2, v7 :: v_dual_add_f32 v3, v3, v8
	v_lshlrev_b32_e32 v4, 2, v4
	s_delay_alu instid0(VALU_DEP_3) | instskip(NEXT) | instid1(VALU_DEP_3)
	v_dual_mul_f32 v0, s14, v0 :: v_dual_mul_f32 v1, s14, v1
	v_dual_mul_f32 v2, s14, v2 :: v_dual_mul_f32 v3, s14, v3
	s_cmp_eq_f32 s12, 0
	s_cbranch_scc0 .LBB24_40
; %bb.39:
	v_ashrrev_i32_e32 v5, 31, v4
	s_mov_b32 s2, 0
	s_delay_alu instid0(VALU_DEP_1) | instskip(SKIP_1) | instid1(VALU_DEP_1)
	v_lshlrev_b64_e32 v[5:6], 2, v[4:5]
	s_wait_kmcnt 0x0
	v_add_co_u32 v5, vcc_lo, s0, v5
	s_wait_alu 0xfffd
	s_delay_alu instid0(VALU_DEP_2)
	v_add_co_ci_u32_e64 v6, null, s1, v6, vcc_lo
	global_store_b128 v[5:6], v[0:3], off
.LBB24_40:
	s_wait_alu 0xfffe
	s_and_not1_b32 vcc_lo, exec_lo, s2
	s_wait_alu 0xfffe
	s_cbranch_vccnz .LBB24_10
; %bb.41:
	v_ashrrev_i32_e32 v5, 31, v4
	s_delay_alu instid0(VALU_DEP_1) | instskip(SKIP_1) | instid1(VALU_DEP_1)
	v_lshlrev_b64_e32 v[4:5], 2, v[4:5]
	s_wait_kmcnt 0x0
	v_add_co_u32 v8, vcc_lo, s0, v4
	s_wait_alu 0xfffd
	s_delay_alu instid0(VALU_DEP_2)
	v_add_co_ci_u32_e64 v9, null, s1, v5, vcc_lo
	global_load_b128 v[4:7], v[8:9], off
	s_wait_loadcnt 0x0
	v_dual_fmac_f32 v0, s12, v4 :: v_dual_fmac_f32 v1, s12, v5
	v_dual_fmac_f32 v2, s12, v6 :: v_dual_fmac_f32 v3, s12, v7
	global_store_b128 v[8:9], v[0:3], off
	s_nop 0
	s_sendmsg sendmsg(MSG_DEALLOC_VGPRS)
	s_endpgm
	.section	.rodata,"a",@progbits
	.p2align	6, 0x0
	.amdhsa_kernel _ZN9rocsparseL18bsrxmvn_4x4_kernelILj128ELj64EflifffEEvT3_20rocsparse_direction_NS_24const_host_device_scalarIT1_EES1_PKS1_PKT2_SA_S7_PKT4_PKT5_S5_PT6_21rocsparse_index_base_b
		.amdhsa_group_segment_fixed_size 0
		.amdhsa_private_segment_fixed_size 0
		.amdhsa_kernarg_size 96
		.amdhsa_user_sgpr_count 2
		.amdhsa_user_sgpr_dispatch_ptr 0
		.amdhsa_user_sgpr_queue_ptr 0
		.amdhsa_user_sgpr_kernarg_segment_ptr 1
		.amdhsa_user_sgpr_dispatch_id 0
		.amdhsa_user_sgpr_private_segment_size 0
		.amdhsa_wavefront_size32 1
		.amdhsa_uses_dynamic_stack 0
		.amdhsa_enable_private_segment 0
		.amdhsa_system_sgpr_workgroup_id_x 1
		.amdhsa_system_sgpr_workgroup_id_y 0
		.amdhsa_system_sgpr_workgroup_id_z 0
		.amdhsa_system_sgpr_workgroup_info 0
		.amdhsa_system_vgpr_workitem_id 0
		.amdhsa_next_free_vgpr 99
		.amdhsa_next_free_sgpr 18
		.amdhsa_reserve_vcc 1
		.amdhsa_float_round_mode_32 0
		.amdhsa_float_round_mode_16_64 0
		.amdhsa_float_denorm_mode_32 3
		.amdhsa_float_denorm_mode_16_64 3
		.amdhsa_fp16_overflow 0
		.amdhsa_workgroup_processor_mode 1
		.amdhsa_memory_ordered 1
		.amdhsa_forward_progress 1
		.amdhsa_inst_pref_size 38
		.amdhsa_round_robin_scheduling 0
		.amdhsa_exception_fp_ieee_invalid_op 0
		.amdhsa_exception_fp_denorm_src 0
		.amdhsa_exception_fp_ieee_div_zero 0
		.amdhsa_exception_fp_ieee_overflow 0
		.amdhsa_exception_fp_ieee_underflow 0
		.amdhsa_exception_fp_ieee_inexact 0
		.amdhsa_exception_int_div_zero 0
	.end_amdhsa_kernel
	.section	.text._ZN9rocsparseL18bsrxmvn_4x4_kernelILj128ELj64EflifffEEvT3_20rocsparse_direction_NS_24const_host_device_scalarIT1_EES1_PKS1_PKT2_SA_S7_PKT4_PKT5_S5_PT6_21rocsparse_index_base_b,"axG",@progbits,_ZN9rocsparseL18bsrxmvn_4x4_kernelILj128ELj64EflifffEEvT3_20rocsparse_direction_NS_24const_host_device_scalarIT1_EES1_PKS1_PKT2_SA_S7_PKT4_PKT5_S5_PT6_21rocsparse_index_base_b,comdat
.Lfunc_end24:
	.size	_ZN9rocsparseL18bsrxmvn_4x4_kernelILj128ELj64EflifffEEvT3_20rocsparse_direction_NS_24const_host_device_scalarIT1_EES1_PKS1_PKT2_SA_S7_PKT4_PKT5_S5_PT6_21rocsparse_index_base_b, .Lfunc_end24-_ZN9rocsparseL18bsrxmvn_4x4_kernelILj128ELj64EflifffEEvT3_20rocsparse_direction_NS_24const_host_device_scalarIT1_EES1_PKS1_PKT2_SA_S7_PKT4_PKT5_S5_PT6_21rocsparse_index_base_b
                                        ; -- End function
	.set _ZN9rocsparseL18bsrxmvn_4x4_kernelILj128ELj64EflifffEEvT3_20rocsparse_direction_NS_24const_host_device_scalarIT1_EES1_PKS1_PKT2_SA_S7_PKT4_PKT5_S5_PT6_21rocsparse_index_base_b.num_vgpr, 99
	.set _ZN9rocsparseL18bsrxmvn_4x4_kernelILj128ELj64EflifffEEvT3_20rocsparse_direction_NS_24const_host_device_scalarIT1_EES1_PKS1_PKT2_SA_S7_PKT4_PKT5_S5_PT6_21rocsparse_index_base_b.num_agpr, 0
	.set _ZN9rocsparseL18bsrxmvn_4x4_kernelILj128ELj64EflifffEEvT3_20rocsparse_direction_NS_24const_host_device_scalarIT1_EES1_PKS1_PKT2_SA_S7_PKT4_PKT5_S5_PT6_21rocsparse_index_base_b.numbered_sgpr, 18
	.set _ZN9rocsparseL18bsrxmvn_4x4_kernelILj128ELj64EflifffEEvT3_20rocsparse_direction_NS_24const_host_device_scalarIT1_EES1_PKS1_PKT2_SA_S7_PKT4_PKT5_S5_PT6_21rocsparse_index_base_b.num_named_barrier, 0
	.set _ZN9rocsparseL18bsrxmvn_4x4_kernelILj128ELj64EflifffEEvT3_20rocsparse_direction_NS_24const_host_device_scalarIT1_EES1_PKS1_PKT2_SA_S7_PKT4_PKT5_S5_PT6_21rocsparse_index_base_b.private_seg_size, 0
	.set _ZN9rocsparseL18bsrxmvn_4x4_kernelILj128ELj64EflifffEEvT3_20rocsparse_direction_NS_24const_host_device_scalarIT1_EES1_PKS1_PKT2_SA_S7_PKT4_PKT5_S5_PT6_21rocsparse_index_base_b.uses_vcc, 1
	.set _ZN9rocsparseL18bsrxmvn_4x4_kernelILj128ELj64EflifffEEvT3_20rocsparse_direction_NS_24const_host_device_scalarIT1_EES1_PKS1_PKT2_SA_S7_PKT4_PKT5_S5_PT6_21rocsparse_index_base_b.uses_flat_scratch, 0
	.set _ZN9rocsparseL18bsrxmvn_4x4_kernelILj128ELj64EflifffEEvT3_20rocsparse_direction_NS_24const_host_device_scalarIT1_EES1_PKS1_PKT2_SA_S7_PKT4_PKT5_S5_PT6_21rocsparse_index_base_b.has_dyn_sized_stack, 0
	.set _ZN9rocsparseL18bsrxmvn_4x4_kernelILj128ELj64EflifffEEvT3_20rocsparse_direction_NS_24const_host_device_scalarIT1_EES1_PKS1_PKT2_SA_S7_PKT4_PKT5_S5_PT6_21rocsparse_index_base_b.has_recursion, 0
	.set _ZN9rocsparseL18bsrxmvn_4x4_kernelILj128ELj64EflifffEEvT3_20rocsparse_direction_NS_24const_host_device_scalarIT1_EES1_PKS1_PKT2_SA_S7_PKT4_PKT5_S5_PT6_21rocsparse_index_base_b.has_indirect_call, 0
	.section	.AMDGPU.csdata,"",@progbits
; Kernel info:
; codeLenInByte = 4756
; TotalNumSgprs: 20
; NumVgprs: 99
; ScratchSize: 0
; MemoryBound: 0
; FloatMode: 240
; IeeeMode: 1
; LDSByteSize: 0 bytes/workgroup (compile time only)
; SGPRBlocks: 0
; VGPRBlocks: 12
; NumSGPRsForWavesPerEU: 20
; NumVGPRsForWavesPerEU: 99
; Occupancy: 12
; WaveLimiterHint : 1
; COMPUTE_PGM_RSRC2:SCRATCH_EN: 0
; COMPUTE_PGM_RSRC2:USER_SGPR: 2
; COMPUTE_PGM_RSRC2:TRAP_HANDLER: 0
; COMPUTE_PGM_RSRC2:TGID_X_EN: 1
; COMPUTE_PGM_RSRC2:TGID_Y_EN: 0
; COMPUTE_PGM_RSRC2:TGID_Z_EN: 0
; COMPUTE_PGM_RSRC2:TIDIG_COMP_CNT: 0
	.section	.text._ZN9rocsparseL18bsrxmvn_4x4_kernelILj128ELj4EdlidddEEvT3_20rocsparse_direction_NS_24const_host_device_scalarIT1_EES1_PKS1_PKT2_SA_S7_PKT4_PKT5_S5_PT6_21rocsparse_index_base_b,"axG",@progbits,_ZN9rocsparseL18bsrxmvn_4x4_kernelILj128ELj4EdlidddEEvT3_20rocsparse_direction_NS_24const_host_device_scalarIT1_EES1_PKS1_PKT2_SA_S7_PKT4_PKT5_S5_PT6_21rocsparse_index_base_b,comdat
	.globl	_ZN9rocsparseL18bsrxmvn_4x4_kernelILj128ELj4EdlidddEEvT3_20rocsparse_direction_NS_24const_host_device_scalarIT1_EES1_PKS1_PKT2_SA_S7_PKT4_PKT5_S5_PT6_21rocsparse_index_base_b ; -- Begin function _ZN9rocsparseL18bsrxmvn_4x4_kernelILj128ELj4EdlidddEEvT3_20rocsparse_direction_NS_24const_host_device_scalarIT1_EES1_PKS1_PKT2_SA_S7_PKT4_PKT5_S5_PT6_21rocsparse_index_base_b
	.p2align	8
	.type	_ZN9rocsparseL18bsrxmvn_4x4_kernelILj128ELj4EdlidddEEvT3_20rocsparse_direction_NS_24const_host_device_scalarIT1_EES1_PKS1_PKT2_SA_S7_PKT4_PKT5_S5_PT6_21rocsparse_index_base_b,@function
_ZN9rocsparseL18bsrxmvn_4x4_kernelILj128ELj4EdlidddEEvT3_20rocsparse_direction_NS_24const_host_device_scalarIT1_EES1_PKS1_PKT2_SA_S7_PKT4_PKT5_S5_PT6_21rocsparse_index_base_b: ; @_ZN9rocsparseL18bsrxmvn_4x4_kernelILj128ELj4EdlidddEEvT3_20rocsparse_direction_NS_24const_host_device_scalarIT1_EES1_PKS1_PKT2_SA_S7_PKT4_PKT5_S5_PT6_21rocsparse_index_base_b
; %bb.0:
	s_clause 0x2
	s_load_b64 s[12:13], s[0:1], 0x58
	s_load_b64 s[4:5], s[0:1], 0x8
	s_load_b64 s[2:3], s[0:1], 0x48
	s_wait_kmcnt 0x0
	s_bitcmp1_b32 s13, 0
	v_dual_mov_b32 v2, s4 :: v_dual_mov_b32 v3, s5
	s_cselect_b32 s6, -1, 0
	s_delay_alu instid0(SALU_CYCLE_1)
	s_and_b32 vcc_lo, exec_lo, s6
	s_xor_b32 s6, s6, -1
	s_cbranch_vccnz .LBB25_2
; %bb.1:
	v_dual_mov_b32 v1, s4 :: v_dual_mov_b32 v2, s5
	flat_load_b64 v[2:3], v[1:2]
.LBB25_2:
	v_dual_mov_b32 v9, s3 :: v_dual_mov_b32 v8, s2
	s_and_not1_b32 vcc_lo, exec_lo, s6
	s_cbranch_vccnz .LBB25_4
; %bb.3:
	v_dual_mov_b32 v5, s3 :: v_dual_mov_b32 v4, s2
	flat_load_b64 v[8:9], v[4:5]
.LBB25_4:
	s_wait_loadcnt_dscnt 0x0
	v_cmp_neq_f64_e32 vcc_lo, 0, v[2:3]
	v_cmp_neq_f64_e64 s2, 1.0, v[8:9]
	s_or_b32 s2, vcc_lo, s2
	s_wait_alu 0xfffe
	s_and_saveexec_b32 s3, s2
	s_cbranch_execz .LBB25_10
; %bb.5:
	s_clause 0x1
	s_load_b64 s[4:5], s[0:1], 0x18
	s_load_b64 s[2:3], s[0:1], 0x0
	v_lshrrev_b32_e32 v1, 2, v0
	s_delay_alu instid0(VALU_DEP_1)
	v_lshl_or_b32 v10, ttmp9, 5, v1
	s_wait_kmcnt 0x0
	s_cmp_lg_u64 s[4:5], 0
	s_cbranch_scc0 .LBB25_11
; %bb.6:
	s_load_b32 s6, s[0:1], 0x10
	s_mov_b32 s7, 0
                                        ; implicit-def: $vgpr1
	s_wait_kmcnt 0x0
	v_cmp_gt_i32_e32 vcc_lo, s6, v10
	s_mov_b32 s6, 0
	s_and_saveexec_b32 s8, vcc_lo
	s_delay_alu instid0(SALU_CYCLE_1)
	s_xor_b32 s8, exec_lo, s8
	s_cbranch_execz .LBB25_8
; %bb.7:
	v_ashrrev_i32_e32 v11, 31, v10
	s_mov_b32 s6, exec_lo
	s_delay_alu instid0(VALU_DEP_1) | instskip(NEXT) | instid1(VALU_DEP_1)
	v_lshlrev_b64_e32 v[4:5], 2, v[10:11]
	v_add_co_u32 v4, vcc_lo, s4, v4
	s_delay_alu instid0(VALU_DEP_1)
	v_add_co_ci_u32_e64 v5, null, s5, v5, vcc_lo
	global_load_b32 v1, v[4:5], off
	s_wait_loadcnt 0x0
	v_subrev_nc_u32_e32 v1, s12, v1
.LBB25_8:
	s_or_b32 exec_lo, exec_lo, s8
	s_delay_alu instid0(SALU_CYCLE_1)
	s_and_b32 vcc_lo, exec_lo, s7
	s_wait_alu 0xfffe
	s_cbranch_vccz .LBB25_12
.LBB25_9:
	v_cmp_gt_i32_e32 vcc_lo, s2, v10
	s_and_not1_b32 s2, s6, exec_lo
	s_and_b32 s4, vcc_lo, exec_lo
	s_wait_alu 0xfffe
	s_or_b32 s6, s2, s4
	s_wait_alu 0xfffe
	s_and_b32 exec_lo, exec_lo, s6
	s_cbranch_execnz .LBB25_13
.LBB25_10:
	s_nop 0
	s_sendmsg sendmsg(MSG_DEALLOC_VGPRS)
	s_endpgm
.LBB25_11:
	s_mov_b32 s6, 0
                                        ; implicit-def: $vgpr1
	s_cbranch_execnz .LBB25_9
.LBB25_12:
	v_mov_b32_e32 v10, v1
	s_and_b32 exec_lo, exec_lo, s6
	s_cbranch_execz .LBB25_10
.LBB25_13:
	s_load_b256 s[4:11], s[0:1], 0x20
	s_delay_alu instid0(VALU_DEP_1) | instskip(SKIP_1) | instid1(VALU_DEP_2)
	v_ashrrev_i32_e32 v11, 31, v10
	v_and_b32_e32 v31, 3, v0
	v_lshlrev_b64_e32 v[4:5], 3, v[10:11]
	s_wait_kmcnt 0x0
	s_delay_alu instid0(VALU_DEP_1) | instskip(SKIP_1) | instid1(VALU_DEP_2)
	v_add_co_u32 v6, vcc_lo, s4, v4
	s_wait_alu 0xfffd
	v_add_co_ci_u32_e64 v7, null, s5, v5, vcc_lo
	v_add_co_u32 v1, vcc_lo, s6, v4
	s_wait_alu 0xfffd
	v_add_co_ci_u32_e64 v4, null, s7, v5, vcc_lo
	v_add_co_u32 v11, vcc_lo, v6, 8
	global_load_b64 v[19:20], v[6:7], off
	s_wait_alu 0xfffd
	v_add_co_ci_u32_e64 v5, null, 0, v7, vcc_lo
	s_cmp_eq_u64 s[6:7], 0
	s_load_b64 s[4:5], s[0:1], 0x40
	s_cselect_b32 vcc_lo, -1, 0
	s_cmp_eq_u32 s3, 1
	s_wait_alu 0xfffe
	v_dual_cndmask_b32 v5, v4, v5 :: v_dual_cndmask_b32 v4, v1, v11
	global_load_b64 v[4:5], v[4:5], off
	s_wait_loadcnt 0x1
	v_sub_co_u32 v0, vcc_lo, v19, s12
	s_wait_alu 0xfffd
	v_subrev_co_ci_u32_e64 v1, null, 0, v20, vcc_lo
	s_delay_alu instid0(VALU_DEP_2) | instskip(SKIP_1) | instid1(VALU_DEP_2)
	v_add_co_u32 v0, vcc_lo, v0, v31
	s_wait_alu 0xfffd
	v_add_co_ci_u32_e64 v1, null, 0, v1, vcc_lo
	s_delay_alu instid0(VALU_DEP_1) | instskip(SKIP_4) | instid1(VALU_DEP_3)
	v_lshlrev_b64_e32 v[6:7], 7, v[0:1]
	s_wait_loadcnt 0x0
	v_sub_co_u32 v4, vcc_lo, v4, s12
	s_wait_alu 0xfffd
	v_subrev_co_ci_u32_e64 v5, null, 0, v5, vcc_lo
	v_add_co_u32 v6, vcc_lo, s10, v6
	s_delay_alu instid0(VALU_DEP_2)
	v_cmp_lt_i64_e64 s2, v[0:1], v[4:5]
	s_wait_alu 0xfffd
	v_add_co_ci_u32_e64 v7, null, s11, v7, vcc_lo
	s_cbranch_scc1 .LBB25_25
; %bb.14:
	v_mov_b32_e32 v11, 0
	v_dual_mov_b32 v17, 0 :: v_dual_mov_b32 v12, 0
	v_dual_mov_b32 v13, 0 :: v_dual_mov_b32 v18, 0
	;; [unrolled: 1-line block ×3, first 2 shown]
	v_mov_b32_e32 v16, 0
	s_and_saveexec_b32 s6, s2
	s_cbranch_execz .LBB25_24
; %bb.15:
	v_or_b32_e32 v11, 4, v31
	v_not_b32_e32 v14, v19
	v_not_b32_e32 v13, v20
	v_dual_mov_b32 v24, v1 :: v_dual_mov_b32 v23, v0
	s_delay_alu instid0(VALU_DEP_4) | instskip(SKIP_3) | instid1(VALU_DEP_3)
	v_sub_co_u32 v11, s3, v11, s12
	s_wait_alu 0xf1ff
	v_sub_co_ci_u32_e64 v12, null, 0, 0, s3
	v_sub_co_u32 v15, s3, s12, v31
	v_add_co_u32 v11, vcc_lo, v11, v19
	s_wait_alu 0xfffd
	s_delay_alu instid0(VALU_DEP_3) | instskip(SKIP_3) | instid1(VALU_DEP_3)
	v_add_co_ci_u32_e64 v12, null, v12, v20, vcc_lo
	s_wait_alu 0xf1ff
	v_sub_co_ci_u32_e64 v16, null, 0, 0, s3
	v_mov_b32_e32 v17, 0
	v_cmp_gt_i64_e32 vcc_lo, v[11:12], v[4:5]
	v_mov_b32_e32 v18, 0
	s_wait_alu 0xfffd
	v_dual_cndmask_b32 v12, v5, v12 :: v_dual_cndmask_b32 v11, v4, v11
	v_add_co_u32 v14, vcc_lo, v15, v14
	s_wait_alu 0xfffd
	v_add_co_ci_u32_e64 v13, null, v16, v13, vcc_lo
	v_mov_b32_e32 v15, 0
	s_delay_alu instid0(VALU_DEP_3) | instskip(SKIP_3) | instid1(VALU_DEP_3)
	v_add_co_u32 v25, vcc_lo, v14, v11
	v_mov_b32_e32 v22, 0
	s_wait_alu 0xfffd
	v_add_co_ci_u32_e64 v26, null, v13, v12, vcc_lo
	v_and_b32_e32 v21, 12, v25
	v_dual_mov_b32 v13, 0 :: v_dual_mov_b32 v16, 0
	v_dual_mov_b32 v14, 0 :: v_dual_mov_b32 v11, 0
	s_delay_alu instid0(VALU_DEP_3)
	v_cmp_ne_u64_e32 vcc_lo, 12, v[21:22]
	v_mov_b32_e32 v12, 0
	v_dual_mov_b32 v22, v7 :: v_dual_mov_b32 v21, v6
	s_and_saveexec_b32 s7, vcc_lo
	s_cbranch_execz .LBB25_19
; %bb.16:
	v_lshrrev_b32_e32 v11, 2, v25
	v_lshlrev_b64_e32 v[15:16], 2, v[0:1]
	v_mov_b32_e32 v13, 0
	v_mov_b32_e32 v17, 0
	s_delay_alu instid0(VALU_DEP_4) | instskip(SKIP_3) | instid1(VALU_DEP_4)
	v_dual_mov_b32 v18, 0 :: v_dual_add_nc_u32 v23, 1, v11
	v_dual_mov_b32 v11, 0 :: v_dual_mov_b32 v22, v7
	v_mov_b32_e32 v12, 0
	v_add_co_u32 v27, vcc_lo, s8, v15
	v_and_b32_e32 v23, 3, v23
	s_wait_alu 0xfffd
	v_add_co_ci_u32_e64 v28, null, s9, v16, vcc_lo
	v_mov_b32_e32 v15, 0
	v_dual_mov_b32 v21, v6 :: v_dual_mov_b32 v14, 0
	v_sub_co_u32 v29, s3, 0, v23
	v_mov_b32_e32 v24, v1
	s_wait_alu 0xf1ff
	v_sub_co_ci_u32_e64 v30, null, 0, 0, s3
	v_dual_mov_b32 v16, 0 :: v_dual_mov_b32 v23, v0
	s_mov_b32 s10, 0
.LBB25_17:                              ; =>This Inner Loop Header: Depth=1
	global_load_b32 v60, v[27:28], off
	s_clause 0x6
	global_load_b128 v[32:35], v[21:22], off offset:48
	global_load_b128 v[36:39], v[21:22], off offset:32
	;; [unrolled: 1-line block ×3, first 2 shown]
	global_load_b128 v[44:47], v[21:22], off
	global_load_b128 v[48:51], v[21:22], off offset:112
	global_load_b128 v[52:55], v[21:22], off offset:96
	;; [unrolled: 1-line block ×3, first 2 shown]
	v_add_co_u32 v27, s3, v27, 16
	s_wait_alu 0xf1ff
	v_add_co_ci_u32_e64 v28, null, 0, v28, s3
	s_wait_loadcnt 0x7
	v_subrev_nc_u32_e32 v60, s12, v60
	s_delay_alu instid0(VALU_DEP_1) | instskip(NEXT) | instid1(VALU_DEP_1)
	v_lshlrev_b32_e32 v60, 2, v60
	v_ashrrev_i32_e32 v61, 31, v60
	s_delay_alu instid0(VALU_DEP_1) | instskip(SKIP_1) | instid1(VALU_DEP_1)
	v_lshlrev_b64_e32 v[60:61], 3, v[60:61]
	s_wait_kmcnt 0x0
	v_add_co_u32 v68, vcc_lo, s4, v60
	s_wait_alu 0xfffd
	s_delay_alu instid0(VALU_DEP_2)
	v_add_co_ci_u32_e64 v69, null, s5, v61, vcc_lo
	global_load_b128 v[60:63], v[21:22], off offset:64
	s_clause 0x1
	global_load_b128 v[64:67], v[68:69], off
	global_load_b128 v[68:71], v[68:69], off offset:16
	v_add_co_u32 v21, vcc_lo, 0x200, v21
	s_wait_alu 0xfffd
	v_add_co_ci_u32_e64 v22, null, 0, v22, vcc_lo
	v_add_co_u32 v29, vcc_lo, v29, 1
	s_wait_alu 0xfffd
	v_add_co_ci_u32_e64 v30, null, 0, v30, vcc_lo
	;; [unrolled: 3-line block ×3, first 2 shown]
	s_delay_alu instid0(VALU_DEP_3)
	v_cmp_eq_u64_e32 vcc_lo, 0, v[29:30]
	s_wait_alu 0xfffe
	s_or_b32 s10, vcc_lo, s10
	s_wait_loadcnt 0x1
	v_fma_f64 v[15:16], v[44:45], v[64:65], v[15:16]
	v_fma_f64 v[17:18], v[36:37], v[64:65], v[17:18]
	;; [unrolled: 1-line block ×4, first 2 shown]
	s_delay_alu instid0(VALU_DEP_4) | instskip(NEXT) | instid1(VALU_DEP_4)
	v_fma_f64 v[15:16], v[46:47], v[66:67], v[15:16]
	v_fma_f64 v[17:18], v[38:39], v[66:67], v[17:18]
	s_delay_alu instid0(VALU_DEP_4) | instskip(NEXT) | instid1(VALU_DEP_4)
	v_fma_f64 v[13:14], v[62:63], v[66:67], v[13:14]
	v_fma_f64 v[11:12], v[54:55], v[66:67], v[11:12]
	s_wait_loadcnt 0x0
	s_delay_alu instid0(VALU_DEP_4) | instskip(NEXT) | instid1(VALU_DEP_4)
	v_fma_f64 v[15:16], v[40:41], v[68:69], v[15:16]
	v_fma_f64 v[17:18], v[32:33], v[68:69], v[17:18]
	s_delay_alu instid0(VALU_DEP_4) | instskip(NEXT) | instid1(VALU_DEP_4)
	v_fma_f64 v[13:14], v[56:57], v[68:69], v[13:14]
	v_fma_f64 v[11:12], v[48:49], v[68:69], v[11:12]
	;; [unrolled: 3-line block ×4, first 2 shown]
	s_wait_alu 0xfffe
	s_and_not1_b32 exec_lo, exec_lo, s10
	s_cbranch_execnz .LBB25_17
; %bb.18:
	s_or_b32 exec_lo, exec_lo, s10
.LBB25_19:
	s_wait_alu 0xfffe
	s_or_b32 exec_lo, exec_lo, s7
	s_delay_alu instid0(SALU_CYCLE_1)
	s_mov_b32 s7, exec_lo
	v_cmpx_lt_u64_e32 11, v[25:26]
	s_cbranch_execz .LBB25_23
; %bb.20:
	v_lshlrev_b64_e32 v[25:26], 2, v[23:24]
	s_mov_b32 s10, 0
	s_delay_alu instid0(VALU_DEP_1) | instskip(SKIP_1) | instid1(VALU_DEP_2)
	v_add_co_u32 v25, vcc_lo, s8, v25
	s_wait_alu 0xfffd
	v_add_co_ci_u32_e64 v26, null, s9, v26, vcc_lo
	s_delay_alu instid0(VALU_DEP_2) | instskip(SKIP_1) | instid1(VALU_DEP_2)
	v_add_co_u32 v25, vcc_lo, v25, 32
	s_wait_alu 0xfffd
	v_add_co_ci_u32_e64 v26, null, 0, v26, vcc_lo
.LBB25_21:                              ; =>This Inner Loop Header: Depth=1
	s_clause 0x2
	global_load_b32 v56, v[25:26], off offset:-32
	global_load_b32 v96, v[25:26], off offset:-16
	global_load_b32 v136, v[25:26], off
	s_clause 0x6
	global_load_b128 v[27:30], v[21:22], off offset:48
	global_load_b128 v[32:35], v[21:22], off offset:32
	;; [unrolled: 1-line block ×3, first 2 shown]
	global_load_b128 v[40:43], v[21:22], off
	global_load_b128 v[44:47], v[21:22], off offset:112
	global_load_b128 v[48:51], v[21:22], off offset:96
	;; [unrolled: 1-line block ×3, first 2 shown]
	global_load_b32 v146, v[25:26], off offset:16
	v_add_co_u32 v25, s3, v25, 64
	s_wait_alu 0xf1ff
	v_add_co_ci_u32_e64 v26, null, 0, v26, s3
	s_wait_loadcnt 0xa
	v_subrev_nc_u32_e32 v56, s12, v56
	s_wait_loadcnt 0x9
	v_subrev_nc_u32_e32 v96, s12, v96
	;; [unrolled: 2-line block ×3, first 2 shown]
	v_lshlrev_b32_e32 v56, 2, v56
	s_delay_alu instid0(VALU_DEP_3) | instskip(NEXT) | instid1(VALU_DEP_3)
	v_lshlrev_b32_e32 v96, 2, v96
	v_lshlrev_b32_e32 v136, 2, v136
	s_delay_alu instid0(VALU_DEP_3) | instskip(NEXT) | instid1(VALU_DEP_3)
	v_ashrrev_i32_e32 v57, 31, v56
	v_ashrrev_i32_e32 v97, 31, v96
	s_delay_alu instid0(VALU_DEP_3) | instskip(NEXT) | instid1(VALU_DEP_3)
	v_ashrrev_i32_e32 v137, 31, v136
	v_lshlrev_b64_e32 v[56:57], 3, v[56:57]
	s_delay_alu instid0(VALU_DEP_3) | instskip(NEXT) | instid1(VALU_DEP_3)
	v_lshlrev_b64_e32 v[96:97], 3, v[96:97]
	v_lshlrev_b64_e32 v[136:137], 3, v[136:137]
	s_wait_kmcnt 0x0
	s_delay_alu instid0(VALU_DEP_3)
	v_add_co_u32 v64, vcc_lo, s4, v56
	s_wait_alu 0xfffd
	v_add_co_ci_u32_e64 v65, null, s5, v57, vcc_lo
	v_add_co_u32 v104, vcc_lo, s4, v96
	global_load_b128 v[56:59], v[21:22], off offset:64
	s_clause 0x1
	global_load_b128 v[60:63], v[64:65], off
	global_load_b128 v[64:67], v[64:65], off offset:16
	s_clause 0x6
	global_load_b128 v[68:71], v[21:22], off offset:560
	global_load_b128 v[72:75], v[21:22], off offset:544
	global_load_b128 v[76:79], v[21:22], off offset:528
	global_load_b128 v[80:83], v[21:22], off offset:512
	global_load_b128 v[84:87], v[21:22], off offset:624
	global_load_b128 v[88:91], v[21:22], off offset:608
	global_load_b128 v[92:95], v[21:22], off offset:592
	s_wait_alu 0xfffd
	v_add_co_ci_u32_e64 v105, null, s5, v97, vcc_lo
	global_load_b128 v[96:99], v[21:22], off offset:576
	s_clause 0x1
	global_load_b128 v[100:103], v[104:105], off
	global_load_b128 v[104:107], v[104:105], off offset:16
	s_clause 0x6
	global_load_b128 v[108:111], v[21:22], off offset:1072
	global_load_b128 v[112:115], v[21:22], off offset:1056
	;; [unrolled: 1-line block ×7, first 2 shown]
	v_add_co_u32 v144, vcc_lo, s4, v136
	s_wait_alu 0xfffd
	v_add_co_ci_u32_e64 v145, null, s5, v137, vcc_lo
	global_load_b128 v[136:139], v[21:22], off offset:1088
	global_load_b128 v[140:143], v[144:145], off
	s_wait_loadcnt 0x14
	v_fma_f64 v[15:16], v[40:41], v[60:61], v[15:16]
	v_fma_f64 v[17:18], v[32:33], v[60:61], v[17:18]
	;; [unrolled: 1-line block ×4, first 2 shown]
	v_subrev_nc_u32_e32 v60, s12, v146
	s_delay_alu instid0(VALU_DEP_1) | instskip(NEXT) | instid1(VALU_DEP_1)
	v_lshlrev_b32_e32 v60, 2, v60
	v_ashrrev_i32_e32 v61, 31, v60
	v_fma_f64 v[15:16], v[42:43], v[62:63], v[15:16]
	v_fma_f64 v[17:18], v[34:35], v[62:63], v[17:18]
	;; [unrolled: 1-line block ×4, first 2 shown]
	global_load_b128 v[11:14], v[144:145], off offset:16
	s_wait_loadcnt 0x14
	v_fma_f64 v[36:37], v[36:37], v[64:65], v[15:16]
	v_fma_f64 v[27:28], v[27:28], v[64:65], v[17:18]
	;; [unrolled: 1-line block ×4, first 2 shown]
	s_clause 0x4
	global_load_b128 v[15:18], v[21:22], off offset:1584
	global_load_b128 v[32:35], v[21:22], off offset:1568
	global_load_b128 v[40:43], v[21:22], off offset:1552
	global_load_b128 v[48:51], v[21:22], off offset:1536
	global_load_b128 v[56:59], v[21:22], off offset:1632
	v_fma_f64 v[62:63], v[38:39], v[66:67], v[36:37]
	v_fma_f64 v[64:65], v[29:30], v[66:67], v[27:28]
	;; [unrolled: 1-line block ×4, first 2 shown]
	v_lshlrev_b64_e32 v[27:28], 3, v[60:61]
	s_delay_alu instid0(VALU_DEP_1) | instskip(SKIP_1) | instid1(VALU_DEP_2)
	v_add_co_u32 v60, vcc_lo, s4, v27
	s_wait_alu 0xfffd
	v_add_co_ci_u32_e64 v61, null, s5, v28, vcc_lo
	global_load_b128 v[27:30], v[21:22], off offset:1600
	global_load_b128 v[36:39], v[60:61], off
	v_add_co_u32 v23, vcc_lo, v23, 16
	s_wait_alu 0xfffd
	v_add_co_ci_u32_e64 v24, null, 0, v24, vcc_lo
	s_wait_loadcnt 0x12
	v_fma_f64 v[46:47], v[80:81], v[100:101], v[62:63]
	v_fma_f64 v[54:55], v[72:73], v[100:101], v[64:65]
	v_fma_f64 v[52:53], v[96:97], v[100:101], v[52:53]
	v_fma_f64 v[44:45], v[88:89], v[100:101], v[44:45]
	s_delay_alu instid0(VALU_DEP_4) | instskip(NEXT) | instid1(VALU_DEP_4)
	v_fma_f64 v[64:65], v[82:83], v[102:103], v[46:47]
	v_fma_f64 v[66:67], v[74:75], v[102:103], v[54:55]
	s_delay_alu instid0(VALU_DEP_4) | instskip(NEXT) | instid1(VALU_DEP_4)
	v_fma_f64 v[72:73], v[98:99], v[102:103], v[52:53]
	v_fma_f64 v[74:75], v[90:91], v[102:103], v[44:45]
	s_clause 0x1
	global_load_b128 v[44:47], v[21:22], off offset:1648
	global_load_b128 v[52:55], v[21:22], off offset:1616
	;; [unrolled: 1-line block ×3, first 2 shown]
	v_add_co_u32 v21, vcc_lo, 0x800, v21
	s_wait_alu 0xfffd
	v_add_co_ci_u32_e64 v22, null, 0, v22, vcc_lo
	v_cmp_ge_i64_e32 vcc_lo, v[23:24], v[4:5]
	s_wait_alu 0xfffe
	s_or_b32 s10, vcc_lo, s10
	s_wait_loadcnt 0x14
	v_fma_f64 v[64:65], v[76:77], v[104:105], v[64:65]
	v_fma_f64 v[66:67], v[68:69], v[104:105], v[66:67]
	;; [unrolled: 1-line block ×4, first 2 shown]
	s_delay_alu instid0(VALU_DEP_4) | instskip(NEXT) | instid1(VALU_DEP_4)
	v_fma_f64 v[64:65], v[78:79], v[106:107], v[64:65]
	v_fma_f64 v[66:67], v[70:71], v[106:107], v[66:67]
	s_delay_alu instid0(VALU_DEP_4) | instskip(NEXT) | instid1(VALU_DEP_4)
	v_fma_f64 v[68:69], v[94:95], v[106:107], v[68:69]
	v_fma_f64 v[70:71], v[86:87], v[106:107], v[72:73]
	s_wait_loadcnt 0xb
	s_delay_alu instid0(VALU_DEP_4) | instskip(NEXT) | instid1(VALU_DEP_4)
	v_fma_f64 v[64:65], v[120:121], v[140:141], v[64:65]
	v_fma_f64 v[66:67], v[112:113], v[140:141], v[66:67]
	s_delay_alu instid0(VALU_DEP_4) | instskip(NEXT) | instid1(VALU_DEP_4)
	v_fma_f64 v[68:69], v[136:137], v[140:141], v[68:69]
	v_fma_f64 v[70:71], v[128:129], v[140:141], v[70:71]
	s_delay_alu instid0(VALU_DEP_4) | instskip(NEXT) | instid1(VALU_DEP_4)
	v_fma_f64 v[64:65], v[122:123], v[142:143], v[64:65]
	v_fma_f64 v[66:67], v[114:115], v[142:143], v[66:67]
	s_delay_alu instid0(VALU_DEP_4) | instskip(NEXT) | instid1(VALU_DEP_4)
	v_fma_f64 v[68:69], v[138:139], v[142:143], v[68:69]
	v_fma_f64 v[70:71], v[130:131], v[142:143], v[70:71]
	s_wait_loadcnt 0xa
	s_delay_alu instid0(VALU_DEP_4) | instskip(NEXT) | instid1(VALU_DEP_4)
	v_fma_f64 v[64:65], v[116:117], v[11:12], v[64:65]
	v_fma_f64 v[66:67], v[108:109], v[11:12], v[66:67]
	s_delay_alu instid0(VALU_DEP_4) | instskip(NEXT) | instid1(VALU_DEP_4)
	v_fma_f64 v[68:69], v[132:133], v[11:12], v[68:69]
	v_fma_f64 v[11:12], v[124:125], v[11:12], v[70:71]
	;; [unrolled: 13-line block ×4, first 2 shown]
	s_delay_alu instid0(VALU_DEP_4) | instskip(NEXT) | instid1(VALU_DEP_4)
	v_fma_f64 v[15:16], v[42:43], v[62:63], v[13:14]
	v_fma_f64 v[17:18], v[17:18], v[62:63], v[29:30]
	s_delay_alu instid0(VALU_DEP_4) | instskip(NEXT) | instid1(VALU_DEP_4)
	v_fma_f64 v[13:14], v[54:55], v[62:63], v[27:28]
	v_fma_f64 v[11:12], v[46:47], v[62:63], v[11:12]
	s_wait_alu 0xfffe
	s_and_not1_b32 exec_lo, exec_lo, s10
	s_cbranch_execnz .LBB25_21
; %bb.22:
	s_or_b32 exec_lo, exec_lo, s10
.LBB25_23:
	s_wait_alu 0xfffe
	s_or_b32 exec_lo, exec_lo, s7
.LBB25_24:
	s_wait_alu 0xfffe
	s_or_b32 exec_lo, exec_lo, s6
	s_cbranch_execz .LBB25_26
	s_branch .LBB25_37
.LBB25_25:
                                        ; implicit-def: $vgpr11_vgpr12
                                        ; implicit-def: $vgpr13_vgpr14
                                        ; implicit-def: $vgpr17_vgpr18
                                        ; implicit-def: $vgpr15_vgpr16
.LBB25_26:
	v_mov_b32_e32 v11, 0
	v_dual_mov_b32 v17, 0 :: v_dual_mov_b32 v12, 0
	v_dual_mov_b32 v13, 0 :: v_dual_mov_b32 v18, 0
	;; [unrolled: 1-line block ×3, first 2 shown]
	v_mov_b32_e32 v16, 0
	s_and_saveexec_b32 s3, s2
	s_cbranch_execz .LBB25_36
; %bb.27:
	v_or_b32_e32 v11, 4, v31
	v_not_b32_e32 v14, v19
	v_not_b32_e32 v13, v20
	s_delay_alu instid0(VALU_DEP_3) | instskip(SKIP_3) | instid1(VALU_DEP_3)
	v_sub_co_u32 v11, s2, v11, s12
	s_wait_alu 0xf1ff
	v_sub_co_ci_u32_e64 v12, null, 0, 0, s2
	v_sub_co_u32 v15, s2, s12, v31
	v_add_co_u32 v11, vcc_lo, v11, v19
	s_wait_alu 0xfffd
	s_delay_alu instid0(VALU_DEP_3) | instskip(SKIP_2) | instid1(VALU_DEP_2)
	v_add_co_ci_u32_e64 v12, null, v12, v20, vcc_lo
	s_wait_alu 0xf1ff
	v_sub_co_ci_u32_e64 v16, null, 0, 0, s2
	v_cmp_gt_i64_e32 vcc_lo, v[11:12], v[4:5]
	s_wait_alu 0xfffd
	v_cndmask_b32_e32 v17, v5, v12, vcc_lo
	v_cndmask_b32_e32 v11, v4, v11, vcc_lo
	v_add_co_u32 v12, vcc_lo, v15, v14
	s_wait_alu 0xfffd
	v_add_co_ci_u32_e64 v13, null, v16, v13, vcc_lo
	v_mov_b32_e32 v15, 0
	v_mov_b32_e32 v16, 0
	v_add_co_u32 v19, vcc_lo, v12, v11
	v_mov_b32_e32 v12, 0
	s_wait_alu 0xfffd
	v_add_co_ci_u32_e64 v20, null, v13, v17, vcc_lo
	s_delay_alu instid0(VALU_DEP_3) | instskip(SKIP_3) | instid1(VALU_DEP_4)
	v_and_b32_e32 v11, 12, v19
	v_mov_b32_e32 v17, 0
	v_dual_mov_b32 v18, 0 :: v_dual_mov_b32 v13, 0
	v_mov_b32_e32 v14, 0
	v_cmp_ne_u64_e32 vcc_lo, 12, v[11:12]
	v_mov_b32_e32 v11, 0
	v_mov_b32_e32 v12, 0
	s_and_saveexec_b32 s6, vcc_lo
	s_cbranch_execz .LBB25_31
; %bb.28:
	v_lshrrev_b32_e32 v11, 2, v19
	v_lshlrev_b64_e32 v[21:22], 2, v[0:1]
	v_mov_b32_e32 v13, 0
	v_mov_b32_e32 v17, 0
	;; [unrolled: 1-line block ×3, first 2 shown]
	v_add_nc_u32_e32 v23, 1, v11
	v_dual_mov_b32 v11, 0 :: v_dual_mov_b32 v14, 0
	v_mov_b32_e32 v12, 0
	v_add_co_u32 v21, vcc_lo, s8, v21
	s_delay_alu instid0(VALU_DEP_4) | instskip(SKIP_3) | instid1(VALU_DEP_3)
	v_dual_mov_b32 v18, 0 :: v_dual_and_b32 v23, 3, v23
	v_mov_b32_e32 v16, 0
	s_wait_alu 0xfffd
	v_add_co_ci_u32_e64 v22, null, s9, v22, vcc_lo
	v_sub_co_u32 v23, s2, 0, v23
	s_wait_alu 0xf1ff
	v_sub_co_ci_u32_e64 v24, null, 0, 0, s2
	s_mov_b32 s7, 0
.LBB25_29:                              ; =>This Inner Loop Header: Depth=1
	global_load_b32 v29, v[21:22], off
	global_load_b128 v[25:28], v[6:7], off offset:16
	v_add_co_u32 v21, s2, v21, 16
	s_wait_alu 0xf1ff
	v_add_co_ci_u32_e64 v22, null, 0, v22, s2
	s_wait_loadcnt 0x1
	v_subrev_nc_u32_e32 v29, s12, v29
	s_delay_alu instid0(VALU_DEP_1) | instskip(NEXT) | instid1(VALU_DEP_1)
	v_lshlrev_b32_e32 v29, 2, v29
	v_ashrrev_i32_e32 v30, 31, v29
	s_delay_alu instid0(VALU_DEP_1) | instskip(SKIP_1) | instid1(VALU_DEP_1)
	v_lshlrev_b64_e32 v[29:30], 3, v[29:30]
	s_wait_kmcnt 0x0
	v_add_co_u32 v29, vcc_lo, s4, v29
	s_wait_alu 0xfffd
	s_delay_alu instid0(VALU_DEP_2)
	v_add_co_ci_u32_e64 v30, null, s5, v30, vcc_lo
	global_load_b128 v[32:35], v[6:7], off
	s_clause 0x1
	global_load_b128 v[36:39], v[29:30], off
	global_load_b128 v[40:43], v[29:30], off offset:16
	s_clause 0x5
	global_load_b128 v[44:47], v[6:7], off offset:32
	global_load_b128 v[48:51], v[6:7], off offset:48
	;; [unrolled: 1-line block ×6, first 2 shown]
	v_add_co_u32 v6, vcc_lo, 0x200, v6
	s_wait_alu 0xfffd
	v_add_co_ci_u32_e64 v7, null, 0, v7, vcc_lo
	v_add_co_u32 v23, vcc_lo, v23, 1
	s_wait_alu 0xfffd
	v_add_co_ci_u32_e64 v24, null, 0, v24, vcc_lo
	;; [unrolled: 3-line block ×3, first 2 shown]
	s_delay_alu instid0(VALU_DEP_3)
	v_cmp_eq_u64_e32 vcc_lo, 0, v[23:24]
	s_wait_alu 0xfffe
	s_or_b32 s7, vcc_lo, s7
	s_wait_loadcnt 0x7
	v_fma_f64 v[15:16], v[32:33], v[36:37], v[15:16]
	v_fma_f64 v[17:18], v[34:35], v[36:37], v[17:18]
	v_fma_f64 v[13:14], v[25:26], v[36:37], v[13:14]
	v_fma_f64 v[11:12], v[27:28], v[36:37], v[11:12]
	s_wait_loadcnt 0x5
	s_delay_alu instid0(VALU_DEP_4) | instskip(NEXT) | instid1(VALU_DEP_4)
	v_fma_f64 v[15:16], v[44:45], v[38:39], v[15:16]
	v_fma_f64 v[17:18], v[46:47], v[38:39], v[17:18]
	s_wait_loadcnt 0x4
	s_delay_alu instid0(VALU_DEP_4) | instskip(NEXT) | instid1(VALU_DEP_4)
	v_fma_f64 v[13:14], v[48:49], v[38:39], v[13:14]
	v_fma_f64 v[11:12], v[50:51], v[38:39], v[11:12]
	;; [unrolled: 4-line block ×6, first 2 shown]
	s_wait_alu 0xfffe
	s_and_not1_b32 exec_lo, exec_lo, s7
	s_cbranch_execnz .LBB25_29
; %bb.30:
	s_or_b32 exec_lo, exec_lo, s7
.LBB25_31:
	s_wait_alu 0xfffe
	s_or_b32 exec_lo, exec_lo, s6
	s_delay_alu instid0(SALU_CYCLE_1)
	s_mov_b32 s6, exec_lo
	v_cmpx_lt_u64_e32 11, v[19:20]
	s_cbranch_execz .LBB25_35
; %bb.32:
	v_lshlrev_b64_e32 v[19:20], 2, v[0:1]
	s_mov_b32 s7, 0
	s_delay_alu instid0(VALU_DEP_1) | instskip(SKIP_1) | instid1(VALU_DEP_2)
	v_add_co_u32 v19, vcc_lo, s8, v19
	s_wait_alu 0xfffd
	v_add_co_ci_u32_e64 v20, null, s9, v20, vcc_lo
	s_delay_alu instid0(VALU_DEP_2) | instskip(SKIP_1) | instid1(VALU_DEP_2)
	v_add_co_u32 v19, vcc_lo, v19, 32
	s_wait_alu 0xfffd
	v_add_co_ci_u32_e64 v20, null, 0, v20, vcc_lo
.LBB25_33:                              ; =>This Inner Loop Header: Depth=1
	s_clause 0x2
	global_load_b32 v25, v[19:20], off offset:-32
	global_load_b32 v68, v[19:20], off offset:-16
	global_load_b32 v108, v[19:20], off
	global_load_b128 v[21:24], v[6:7], off offset:16
	global_load_b32 v118, v[19:20], off offset:16
	v_add_co_u32 v19, s2, v19, 64
	s_wait_alu 0xf1ff
	v_add_co_ci_u32_e64 v20, null, 0, v20, s2
	s_wait_loadcnt 0x4
	v_subrev_nc_u32_e32 v25, s12, v25
	s_delay_alu instid0(VALU_DEP_1) | instskip(NEXT) | instid1(VALU_DEP_1)
	v_lshlrev_b32_e32 v25, 2, v25
	v_ashrrev_i32_e32 v26, 31, v25
	s_delay_alu instid0(VALU_DEP_1) | instskip(SKIP_1) | instid1(VALU_DEP_1)
	v_lshlrev_b64_e32 v[25:26], 3, v[25:26]
	s_wait_kmcnt 0x0
	v_add_co_u32 v29, vcc_lo, s4, v25
	s_wait_alu 0xfffd
	s_delay_alu instid0(VALU_DEP_2)
	v_add_co_ci_u32_e64 v30, null, s5, v26, vcc_lo
	global_load_b128 v[25:28], v[6:7], off
	global_load_b128 v[32:35], v[29:30], off
	s_clause 0x3
	global_load_b128 v[36:39], v[6:7], off offset:32
	global_load_b128 v[40:43], v[6:7], off offset:48
	;; [unrolled: 1-line block ×5, first 2 shown]
	s_clause 0x2
	global_load_b128 v[56:59], v[6:7], off offset:96
	global_load_b128 v[60:63], v[6:7], off offset:112
	;; [unrolled: 1-line block ×3, first 2 shown]
	s_wait_loadcnt 0xd
	v_subrev_nc_u32_e32 v29, s12, v68
	s_delay_alu instid0(VALU_DEP_1) | instskip(NEXT) | instid1(VALU_DEP_1)
	v_lshlrev_b32_e32 v29, 2, v29
	v_ashrrev_i32_e32 v30, 31, v29
	s_delay_alu instid0(VALU_DEP_1) | instskip(NEXT) | instid1(VALU_DEP_1)
	v_lshlrev_b64_e32 v[29:30], 3, v[29:30]
	v_add_co_u32 v29, vcc_lo, s4, v29
	s_wait_alu 0xfffd
	s_delay_alu instid0(VALU_DEP_2)
	v_add_co_ci_u32_e64 v30, null, s5, v30, vcc_lo
	global_load_b128 v[68:71], v[6:7], off offset:512
	global_load_b128 v[72:75], v[29:30], off
	s_clause 0x3
	global_load_b128 v[76:79], v[6:7], off offset:544
	global_load_b128 v[80:83], v[6:7], off offset:560
	;; [unrolled: 1-line block ×5, first 2 shown]
	s_clause 0x2
	global_load_b128 v[96:99], v[6:7], off offset:608
	global_load_b128 v[100:103], v[6:7], off offset:624
	;; [unrolled: 1-line block ×3, first 2 shown]
	s_wait_loadcnt 0x16
	v_subrev_nc_u32_e32 v29, s12, v108
	s_delay_alu instid0(VALU_DEP_1) | instskip(NEXT) | instid1(VALU_DEP_1)
	v_lshlrev_b32_e32 v29, 2, v29
	v_ashrrev_i32_e32 v30, 31, v29
	s_delay_alu instid0(VALU_DEP_1) | instskip(NEXT) | instid1(VALU_DEP_1)
	v_lshlrev_b64_e32 v[29:30], 3, v[29:30]
	v_add_co_u32 v29, vcc_lo, s4, v29
	s_wait_alu 0xfffd
	s_delay_alu instid0(VALU_DEP_2)
	v_add_co_ci_u32_e64 v30, null, s5, v30, vcc_lo
	global_load_b128 v[108:111], v[6:7], off offset:1024
	global_load_b128 v[112:115], v[29:30], off
	s_wait_loadcnt 0x14
	v_fma_f64 v[25:26], v[25:26], v[32:33], v[15:16]
	v_fma_f64 v[27:28], v[27:28], v[32:33], v[17:18]
	;; [unrolled: 1-line block ×4, first 2 shown]
	s_clause 0x1
	global_load_b128 v[11:14], v[6:7], off offset:1056
	global_load_b128 v[15:18], v[6:7], off offset:1072
	s_wait_loadcnt 0x15
	v_fma_f64 v[36:37], v[36:37], v[34:35], v[25:26]
	v_fma_f64 v[38:39], v[38:39], v[34:35], v[27:28]
	s_wait_loadcnt 0x14
	v_fma_f64 v[40:41], v[40:41], v[34:35], v[21:22]
	v_fma_f64 v[42:43], v[42:43], v[34:35], v[23:24]
	s_clause 0x1
	global_load_b128 v[21:24], v[6:7], off offset:1088
	global_load_b128 v[25:28], v[6:7], off offset:1104
	;; [unrolled: 1-line block ×3, first 2 shown]
	s_wait_loadcnt 0x14
	v_fma_f64 v[29:30], v[44:45], v[52:53], v[36:37]
	v_fma_f64 v[116:117], v[46:47], v[52:53], v[38:39]
	;; [unrolled: 1-line block ×4, first 2 shown]
	s_clause 0x2
	global_load_b128 v[36:39], v[6:7], off offset:1120
	global_load_b128 v[40:43], v[6:7], off offset:1136
	;; [unrolled: 1-line block ×3, first 2 shown]
	v_subrev_nc_u32_e32 v52, s12, v118
	s_delay_alu instid0(VALU_DEP_1) | instskip(NEXT) | instid1(VALU_DEP_1)
	v_lshlrev_b32_e32 v52, 2, v52
	v_ashrrev_i32_e32 v53, 31, v52
	s_wait_loadcnt 0x16
	v_fma_f64 v[29:30], v[56:57], v[54:55], v[29:30]
	v_fma_f64 v[56:57], v[58:59], v[54:55], v[116:117]
	s_wait_loadcnt 0x15
	v_fma_f64 v[58:59], v[60:61], v[54:55], v[48:49]
	v_fma_f64 v[60:61], v[62:63], v[54:55], v[50:51]
	v_lshlrev_b64_e32 v[48:49], 3, v[52:53]
	s_delay_alu instid0(VALU_DEP_1) | instskip(SKIP_1) | instid1(VALU_DEP_2)
	v_add_co_u32 v116, vcc_lo, s4, v48
	s_wait_alu 0xfffd
	v_add_co_ci_u32_e64 v117, null, s5, v49, vcc_lo
	global_load_b128 v[48:51], v[6:7], off offset:1536
	global_load_b128 v[52:55], v[116:117], off
	v_add_co_u32 v0, vcc_lo, v0, 16
	s_wait_alu 0xfffd
	v_add_co_ci_u32_e64 v1, null, 0, v1, vcc_lo
	s_wait_loadcnt 0x14
	v_fma_f64 v[29:30], v[68:69], v[72:73], v[29:30]
	v_fma_f64 v[68:69], v[70:71], v[72:73], v[56:57]
	;; [unrolled: 1-line block ×4, first 2 shown]
	s_clause 0x1
	global_load_b128 v[56:59], v[6:7], off offset:1568
	global_load_b128 v[60:63], v[6:7], off offset:1584
	s_wait_loadcnt 0x15
	v_fma_f64 v[29:30], v[76:77], v[74:75], v[29:30]
	v_fma_f64 v[76:77], v[78:79], v[74:75], v[68:69]
	s_wait_loadcnt 0x14
	v_fma_f64 v[78:79], v[80:81], v[74:75], v[64:65]
	v_fma_f64 v[80:81], v[82:83], v[74:75], v[66:67]
	s_clause 0x1
	global_load_b128 v[64:67], v[6:7], off offset:1600
	global_load_b128 v[68:71], v[6:7], off offset:1616
	;; [unrolled: 1-line block ×3, first 2 shown]
	s_wait_loadcnt 0x14
	v_fma_f64 v[29:30], v[84:85], v[92:93], v[29:30]
	v_fma_f64 v[84:85], v[86:87], v[92:93], v[76:77]
	;; [unrolled: 1-line block ×4, first 2 shown]
	s_clause 0x1
	global_load_b128 v[76:79], v[6:7], off offset:1632
	global_load_b128 v[80:83], v[6:7], off offset:1648
	v_add_co_u32 v6, vcc_lo, 0x800, v6
	s_wait_alu 0xfffd
	v_add_co_ci_u32_e64 v7, null, 0, v7, vcc_lo
	v_cmp_ge_i64_e32 vcc_lo, v[0:1], v[4:5]
	s_wait_alu 0xfffe
	s_or_b32 s7, vcc_lo, s7
	s_wait_loadcnt 0x15
	v_fma_f64 v[29:30], v[96:97], v[94:95], v[29:30]
	v_fma_f64 v[84:85], v[98:99], v[94:95], v[84:85]
	s_wait_loadcnt 0x14
	v_fma_f64 v[86:87], v[100:101], v[94:95], v[86:87]
	v_fma_f64 v[88:89], v[102:103], v[94:95], v[88:89]
	s_wait_loadcnt 0x11
	s_delay_alu instid0(VALU_DEP_4) | instskip(NEXT) | instid1(VALU_DEP_4)
	v_fma_f64 v[29:30], v[108:109], v[112:113], v[29:30]
	v_fma_f64 v[84:85], v[110:111], v[112:113], v[84:85]
	s_delay_alu instid0(VALU_DEP_4) | instskip(NEXT) | instid1(VALU_DEP_4)
	v_fma_f64 v[86:87], v[104:105], v[112:113], v[86:87]
	v_fma_f64 v[88:89], v[106:107], v[112:113], v[88:89]
	s_wait_loadcnt 0x10
	s_delay_alu instid0(VALU_DEP_4) | instskip(NEXT) | instid1(VALU_DEP_4)
	v_fma_f64 v[11:12], v[11:12], v[114:115], v[29:30]
	v_fma_f64 v[13:14], v[13:14], v[114:115], v[84:85]
	s_wait_loadcnt 0xf
	s_delay_alu instid0(VALU_DEP_4) | instskip(NEXT) | instid1(VALU_DEP_4)
	v_fma_f64 v[15:16], v[15:16], v[114:115], v[86:87]
	v_fma_f64 v[17:18], v[17:18], v[114:115], v[88:89]
	s_wait_loadcnt 0xc
	s_delay_alu instid0(VALU_DEP_4) | instskip(NEXT) | instid1(VALU_DEP_4)
	v_fma_f64 v[11:12], v[21:22], v[32:33], v[11:12]
	v_fma_f64 v[13:14], v[23:24], v[32:33], v[13:14]
	s_delay_alu instid0(VALU_DEP_4) | instskip(NEXT) | instid1(VALU_DEP_4)
	v_fma_f64 v[15:16], v[25:26], v[32:33], v[15:16]
	v_fma_f64 v[17:18], v[27:28], v[32:33], v[17:18]
	s_wait_loadcnt 0xb
	s_delay_alu instid0(VALU_DEP_4) | instskip(NEXT) | instid1(VALU_DEP_4)
	v_fma_f64 v[11:12], v[36:37], v[34:35], v[11:12]
	v_fma_f64 v[13:14], v[38:39], v[34:35], v[13:14]
	s_wait_loadcnt 0xa
	s_delay_alu instid0(VALU_DEP_4) | instskip(NEXT) | instid1(VALU_DEP_4)
	v_fma_f64 v[15:16], v[40:41], v[34:35], v[15:16]
	v_fma_f64 v[17:18], v[42:43], v[34:35], v[17:18]
	s_wait_loadcnt 0x7
	s_delay_alu instid0(VALU_DEP_4) | instskip(NEXT) | instid1(VALU_DEP_4)
	v_fma_f64 v[11:12], v[48:49], v[52:53], v[11:12]
	v_fma_f64 v[13:14], v[50:51], v[52:53], v[13:14]
	s_delay_alu instid0(VALU_DEP_4) | instskip(NEXT) | instid1(VALU_DEP_4)
	v_fma_f64 v[15:16], v[44:45], v[52:53], v[15:16]
	v_fma_f64 v[17:18], v[46:47], v[52:53], v[17:18]
	s_wait_loadcnt 0x6
	s_delay_alu instid0(VALU_DEP_4) | instskip(NEXT) | instid1(VALU_DEP_4)
	v_fma_f64 v[11:12], v[56:57], v[54:55], v[11:12]
	v_fma_f64 v[13:14], v[58:59], v[54:55], v[13:14]
	s_wait_loadcnt 0x5
	s_delay_alu instid0(VALU_DEP_4) | instskip(NEXT) | instid1(VALU_DEP_4)
	v_fma_f64 v[15:16], v[60:61], v[54:55], v[15:16]
	v_fma_f64 v[17:18], v[62:63], v[54:55], v[17:18]
	s_wait_loadcnt 0x2
	s_delay_alu instid0(VALU_DEP_4) | instskip(NEXT) | instid1(VALU_DEP_4)
	v_fma_f64 v[11:12], v[64:65], v[72:73], v[11:12]
	v_fma_f64 v[13:14], v[66:67], v[72:73], v[13:14]
	s_delay_alu instid0(VALU_DEP_4) | instskip(NEXT) | instid1(VALU_DEP_4)
	v_fma_f64 v[21:22], v[68:69], v[72:73], v[15:16]
	v_fma_f64 v[23:24], v[70:71], v[72:73], v[17:18]
	s_wait_loadcnt 0x1
	s_delay_alu instid0(VALU_DEP_4) | instskip(NEXT) | instid1(VALU_DEP_4)
	v_fma_f64 v[15:16], v[76:77], v[74:75], v[11:12]
	v_fma_f64 v[17:18], v[78:79], v[74:75], v[13:14]
	s_wait_loadcnt 0x0
	s_delay_alu instid0(VALU_DEP_4) | instskip(NEXT) | instid1(VALU_DEP_4)
	v_fma_f64 v[13:14], v[80:81], v[74:75], v[21:22]
	v_fma_f64 v[11:12], v[82:83], v[74:75], v[23:24]
	s_wait_alu 0xfffe
	s_and_not1_b32 exec_lo, exec_lo, s7
	s_cbranch_execnz .LBB25_33
; %bb.34:
	s_or_b32 exec_lo, exec_lo, s7
.LBB25_35:
	s_wait_alu 0xfffe
	s_or_b32 exec_lo, exec_lo, s6
.LBB25_36:
	s_wait_alu 0xfffe
	s_or_b32 exec_lo, exec_lo, s3
.LBB25_37:
	v_mbcnt_lo_u32_b32 v23, -1, 0
	s_delay_alu instid0(VALU_DEP_1) | instskip(NEXT) | instid1(VALU_DEP_1)
	v_xor_b32_e32 v0, 2, v23
	v_cmp_gt_i32_e32 vcc_lo, 32, v0
	s_wait_alu 0xfffd
	v_cndmask_b32_e32 v0, v23, v0, vcc_lo
	s_delay_alu instid0(VALU_DEP_1)
	v_lshlrev_b32_e32 v6, 2, v0
	ds_bpermute_b32 v0, v6, v15
	ds_bpermute_b32 v1, v6, v16
	;; [unrolled: 1-line block ×8, first 2 shown]
	s_wait_dscnt 0x6
	v_add_f64_e32 v[15:16], v[15:16], v[0:1]
	s_wait_dscnt 0x4
	v_add_f64_e32 v[6:7], v[17:18], v[4:5]
	;; [unrolled: 2-line block ×4, first 2 shown]
	v_xor_b32_e32 v11, 1, v23
	s_delay_alu instid0(VALU_DEP_1) | instskip(SKIP_3) | instid1(VALU_DEP_2)
	v_cmp_gt_i32_e32 vcc_lo, 32, v11
	s_wait_alu 0xfffd
	v_cndmask_b32_e32 v11, v23, v11, vcc_lo
	v_cmp_eq_u32_e32 vcc_lo, 3, v31
	v_lshlrev_b32_e32 v12, 2, v11
	ds_bpermute_b32 v19, v12, v15
	ds_bpermute_b32 v20, v12, v16
	;; [unrolled: 1-line block ×8, first 2 shown]
	s_and_b32 exec_lo, exec_lo, vcc_lo
	s_cbranch_execz .LBB25_10
; %bb.38:
	s_wait_dscnt 0x6
	v_add_f64_e32 v[15:16], v[15:16], v[19:20]
	s_wait_dscnt 0x4
	v_add_f64_e32 v[6:7], v[6:7], v[17:18]
	;; [unrolled: 2-line block ×4, first 2 shown]
	s_load_b64 s[0:1], s[0:1], 0x50
	v_lshlrev_b32_e32 v10, 2, v10
	s_mov_b32 s2, exec_lo
	v_mul_f64_e32 v[4:5], v[2:3], v[15:16]
	v_mul_f64_e32 v[6:7], v[2:3], v[6:7]
	;; [unrolled: 1-line block ×4, first 2 shown]
	v_cmpx_eq_f64_e32 0, v[8:9]
	s_wait_alu 0xfffe
	s_xor_b32 s2, exec_lo, s2
	s_cbranch_execz .LBB25_40
; %bb.39:
	v_ashrrev_i32_e32 v11, 31, v10
	s_delay_alu instid0(VALU_DEP_1) | instskip(SKIP_1) | instid1(VALU_DEP_1)
	v_lshlrev_b64_e32 v[8:9], 3, v[10:11]
                                        ; implicit-def: $vgpr10
	s_wait_kmcnt 0x0
	v_add_co_u32 v8, vcc_lo, s0, v8
	s_wait_alu 0xfffd
	s_delay_alu instid0(VALU_DEP_2)
	v_add_co_ci_u32_e64 v9, null, s1, v9, vcc_lo
	s_clause 0x1
	global_store_b128 v[8:9], v[4:7], off
	global_store_b128 v[8:9], v[0:3], off offset:16
                                        ; implicit-def: $vgpr8_vgpr9
                                        ; implicit-def: $vgpr4_vgpr5
                                        ; implicit-def: $vgpr0_vgpr1
.LBB25_40:
	s_wait_alu 0xfffe
	s_and_not1_saveexec_b32 s2, s2
	s_cbranch_execz .LBB25_10
; %bb.41:
	v_ashrrev_i32_e32 v11, 31, v10
	s_delay_alu instid0(VALU_DEP_1) | instskip(SKIP_1) | instid1(VALU_DEP_1)
	v_lshlrev_b64_e32 v[10:11], 3, v[10:11]
	s_wait_kmcnt 0x0
	v_add_co_u32 v18, vcc_lo, s0, v10
	s_wait_alu 0xfffd
	s_delay_alu instid0(VALU_DEP_2)
	v_add_co_ci_u32_e64 v19, null, s1, v11, vcc_lo
	s_clause 0x1
	global_load_b128 v[10:13], v[18:19], off
	global_load_b128 v[14:17], v[18:19], off offset:16
	s_wait_loadcnt 0x1
	v_fma_f64 v[4:5], v[8:9], v[10:11], v[4:5]
	v_fma_f64 v[6:7], v[8:9], v[12:13], v[6:7]
	s_wait_loadcnt 0x0
	v_fma_f64 v[0:1], v[8:9], v[14:15], v[0:1]
	v_fma_f64 v[2:3], v[8:9], v[16:17], v[2:3]
	s_clause 0x1
	global_store_b128 v[18:19], v[4:7], off
	global_store_b128 v[18:19], v[0:3], off offset:16
	s_nop 0
	s_sendmsg sendmsg(MSG_DEALLOC_VGPRS)
	s_endpgm
	.section	.rodata,"a",@progbits
	.p2align	6, 0x0
	.amdhsa_kernel _ZN9rocsparseL18bsrxmvn_4x4_kernelILj128ELj4EdlidddEEvT3_20rocsparse_direction_NS_24const_host_device_scalarIT1_EES1_PKS1_PKT2_SA_S7_PKT4_PKT5_S5_PT6_21rocsparse_index_base_b
		.amdhsa_group_segment_fixed_size 0
		.amdhsa_private_segment_fixed_size 0
		.amdhsa_kernarg_size 96
		.amdhsa_user_sgpr_count 2
		.amdhsa_user_sgpr_dispatch_ptr 0
		.amdhsa_user_sgpr_queue_ptr 0
		.amdhsa_user_sgpr_kernarg_segment_ptr 1
		.amdhsa_user_sgpr_dispatch_id 0
		.amdhsa_user_sgpr_private_segment_size 0
		.amdhsa_wavefront_size32 1
		.amdhsa_uses_dynamic_stack 0
		.amdhsa_enable_private_segment 0
		.amdhsa_system_sgpr_workgroup_id_x 1
		.amdhsa_system_sgpr_workgroup_id_y 0
		.amdhsa_system_sgpr_workgroup_id_z 0
		.amdhsa_system_sgpr_workgroup_info 0
		.amdhsa_system_vgpr_workitem_id 0
		.amdhsa_next_free_vgpr 147
		.amdhsa_next_free_sgpr 14
		.amdhsa_reserve_vcc 1
		.amdhsa_float_round_mode_32 0
		.amdhsa_float_round_mode_16_64 0
		.amdhsa_float_denorm_mode_32 3
		.amdhsa_float_denorm_mode_16_64 3
		.amdhsa_fp16_overflow 0
		.amdhsa_workgroup_processor_mode 1
		.amdhsa_memory_ordered 1
		.amdhsa_forward_progress 1
		.amdhsa_inst_pref_size 48
		.amdhsa_round_robin_scheduling 0
		.amdhsa_exception_fp_ieee_invalid_op 0
		.amdhsa_exception_fp_denorm_src 0
		.amdhsa_exception_fp_ieee_div_zero 0
		.amdhsa_exception_fp_ieee_overflow 0
		.amdhsa_exception_fp_ieee_underflow 0
		.amdhsa_exception_fp_ieee_inexact 0
		.amdhsa_exception_int_div_zero 0
	.end_amdhsa_kernel
	.section	.text._ZN9rocsparseL18bsrxmvn_4x4_kernelILj128ELj4EdlidddEEvT3_20rocsparse_direction_NS_24const_host_device_scalarIT1_EES1_PKS1_PKT2_SA_S7_PKT4_PKT5_S5_PT6_21rocsparse_index_base_b,"axG",@progbits,_ZN9rocsparseL18bsrxmvn_4x4_kernelILj128ELj4EdlidddEEvT3_20rocsparse_direction_NS_24const_host_device_scalarIT1_EES1_PKS1_PKT2_SA_S7_PKT4_PKT5_S5_PT6_21rocsparse_index_base_b,comdat
.Lfunc_end25:
	.size	_ZN9rocsparseL18bsrxmvn_4x4_kernelILj128ELj4EdlidddEEvT3_20rocsparse_direction_NS_24const_host_device_scalarIT1_EES1_PKS1_PKT2_SA_S7_PKT4_PKT5_S5_PT6_21rocsparse_index_base_b, .Lfunc_end25-_ZN9rocsparseL18bsrxmvn_4x4_kernelILj128ELj4EdlidddEEvT3_20rocsparse_direction_NS_24const_host_device_scalarIT1_EES1_PKS1_PKT2_SA_S7_PKT4_PKT5_S5_PT6_21rocsparse_index_base_b
                                        ; -- End function
	.set _ZN9rocsparseL18bsrxmvn_4x4_kernelILj128ELj4EdlidddEEvT3_20rocsparse_direction_NS_24const_host_device_scalarIT1_EES1_PKS1_PKT2_SA_S7_PKT4_PKT5_S5_PT6_21rocsparse_index_base_b.num_vgpr, 147
	.set _ZN9rocsparseL18bsrxmvn_4x4_kernelILj128ELj4EdlidddEEvT3_20rocsparse_direction_NS_24const_host_device_scalarIT1_EES1_PKS1_PKT2_SA_S7_PKT4_PKT5_S5_PT6_21rocsparse_index_base_b.num_agpr, 0
	.set _ZN9rocsparseL18bsrxmvn_4x4_kernelILj128ELj4EdlidddEEvT3_20rocsparse_direction_NS_24const_host_device_scalarIT1_EES1_PKS1_PKT2_SA_S7_PKT4_PKT5_S5_PT6_21rocsparse_index_base_b.numbered_sgpr, 14
	.set _ZN9rocsparseL18bsrxmvn_4x4_kernelILj128ELj4EdlidddEEvT3_20rocsparse_direction_NS_24const_host_device_scalarIT1_EES1_PKS1_PKT2_SA_S7_PKT4_PKT5_S5_PT6_21rocsparse_index_base_b.num_named_barrier, 0
	.set _ZN9rocsparseL18bsrxmvn_4x4_kernelILj128ELj4EdlidddEEvT3_20rocsparse_direction_NS_24const_host_device_scalarIT1_EES1_PKS1_PKT2_SA_S7_PKT4_PKT5_S5_PT6_21rocsparse_index_base_b.private_seg_size, 0
	.set _ZN9rocsparseL18bsrxmvn_4x4_kernelILj128ELj4EdlidddEEvT3_20rocsparse_direction_NS_24const_host_device_scalarIT1_EES1_PKS1_PKT2_SA_S7_PKT4_PKT5_S5_PT6_21rocsparse_index_base_b.uses_vcc, 1
	.set _ZN9rocsparseL18bsrxmvn_4x4_kernelILj128ELj4EdlidddEEvT3_20rocsparse_direction_NS_24const_host_device_scalarIT1_EES1_PKS1_PKT2_SA_S7_PKT4_PKT5_S5_PT6_21rocsparse_index_base_b.uses_flat_scratch, 0
	.set _ZN9rocsparseL18bsrxmvn_4x4_kernelILj128ELj4EdlidddEEvT3_20rocsparse_direction_NS_24const_host_device_scalarIT1_EES1_PKS1_PKT2_SA_S7_PKT4_PKT5_S5_PT6_21rocsparse_index_base_b.has_dyn_sized_stack, 0
	.set _ZN9rocsparseL18bsrxmvn_4x4_kernelILj128ELj4EdlidddEEvT3_20rocsparse_direction_NS_24const_host_device_scalarIT1_EES1_PKS1_PKT2_SA_S7_PKT4_PKT5_S5_PT6_21rocsparse_index_base_b.has_recursion, 0
	.set _ZN9rocsparseL18bsrxmvn_4x4_kernelILj128ELj4EdlidddEEvT3_20rocsparse_direction_NS_24const_host_device_scalarIT1_EES1_PKS1_PKT2_SA_S7_PKT4_PKT5_S5_PT6_21rocsparse_index_base_b.has_indirect_call, 0
	.section	.AMDGPU.csdata,"",@progbits
; Kernel info:
; codeLenInByte = 6044
; TotalNumSgprs: 16
; NumVgprs: 147
; ScratchSize: 0
; MemoryBound: 1
; FloatMode: 240
; IeeeMode: 1
; LDSByteSize: 0 bytes/workgroup (compile time only)
; SGPRBlocks: 0
; VGPRBlocks: 18
; NumSGPRsForWavesPerEU: 16
; NumVGPRsForWavesPerEU: 147
; Occupancy: 9
; WaveLimiterHint : 1
; COMPUTE_PGM_RSRC2:SCRATCH_EN: 0
; COMPUTE_PGM_RSRC2:USER_SGPR: 2
; COMPUTE_PGM_RSRC2:TRAP_HANDLER: 0
; COMPUTE_PGM_RSRC2:TGID_X_EN: 1
; COMPUTE_PGM_RSRC2:TGID_Y_EN: 0
; COMPUTE_PGM_RSRC2:TGID_Z_EN: 0
; COMPUTE_PGM_RSRC2:TIDIG_COMP_CNT: 0
	.section	.text._ZN9rocsparseL18bsrxmvn_4x4_kernelILj128ELj8EdlidddEEvT3_20rocsparse_direction_NS_24const_host_device_scalarIT1_EES1_PKS1_PKT2_SA_S7_PKT4_PKT5_S5_PT6_21rocsparse_index_base_b,"axG",@progbits,_ZN9rocsparseL18bsrxmvn_4x4_kernelILj128ELj8EdlidddEEvT3_20rocsparse_direction_NS_24const_host_device_scalarIT1_EES1_PKS1_PKT2_SA_S7_PKT4_PKT5_S5_PT6_21rocsparse_index_base_b,comdat
	.globl	_ZN9rocsparseL18bsrxmvn_4x4_kernelILj128ELj8EdlidddEEvT3_20rocsparse_direction_NS_24const_host_device_scalarIT1_EES1_PKS1_PKT2_SA_S7_PKT4_PKT5_S5_PT6_21rocsparse_index_base_b ; -- Begin function _ZN9rocsparseL18bsrxmvn_4x4_kernelILj128ELj8EdlidddEEvT3_20rocsparse_direction_NS_24const_host_device_scalarIT1_EES1_PKS1_PKT2_SA_S7_PKT4_PKT5_S5_PT6_21rocsparse_index_base_b
	.p2align	8
	.type	_ZN9rocsparseL18bsrxmvn_4x4_kernelILj128ELj8EdlidddEEvT3_20rocsparse_direction_NS_24const_host_device_scalarIT1_EES1_PKS1_PKT2_SA_S7_PKT4_PKT5_S5_PT6_21rocsparse_index_base_b,@function
_ZN9rocsparseL18bsrxmvn_4x4_kernelILj128ELj8EdlidddEEvT3_20rocsparse_direction_NS_24const_host_device_scalarIT1_EES1_PKS1_PKT2_SA_S7_PKT4_PKT5_S5_PT6_21rocsparse_index_base_b: ; @_ZN9rocsparseL18bsrxmvn_4x4_kernelILj128ELj8EdlidddEEvT3_20rocsparse_direction_NS_24const_host_device_scalarIT1_EES1_PKS1_PKT2_SA_S7_PKT4_PKT5_S5_PT6_21rocsparse_index_base_b
; %bb.0:
	s_clause 0x2
	s_load_b64 s[12:13], s[0:1], 0x58
	s_load_b64 s[4:5], s[0:1], 0x8
	;; [unrolled: 1-line block ×3, first 2 shown]
	s_wait_kmcnt 0x0
	s_bitcmp1_b32 s13, 0
	v_dual_mov_b32 v2, s4 :: v_dual_mov_b32 v3, s5
	s_cselect_b32 s6, -1, 0
	s_delay_alu instid0(SALU_CYCLE_1)
	s_and_b32 vcc_lo, exec_lo, s6
	s_xor_b32 s6, s6, -1
	s_cbranch_vccnz .LBB26_2
; %bb.1:
	v_dual_mov_b32 v1, s4 :: v_dual_mov_b32 v2, s5
	flat_load_b64 v[2:3], v[1:2]
.LBB26_2:
	v_dual_mov_b32 v9, s3 :: v_dual_mov_b32 v8, s2
	s_and_not1_b32 vcc_lo, exec_lo, s6
	s_cbranch_vccnz .LBB26_4
; %bb.3:
	v_dual_mov_b32 v5, s3 :: v_dual_mov_b32 v4, s2
	flat_load_b64 v[8:9], v[4:5]
.LBB26_4:
	s_wait_loadcnt_dscnt 0x0
	v_cmp_neq_f64_e32 vcc_lo, 0, v[2:3]
	v_cmp_neq_f64_e64 s2, 1.0, v[8:9]
	s_or_b32 s2, vcc_lo, s2
	s_wait_alu 0xfffe
	s_and_saveexec_b32 s3, s2
	s_cbranch_execz .LBB26_10
; %bb.5:
	s_clause 0x1
	s_load_b64 s[4:5], s[0:1], 0x18
	s_load_b64 s[2:3], s[0:1], 0x0
	v_lshrrev_b32_e32 v1, 3, v0
	s_delay_alu instid0(VALU_DEP_1)
	v_lshl_or_b32 v10, ttmp9, 4, v1
	s_wait_kmcnt 0x0
	s_cmp_lg_u64 s[4:5], 0
	s_cbranch_scc0 .LBB26_11
; %bb.6:
	s_load_b32 s6, s[0:1], 0x10
	s_mov_b32 s7, 0
                                        ; implicit-def: $vgpr1
	s_wait_kmcnt 0x0
	v_cmp_gt_i32_e32 vcc_lo, s6, v10
	s_mov_b32 s6, 0
	s_and_saveexec_b32 s8, vcc_lo
	s_delay_alu instid0(SALU_CYCLE_1)
	s_xor_b32 s8, exec_lo, s8
	s_cbranch_execz .LBB26_8
; %bb.7:
	v_ashrrev_i32_e32 v11, 31, v10
	s_mov_b32 s6, exec_lo
	s_delay_alu instid0(VALU_DEP_1) | instskip(NEXT) | instid1(VALU_DEP_1)
	v_lshlrev_b64_e32 v[4:5], 2, v[10:11]
	v_add_co_u32 v4, vcc_lo, s4, v4
	s_delay_alu instid0(VALU_DEP_1)
	v_add_co_ci_u32_e64 v5, null, s5, v5, vcc_lo
	global_load_b32 v1, v[4:5], off
	s_wait_loadcnt 0x0
	v_subrev_nc_u32_e32 v1, s12, v1
.LBB26_8:
	s_or_b32 exec_lo, exec_lo, s8
	s_delay_alu instid0(SALU_CYCLE_1)
	s_and_b32 vcc_lo, exec_lo, s7
	s_wait_alu 0xfffe
	s_cbranch_vccz .LBB26_12
.LBB26_9:
	v_cmp_gt_i32_e32 vcc_lo, s2, v10
	s_and_not1_b32 s2, s6, exec_lo
	s_and_b32 s4, vcc_lo, exec_lo
	s_wait_alu 0xfffe
	s_or_b32 s6, s2, s4
	s_wait_alu 0xfffe
	s_and_b32 exec_lo, exec_lo, s6
	s_cbranch_execnz .LBB26_13
.LBB26_10:
	s_nop 0
	s_sendmsg sendmsg(MSG_DEALLOC_VGPRS)
	s_endpgm
.LBB26_11:
	s_mov_b32 s6, 0
                                        ; implicit-def: $vgpr1
	s_cbranch_execnz .LBB26_9
.LBB26_12:
	v_mov_b32_e32 v10, v1
	s_and_b32 exec_lo, exec_lo, s6
	s_cbranch_execz .LBB26_10
.LBB26_13:
	s_load_b256 s[4:11], s[0:1], 0x20
	s_delay_alu instid0(VALU_DEP_1) | instskip(SKIP_1) | instid1(VALU_DEP_2)
	v_ashrrev_i32_e32 v11, 31, v10
	v_and_b32_e32 v31, 7, v0
	v_lshlrev_b64_e32 v[4:5], 3, v[10:11]
	s_wait_kmcnt 0x0
	s_delay_alu instid0(VALU_DEP_1) | instskip(SKIP_1) | instid1(VALU_DEP_2)
	v_add_co_u32 v6, vcc_lo, s4, v4
	s_wait_alu 0xfffd
	v_add_co_ci_u32_e64 v7, null, s5, v5, vcc_lo
	v_add_co_u32 v1, vcc_lo, s6, v4
	s_wait_alu 0xfffd
	v_add_co_ci_u32_e64 v4, null, s7, v5, vcc_lo
	v_add_co_u32 v11, vcc_lo, v6, 8
	global_load_b64 v[19:20], v[6:7], off
	s_wait_alu 0xfffd
	v_add_co_ci_u32_e64 v5, null, 0, v7, vcc_lo
	s_cmp_eq_u64 s[6:7], 0
	s_load_b64 s[4:5], s[0:1], 0x40
	s_cselect_b32 vcc_lo, -1, 0
	s_cmp_eq_u32 s3, 1
	s_wait_alu 0xfffe
	v_dual_cndmask_b32 v5, v4, v5 :: v_dual_cndmask_b32 v4, v1, v11
	global_load_b64 v[4:5], v[4:5], off
	s_wait_loadcnt 0x1
	v_sub_co_u32 v0, vcc_lo, v19, s12
	s_wait_alu 0xfffd
	v_subrev_co_ci_u32_e64 v1, null, 0, v20, vcc_lo
	s_delay_alu instid0(VALU_DEP_2) | instskip(SKIP_1) | instid1(VALU_DEP_2)
	v_add_co_u32 v0, vcc_lo, v0, v31
	s_wait_alu 0xfffd
	v_add_co_ci_u32_e64 v1, null, 0, v1, vcc_lo
	s_delay_alu instid0(VALU_DEP_1) | instskip(SKIP_4) | instid1(VALU_DEP_3)
	v_lshlrev_b64_e32 v[6:7], 7, v[0:1]
	s_wait_loadcnt 0x0
	v_sub_co_u32 v4, vcc_lo, v4, s12
	s_wait_alu 0xfffd
	v_subrev_co_ci_u32_e64 v5, null, 0, v5, vcc_lo
	v_add_co_u32 v6, vcc_lo, s10, v6
	s_delay_alu instid0(VALU_DEP_2)
	v_cmp_lt_i64_e64 s2, v[0:1], v[4:5]
	s_wait_alu 0xfffd
	v_add_co_ci_u32_e64 v7, null, s11, v7, vcc_lo
	s_cbranch_scc1 .LBB26_25
; %bb.14:
	v_mov_b32_e32 v11, 0
	v_dual_mov_b32 v17, 0 :: v_dual_mov_b32 v12, 0
	v_dual_mov_b32 v13, 0 :: v_dual_mov_b32 v18, 0
	;; [unrolled: 1-line block ×3, first 2 shown]
	v_mov_b32_e32 v16, 0
	s_and_saveexec_b32 s6, s2
	s_cbranch_execz .LBB26_24
; %bb.15:
	v_or_b32_e32 v11, 8, v31
	v_not_b32_e32 v14, v19
	v_not_b32_e32 v13, v20
	v_dual_mov_b32 v24, v1 :: v_dual_mov_b32 v23, v0
	s_delay_alu instid0(VALU_DEP_4) | instskip(SKIP_3) | instid1(VALU_DEP_3)
	v_sub_co_u32 v11, s3, v11, s12
	s_wait_alu 0xf1ff
	v_sub_co_ci_u32_e64 v12, null, 0, 0, s3
	v_sub_co_u32 v15, s3, s12, v31
	v_add_co_u32 v11, vcc_lo, v11, v19
	s_wait_alu 0xfffd
	s_delay_alu instid0(VALU_DEP_3) | instskip(SKIP_3) | instid1(VALU_DEP_3)
	v_add_co_ci_u32_e64 v12, null, v12, v20, vcc_lo
	s_wait_alu 0xf1ff
	v_sub_co_ci_u32_e64 v16, null, 0, 0, s3
	v_mov_b32_e32 v17, 0
	v_cmp_gt_i64_e32 vcc_lo, v[11:12], v[4:5]
	v_mov_b32_e32 v18, 0
	s_wait_alu 0xfffd
	v_dual_cndmask_b32 v12, v5, v12 :: v_dual_cndmask_b32 v11, v4, v11
	v_add_co_u32 v14, vcc_lo, v15, v14
	s_wait_alu 0xfffd
	v_add_co_ci_u32_e64 v13, null, v16, v13, vcc_lo
	v_mov_b32_e32 v15, 0
	s_delay_alu instid0(VALU_DEP_3) | instskip(SKIP_3) | instid1(VALU_DEP_3)
	v_add_co_u32 v25, vcc_lo, v14, v11
	v_mov_b32_e32 v22, 0
	s_wait_alu 0xfffd
	v_add_co_ci_u32_e64 v26, null, v13, v12, vcc_lo
	v_and_b32_e32 v21, 24, v25
	v_dual_mov_b32 v13, 0 :: v_dual_mov_b32 v16, 0
	v_dual_mov_b32 v14, 0 :: v_dual_mov_b32 v11, 0
	s_delay_alu instid0(VALU_DEP_3)
	v_cmp_ne_u64_e32 vcc_lo, 24, v[21:22]
	v_mov_b32_e32 v12, 0
	v_dual_mov_b32 v22, v7 :: v_dual_mov_b32 v21, v6
	s_and_saveexec_b32 s7, vcc_lo
	s_cbranch_execz .LBB26_19
; %bb.16:
	v_lshrrev_b32_e32 v11, 3, v25
	v_lshlrev_b64_e32 v[15:16], 2, v[0:1]
	v_mov_b32_e32 v13, 0
	v_mov_b32_e32 v17, 0
	s_delay_alu instid0(VALU_DEP_4) | instskip(SKIP_3) | instid1(VALU_DEP_4)
	v_dual_mov_b32 v18, 0 :: v_dual_add_nc_u32 v23, 1, v11
	v_dual_mov_b32 v11, 0 :: v_dual_mov_b32 v22, v7
	v_mov_b32_e32 v12, 0
	v_add_co_u32 v27, vcc_lo, s8, v15
	v_and_b32_e32 v23, 3, v23
	s_wait_alu 0xfffd
	v_add_co_ci_u32_e64 v28, null, s9, v16, vcc_lo
	v_mov_b32_e32 v15, 0
	v_dual_mov_b32 v21, v6 :: v_dual_mov_b32 v14, 0
	v_sub_co_u32 v29, s3, 0, v23
	v_mov_b32_e32 v24, v1
	s_wait_alu 0xf1ff
	v_sub_co_ci_u32_e64 v30, null, 0, 0, s3
	v_dual_mov_b32 v16, 0 :: v_dual_mov_b32 v23, v0
	s_mov_b32 s10, 0
.LBB26_17:                              ; =>This Inner Loop Header: Depth=1
	global_load_b32 v60, v[27:28], off
	s_clause 0x6
	global_load_b128 v[32:35], v[21:22], off offset:48
	global_load_b128 v[36:39], v[21:22], off offset:32
	;; [unrolled: 1-line block ×3, first 2 shown]
	global_load_b128 v[44:47], v[21:22], off
	global_load_b128 v[48:51], v[21:22], off offset:112
	global_load_b128 v[52:55], v[21:22], off offset:96
	;; [unrolled: 1-line block ×3, first 2 shown]
	v_add_co_u32 v27, s3, v27, 32
	s_wait_alu 0xf1ff
	v_add_co_ci_u32_e64 v28, null, 0, v28, s3
	s_wait_loadcnt 0x7
	v_subrev_nc_u32_e32 v60, s12, v60
	s_delay_alu instid0(VALU_DEP_1) | instskip(NEXT) | instid1(VALU_DEP_1)
	v_lshlrev_b32_e32 v60, 2, v60
	v_ashrrev_i32_e32 v61, 31, v60
	s_delay_alu instid0(VALU_DEP_1) | instskip(SKIP_1) | instid1(VALU_DEP_1)
	v_lshlrev_b64_e32 v[60:61], 3, v[60:61]
	s_wait_kmcnt 0x0
	v_add_co_u32 v68, vcc_lo, s4, v60
	s_wait_alu 0xfffd
	s_delay_alu instid0(VALU_DEP_2)
	v_add_co_ci_u32_e64 v69, null, s5, v61, vcc_lo
	global_load_b128 v[60:63], v[21:22], off offset:64
	s_clause 0x1
	global_load_b128 v[64:67], v[68:69], off
	global_load_b128 v[68:71], v[68:69], off offset:16
	v_add_co_u32 v21, vcc_lo, 0x400, v21
	s_wait_alu 0xfffd
	v_add_co_ci_u32_e64 v22, null, 0, v22, vcc_lo
	v_add_co_u32 v29, vcc_lo, v29, 1
	s_wait_alu 0xfffd
	v_add_co_ci_u32_e64 v30, null, 0, v30, vcc_lo
	;; [unrolled: 3-line block ×3, first 2 shown]
	s_delay_alu instid0(VALU_DEP_3)
	v_cmp_eq_u64_e32 vcc_lo, 0, v[29:30]
	s_wait_alu 0xfffe
	s_or_b32 s10, vcc_lo, s10
	s_wait_loadcnt 0x1
	v_fma_f64 v[15:16], v[44:45], v[64:65], v[15:16]
	v_fma_f64 v[17:18], v[36:37], v[64:65], v[17:18]
	;; [unrolled: 1-line block ×4, first 2 shown]
	s_delay_alu instid0(VALU_DEP_4) | instskip(NEXT) | instid1(VALU_DEP_4)
	v_fma_f64 v[15:16], v[46:47], v[66:67], v[15:16]
	v_fma_f64 v[17:18], v[38:39], v[66:67], v[17:18]
	s_delay_alu instid0(VALU_DEP_4) | instskip(NEXT) | instid1(VALU_DEP_4)
	v_fma_f64 v[13:14], v[62:63], v[66:67], v[13:14]
	v_fma_f64 v[11:12], v[54:55], v[66:67], v[11:12]
	s_wait_loadcnt 0x0
	s_delay_alu instid0(VALU_DEP_4) | instskip(NEXT) | instid1(VALU_DEP_4)
	v_fma_f64 v[15:16], v[40:41], v[68:69], v[15:16]
	v_fma_f64 v[17:18], v[32:33], v[68:69], v[17:18]
	s_delay_alu instid0(VALU_DEP_4) | instskip(NEXT) | instid1(VALU_DEP_4)
	v_fma_f64 v[13:14], v[56:57], v[68:69], v[13:14]
	v_fma_f64 v[11:12], v[48:49], v[68:69], v[11:12]
	;; [unrolled: 3-line block ×4, first 2 shown]
	s_wait_alu 0xfffe
	s_and_not1_b32 exec_lo, exec_lo, s10
	s_cbranch_execnz .LBB26_17
; %bb.18:
	s_or_b32 exec_lo, exec_lo, s10
.LBB26_19:
	s_wait_alu 0xfffe
	s_or_b32 exec_lo, exec_lo, s7
	s_delay_alu instid0(SALU_CYCLE_1)
	s_mov_b32 s7, exec_lo
	v_cmpx_lt_u64_e32 23, v[25:26]
	s_cbranch_execz .LBB26_23
; %bb.20:
	v_lshlrev_b64_e32 v[25:26], 2, v[23:24]
	s_mov_b32 s10, 0
	s_delay_alu instid0(VALU_DEP_1) | instskip(SKIP_1) | instid1(VALU_DEP_2)
	v_add_co_u32 v25, vcc_lo, s8, v25
	s_wait_alu 0xfffd
	v_add_co_ci_u32_e64 v26, null, s9, v26, vcc_lo
	s_delay_alu instid0(VALU_DEP_2) | instskip(SKIP_1) | instid1(VALU_DEP_2)
	v_add_co_u32 v25, vcc_lo, v25, 64
	s_wait_alu 0xfffd
	v_add_co_ci_u32_e64 v26, null, 0, v26, vcc_lo
.LBB26_21:                              ; =>This Inner Loop Header: Depth=1
	s_clause 0x2
	global_load_b32 v56, v[25:26], off offset:-64
	global_load_b32 v96, v[25:26], off offset:-32
	global_load_b32 v136, v[25:26], off
	s_clause 0x6
	global_load_b128 v[27:30], v[21:22], off offset:48
	global_load_b128 v[32:35], v[21:22], off offset:32
	;; [unrolled: 1-line block ×3, first 2 shown]
	global_load_b128 v[40:43], v[21:22], off
	global_load_b128 v[44:47], v[21:22], off offset:112
	global_load_b128 v[48:51], v[21:22], off offset:96
	global_load_b128 v[52:55], v[21:22], off offset:80
	global_load_b32 v146, v[25:26], off offset:32
	v_add_co_u32 v25, s3, 0x80, v25
	s_wait_alu 0xf1ff
	v_add_co_ci_u32_e64 v26, null, 0, v26, s3
	s_wait_loadcnt 0xa
	v_subrev_nc_u32_e32 v56, s12, v56
	s_wait_loadcnt 0x9
	v_subrev_nc_u32_e32 v96, s12, v96
	s_wait_loadcnt 0x8
	v_subrev_nc_u32_e32 v136, s12, v136
	v_lshlrev_b32_e32 v56, 2, v56
	s_delay_alu instid0(VALU_DEP_3) | instskip(NEXT) | instid1(VALU_DEP_3)
	v_lshlrev_b32_e32 v96, 2, v96
	v_lshlrev_b32_e32 v136, 2, v136
	s_delay_alu instid0(VALU_DEP_3) | instskip(NEXT) | instid1(VALU_DEP_3)
	v_ashrrev_i32_e32 v57, 31, v56
	v_ashrrev_i32_e32 v97, 31, v96
	s_delay_alu instid0(VALU_DEP_3) | instskip(NEXT) | instid1(VALU_DEP_3)
	v_ashrrev_i32_e32 v137, 31, v136
	v_lshlrev_b64_e32 v[56:57], 3, v[56:57]
	s_delay_alu instid0(VALU_DEP_3) | instskip(NEXT) | instid1(VALU_DEP_3)
	v_lshlrev_b64_e32 v[96:97], 3, v[96:97]
	v_lshlrev_b64_e32 v[136:137], 3, v[136:137]
	s_wait_kmcnt 0x0
	s_delay_alu instid0(VALU_DEP_3)
	v_add_co_u32 v64, vcc_lo, s4, v56
	s_wait_alu 0xfffd
	v_add_co_ci_u32_e64 v65, null, s5, v57, vcc_lo
	v_add_co_u32 v104, vcc_lo, s4, v96
	global_load_b128 v[56:59], v[21:22], off offset:64
	s_clause 0x1
	global_load_b128 v[60:63], v[64:65], off
	global_load_b128 v[64:67], v[64:65], off offset:16
	s_clause 0x6
	global_load_b128 v[68:71], v[21:22], off offset:1072
	global_load_b128 v[72:75], v[21:22], off offset:1056
	;; [unrolled: 1-line block ×7, first 2 shown]
	s_wait_alu 0xfffd
	v_add_co_ci_u32_e64 v105, null, s5, v97, vcc_lo
	global_load_b128 v[96:99], v[21:22], off offset:1088
	s_clause 0x1
	global_load_b128 v[100:103], v[104:105], off
	global_load_b128 v[104:107], v[104:105], off offset:16
	s_clause 0x6
	global_load_b128 v[108:111], v[21:22], off offset:2096
	global_load_b128 v[112:115], v[21:22], off offset:2080
	;; [unrolled: 1-line block ×7, first 2 shown]
	v_add_co_u32 v144, vcc_lo, s4, v136
	s_wait_alu 0xfffd
	v_add_co_ci_u32_e64 v145, null, s5, v137, vcc_lo
	global_load_b128 v[136:139], v[21:22], off offset:2112
	global_load_b128 v[140:143], v[144:145], off
	s_wait_loadcnt 0x14
	v_fma_f64 v[15:16], v[40:41], v[60:61], v[15:16]
	v_fma_f64 v[17:18], v[32:33], v[60:61], v[17:18]
	;; [unrolled: 1-line block ×4, first 2 shown]
	v_subrev_nc_u32_e32 v60, s12, v146
	s_delay_alu instid0(VALU_DEP_1) | instskip(NEXT) | instid1(VALU_DEP_1)
	v_lshlrev_b32_e32 v60, 2, v60
	v_ashrrev_i32_e32 v61, 31, v60
	v_fma_f64 v[15:16], v[42:43], v[62:63], v[15:16]
	v_fma_f64 v[17:18], v[34:35], v[62:63], v[17:18]
	v_fma_f64 v[32:33], v[58:59], v[62:63], v[13:14]
	v_fma_f64 v[34:35], v[50:51], v[62:63], v[11:12]
	global_load_b128 v[11:14], v[144:145], off offset:16
	s_wait_loadcnt 0x14
	v_fma_f64 v[36:37], v[36:37], v[64:65], v[15:16]
	v_fma_f64 v[27:28], v[27:28], v[64:65], v[17:18]
	;; [unrolled: 1-line block ×4, first 2 shown]
	s_clause 0x4
	global_load_b128 v[15:18], v[21:22], off offset:3120
	global_load_b128 v[32:35], v[21:22], off offset:3104
	;; [unrolled: 1-line block ×5, first 2 shown]
	v_fma_f64 v[62:63], v[38:39], v[66:67], v[36:37]
	v_fma_f64 v[64:65], v[29:30], v[66:67], v[27:28]
	;; [unrolled: 1-line block ×4, first 2 shown]
	v_lshlrev_b64_e32 v[27:28], 3, v[60:61]
	s_delay_alu instid0(VALU_DEP_1) | instskip(SKIP_1) | instid1(VALU_DEP_2)
	v_add_co_u32 v60, vcc_lo, s4, v27
	s_wait_alu 0xfffd
	v_add_co_ci_u32_e64 v61, null, s5, v28, vcc_lo
	global_load_b128 v[27:30], v[21:22], off offset:3136
	global_load_b128 v[36:39], v[60:61], off
	v_add_co_u32 v23, vcc_lo, v23, 32
	s_wait_alu 0xfffd
	v_add_co_ci_u32_e64 v24, null, 0, v24, vcc_lo
	s_wait_loadcnt 0x12
	v_fma_f64 v[46:47], v[80:81], v[100:101], v[62:63]
	v_fma_f64 v[54:55], v[72:73], v[100:101], v[64:65]
	;; [unrolled: 1-line block ×4, first 2 shown]
	s_delay_alu instid0(VALU_DEP_4) | instskip(NEXT) | instid1(VALU_DEP_4)
	v_fma_f64 v[64:65], v[82:83], v[102:103], v[46:47]
	v_fma_f64 v[66:67], v[74:75], v[102:103], v[54:55]
	s_delay_alu instid0(VALU_DEP_4) | instskip(NEXT) | instid1(VALU_DEP_4)
	v_fma_f64 v[72:73], v[98:99], v[102:103], v[52:53]
	v_fma_f64 v[74:75], v[90:91], v[102:103], v[44:45]
	s_clause 0x1
	global_load_b128 v[44:47], v[21:22], off offset:3184
	global_load_b128 v[52:55], v[21:22], off offset:3152
	;; [unrolled: 1-line block ×3, first 2 shown]
	v_add_co_u32 v21, vcc_lo, 0x1000, v21
	s_wait_alu 0xfffd
	v_add_co_ci_u32_e64 v22, null, 0, v22, vcc_lo
	v_cmp_ge_i64_e32 vcc_lo, v[23:24], v[4:5]
	s_wait_alu 0xfffe
	s_or_b32 s10, vcc_lo, s10
	s_wait_loadcnt 0x14
	v_fma_f64 v[64:65], v[76:77], v[104:105], v[64:65]
	v_fma_f64 v[66:67], v[68:69], v[104:105], v[66:67]
	;; [unrolled: 1-line block ×4, first 2 shown]
	s_delay_alu instid0(VALU_DEP_4) | instskip(NEXT) | instid1(VALU_DEP_4)
	v_fma_f64 v[64:65], v[78:79], v[106:107], v[64:65]
	v_fma_f64 v[66:67], v[70:71], v[106:107], v[66:67]
	s_delay_alu instid0(VALU_DEP_4) | instskip(NEXT) | instid1(VALU_DEP_4)
	v_fma_f64 v[68:69], v[94:95], v[106:107], v[68:69]
	v_fma_f64 v[70:71], v[86:87], v[106:107], v[72:73]
	s_wait_loadcnt 0xb
	s_delay_alu instid0(VALU_DEP_4) | instskip(NEXT) | instid1(VALU_DEP_4)
	v_fma_f64 v[64:65], v[120:121], v[140:141], v[64:65]
	v_fma_f64 v[66:67], v[112:113], v[140:141], v[66:67]
	s_delay_alu instid0(VALU_DEP_4) | instskip(NEXT) | instid1(VALU_DEP_4)
	v_fma_f64 v[68:69], v[136:137], v[140:141], v[68:69]
	v_fma_f64 v[70:71], v[128:129], v[140:141], v[70:71]
	s_delay_alu instid0(VALU_DEP_4) | instskip(NEXT) | instid1(VALU_DEP_4)
	v_fma_f64 v[64:65], v[122:123], v[142:143], v[64:65]
	v_fma_f64 v[66:67], v[114:115], v[142:143], v[66:67]
	s_delay_alu instid0(VALU_DEP_4) | instskip(NEXT) | instid1(VALU_DEP_4)
	v_fma_f64 v[68:69], v[138:139], v[142:143], v[68:69]
	v_fma_f64 v[70:71], v[130:131], v[142:143], v[70:71]
	s_wait_loadcnt 0xa
	s_delay_alu instid0(VALU_DEP_4) | instskip(NEXT) | instid1(VALU_DEP_4)
	v_fma_f64 v[64:65], v[116:117], v[11:12], v[64:65]
	v_fma_f64 v[66:67], v[108:109], v[11:12], v[66:67]
	s_delay_alu instid0(VALU_DEP_4) | instskip(NEXT) | instid1(VALU_DEP_4)
	v_fma_f64 v[68:69], v[132:133], v[11:12], v[68:69]
	v_fma_f64 v[11:12], v[124:125], v[11:12], v[70:71]
	;; [unrolled: 13-line block ×4, first 2 shown]
	s_delay_alu instid0(VALU_DEP_4) | instskip(NEXT) | instid1(VALU_DEP_4)
	v_fma_f64 v[15:16], v[42:43], v[62:63], v[13:14]
	v_fma_f64 v[17:18], v[17:18], v[62:63], v[29:30]
	s_delay_alu instid0(VALU_DEP_4) | instskip(NEXT) | instid1(VALU_DEP_4)
	v_fma_f64 v[13:14], v[54:55], v[62:63], v[27:28]
	v_fma_f64 v[11:12], v[46:47], v[62:63], v[11:12]
	s_wait_alu 0xfffe
	s_and_not1_b32 exec_lo, exec_lo, s10
	s_cbranch_execnz .LBB26_21
; %bb.22:
	s_or_b32 exec_lo, exec_lo, s10
.LBB26_23:
	s_wait_alu 0xfffe
	s_or_b32 exec_lo, exec_lo, s7
.LBB26_24:
	s_wait_alu 0xfffe
	s_or_b32 exec_lo, exec_lo, s6
	s_cbranch_execz .LBB26_26
	s_branch .LBB26_37
.LBB26_25:
                                        ; implicit-def: $vgpr11_vgpr12
                                        ; implicit-def: $vgpr13_vgpr14
                                        ; implicit-def: $vgpr17_vgpr18
                                        ; implicit-def: $vgpr15_vgpr16
.LBB26_26:
	v_mov_b32_e32 v11, 0
	v_dual_mov_b32 v17, 0 :: v_dual_mov_b32 v12, 0
	v_dual_mov_b32 v13, 0 :: v_dual_mov_b32 v18, 0
	;; [unrolled: 1-line block ×3, first 2 shown]
	v_mov_b32_e32 v16, 0
	s_and_saveexec_b32 s3, s2
	s_cbranch_execz .LBB26_36
; %bb.27:
	v_or_b32_e32 v11, 8, v31
	v_not_b32_e32 v14, v19
	v_not_b32_e32 v13, v20
	s_delay_alu instid0(VALU_DEP_3) | instskip(SKIP_3) | instid1(VALU_DEP_3)
	v_sub_co_u32 v11, s2, v11, s12
	s_wait_alu 0xf1ff
	v_sub_co_ci_u32_e64 v12, null, 0, 0, s2
	v_sub_co_u32 v15, s2, s12, v31
	v_add_co_u32 v11, vcc_lo, v11, v19
	s_wait_alu 0xfffd
	s_delay_alu instid0(VALU_DEP_3) | instskip(SKIP_2) | instid1(VALU_DEP_2)
	v_add_co_ci_u32_e64 v12, null, v12, v20, vcc_lo
	s_wait_alu 0xf1ff
	v_sub_co_ci_u32_e64 v16, null, 0, 0, s2
	v_cmp_gt_i64_e32 vcc_lo, v[11:12], v[4:5]
	s_wait_alu 0xfffd
	v_cndmask_b32_e32 v17, v5, v12, vcc_lo
	v_cndmask_b32_e32 v11, v4, v11, vcc_lo
	v_add_co_u32 v12, vcc_lo, v15, v14
	s_wait_alu 0xfffd
	v_add_co_ci_u32_e64 v13, null, v16, v13, vcc_lo
	v_mov_b32_e32 v15, 0
	v_mov_b32_e32 v16, 0
	v_add_co_u32 v19, vcc_lo, v12, v11
	v_mov_b32_e32 v12, 0
	s_wait_alu 0xfffd
	v_add_co_ci_u32_e64 v20, null, v13, v17, vcc_lo
	s_delay_alu instid0(VALU_DEP_3) | instskip(SKIP_3) | instid1(VALU_DEP_4)
	v_and_b32_e32 v11, 24, v19
	v_mov_b32_e32 v17, 0
	v_dual_mov_b32 v18, 0 :: v_dual_mov_b32 v13, 0
	v_mov_b32_e32 v14, 0
	v_cmp_ne_u64_e32 vcc_lo, 24, v[11:12]
	v_mov_b32_e32 v11, 0
	v_mov_b32_e32 v12, 0
	s_and_saveexec_b32 s6, vcc_lo
	s_cbranch_execz .LBB26_31
; %bb.28:
	v_lshrrev_b32_e32 v11, 3, v19
	v_lshlrev_b64_e32 v[21:22], 2, v[0:1]
	v_mov_b32_e32 v13, 0
	v_mov_b32_e32 v17, 0
	;; [unrolled: 1-line block ×3, first 2 shown]
	v_add_nc_u32_e32 v23, 1, v11
	v_dual_mov_b32 v11, 0 :: v_dual_mov_b32 v14, 0
	v_mov_b32_e32 v12, 0
	v_add_co_u32 v21, vcc_lo, s8, v21
	s_delay_alu instid0(VALU_DEP_4) | instskip(SKIP_3) | instid1(VALU_DEP_3)
	v_dual_mov_b32 v18, 0 :: v_dual_and_b32 v23, 3, v23
	v_mov_b32_e32 v16, 0
	s_wait_alu 0xfffd
	v_add_co_ci_u32_e64 v22, null, s9, v22, vcc_lo
	v_sub_co_u32 v23, s2, 0, v23
	s_wait_alu 0xf1ff
	v_sub_co_ci_u32_e64 v24, null, 0, 0, s2
	s_mov_b32 s7, 0
.LBB26_29:                              ; =>This Inner Loop Header: Depth=1
	global_load_b32 v29, v[21:22], off
	global_load_b128 v[25:28], v[6:7], off offset:16
	v_add_co_u32 v21, s2, v21, 32
	s_wait_alu 0xf1ff
	v_add_co_ci_u32_e64 v22, null, 0, v22, s2
	s_wait_loadcnt 0x1
	v_subrev_nc_u32_e32 v29, s12, v29
	s_delay_alu instid0(VALU_DEP_1) | instskip(NEXT) | instid1(VALU_DEP_1)
	v_lshlrev_b32_e32 v29, 2, v29
	v_ashrrev_i32_e32 v30, 31, v29
	s_delay_alu instid0(VALU_DEP_1) | instskip(SKIP_1) | instid1(VALU_DEP_1)
	v_lshlrev_b64_e32 v[29:30], 3, v[29:30]
	s_wait_kmcnt 0x0
	v_add_co_u32 v29, vcc_lo, s4, v29
	s_wait_alu 0xfffd
	s_delay_alu instid0(VALU_DEP_2)
	v_add_co_ci_u32_e64 v30, null, s5, v30, vcc_lo
	global_load_b128 v[32:35], v[6:7], off
	s_clause 0x1
	global_load_b128 v[36:39], v[29:30], off
	global_load_b128 v[40:43], v[29:30], off offset:16
	s_clause 0x5
	global_load_b128 v[44:47], v[6:7], off offset:32
	global_load_b128 v[48:51], v[6:7], off offset:48
	;; [unrolled: 1-line block ×6, first 2 shown]
	v_add_co_u32 v6, vcc_lo, 0x400, v6
	s_wait_alu 0xfffd
	v_add_co_ci_u32_e64 v7, null, 0, v7, vcc_lo
	v_add_co_u32 v23, vcc_lo, v23, 1
	s_wait_alu 0xfffd
	v_add_co_ci_u32_e64 v24, null, 0, v24, vcc_lo
	;; [unrolled: 3-line block ×3, first 2 shown]
	s_delay_alu instid0(VALU_DEP_3)
	v_cmp_eq_u64_e32 vcc_lo, 0, v[23:24]
	s_wait_alu 0xfffe
	s_or_b32 s7, vcc_lo, s7
	s_wait_loadcnt 0x7
	v_fma_f64 v[15:16], v[32:33], v[36:37], v[15:16]
	v_fma_f64 v[17:18], v[34:35], v[36:37], v[17:18]
	;; [unrolled: 1-line block ×4, first 2 shown]
	s_wait_loadcnt 0x5
	s_delay_alu instid0(VALU_DEP_4) | instskip(NEXT) | instid1(VALU_DEP_4)
	v_fma_f64 v[15:16], v[44:45], v[38:39], v[15:16]
	v_fma_f64 v[17:18], v[46:47], v[38:39], v[17:18]
	s_wait_loadcnt 0x4
	s_delay_alu instid0(VALU_DEP_4) | instskip(NEXT) | instid1(VALU_DEP_4)
	v_fma_f64 v[13:14], v[48:49], v[38:39], v[13:14]
	v_fma_f64 v[11:12], v[50:51], v[38:39], v[11:12]
	;; [unrolled: 4-line block ×6, first 2 shown]
	s_wait_alu 0xfffe
	s_and_not1_b32 exec_lo, exec_lo, s7
	s_cbranch_execnz .LBB26_29
; %bb.30:
	s_or_b32 exec_lo, exec_lo, s7
.LBB26_31:
	s_wait_alu 0xfffe
	s_or_b32 exec_lo, exec_lo, s6
	s_delay_alu instid0(SALU_CYCLE_1)
	s_mov_b32 s6, exec_lo
	v_cmpx_lt_u64_e32 23, v[19:20]
	s_cbranch_execz .LBB26_35
; %bb.32:
	v_lshlrev_b64_e32 v[19:20], 2, v[0:1]
	s_mov_b32 s7, 0
	s_delay_alu instid0(VALU_DEP_1) | instskip(SKIP_1) | instid1(VALU_DEP_2)
	v_add_co_u32 v19, vcc_lo, s8, v19
	s_wait_alu 0xfffd
	v_add_co_ci_u32_e64 v20, null, s9, v20, vcc_lo
	s_delay_alu instid0(VALU_DEP_2) | instskip(SKIP_1) | instid1(VALU_DEP_2)
	v_add_co_u32 v19, vcc_lo, v19, 64
	s_wait_alu 0xfffd
	v_add_co_ci_u32_e64 v20, null, 0, v20, vcc_lo
.LBB26_33:                              ; =>This Inner Loop Header: Depth=1
	s_clause 0x2
	global_load_b32 v25, v[19:20], off offset:-64
	global_load_b32 v68, v[19:20], off offset:-32
	global_load_b32 v108, v[19:20], off
	global_load_b128 v[21:24], v[6:7], off offset:16
	global_load_b32 v118, v[19:20], off offset:32
	v_add_co_u32 v19, s2, 0x80, v19
	s_wait_alu 0xf1ff
	v_add_co_ci_u32_e64 v20, null, 0, v20, s2
	s_wait_loadcnt 0x4
	v_subrev_nc_u32_e32 v25, s12, v25
	s_delay_alu instid0(VALU_DEP_1) | instskip(NEXT) | instid1(VALU_DEP_1)
	v_lshlrev_b32_e32 v25, 2, v25
	v_ashrrev_i32_e32 v26, 31, v25
	s_delay_alu instid0(VALU_DEP_1) | instskip(SKIP_1) | instid1(VALU_DEP_1)
	v_lshlrev_b64_e32 v[25:26], 3, v[25:26]
	s_wait_kmcnt 0x0
	v_add_co_u32 v29, vcc_lo, s4, v25
	s_wait_alu 0xfffd
	s_delay_alu instid0(VALU_DEP_2)
	v_add_co_ci_u32_e64 v30, null, s5, v26, vcc_lo
	global_load_b128 v[25:28], v[6:7], off
	global_load_b128 v[32:35], v[29:30], off
	s_clause 0x3
	global_load_b128 v[36:39], v[6:7], off offset:32
	global_load_b128 v[40:43], v[6:7], off offset:48
	;; [unrolled: 1-line block ×5, first 2 shown]
	s_clause 0x2
	global_load_b128 v[56:59], v[6:7], off offset:96
	global_load_b128 v[60:63], v[6:7], off offset:112
	;; [unrolled: 1-line block ×3, first 2 shown]
	s_wait_loadcnt 0xd
	v_subrev_nc_u32_e32 v29, s12, v68
	s_delay_alu instid0(VALU_DEP_1) | instskip(NEXT) | instid1(VALU_DEP_1)
	v_lshlrev_b32_e32 v29, 2, v29
	v_ashrrev_i32_e32 v30, 31, v29
	s_delay_alu instid0(VALU_DEP_1) | instskip(NEXT) | instid1(VALU_DEP_1)
	v_lshlrev_b64_e32 v[29:30], 3, v[29:30]
	v_add_co_u32 v29, vcc_lo, s4, v29
	s_wait_alu 0xfffd
	s_delay_alu instid0(VALU_DEP_2)
	v_add_co_ci_u32_e64 v30, null, s5, v30, vcc_lo
	global_load_b128 v[68:71], v[6:7], off offset:1024
	global_load_b128 v[72:75], v[29:30], off
	s_clause 0x3
	global_load_b128 v[76:79], v[6:7], off offset:1056
	global_load_b128 v[80:83], v[6:7], off offset:1072
	;; [unrolled: 1-line block ×5, first 2 shown]
	s_clause 0x2
	global_load_b128 v[96:99], v[6:7], off offset:1120
	global_load_b128 v[100:103], v[6:7], off offset:1136
	;; [unrolled: 1-line block ×3, first 2 shown]
	s_wait_loadcnt 0x16
	v_subrev_nc_u32_e32 v29, s12, v108
	s_delay_alu instid0(VALU_DEP_1) | instskip(NEXT) | instid1(VALU_DEP_1)
	v_lshlrev_b32_e32 v29, 2, v29
	v_ashrrev_i32_e32 v30, 31, v29
	s_delay_alu instid0(VALU_DEP_1) | instskip(NEXT) | instid1(VALU_DEP_1)
	v_lshlrev_b64_e32 v[29:30], 3, v[29:30]
	v_add_co_u32 v29, vcc_lo, s4, v29
	s_wait_alu 0xfffd
	s_delay_alu instid0(VALU_DEP_2)
	v_add_co_ci_u32_e64 v30, null, s5, v30, vcc_lo
	global_load_b128 v[108:111], v[6:7], off offset:2048
	global_load_b128 v[112:115], v[29:30], off
	s_wait_loadcnt 0x14
	v_fma_f64 v[25:26], v[25:26], v[32:33], v[15:16]
	v_fma_f64 v[27:28], v[27:28], v[32:33], v[17:18]
	;; [unrolled: 1-line block ×4, first 2 shown]
	s_clause 0x1
	global_load_b128 v[11:14], v[6:7], off offset:2080
	global_load_b128 v[15:18], v[6:7], off offset:2096
	s_wait_loadcnt 0x15
	v_fma_f64 v[36:37], v[36:37], v[34:35], v[25:26]
	v_fma_f64 v[38:39], v[38:39], v[34:35], v[27:28]
	s_wait_loadcnt 0x14
	v_fma_f64 v[40:41], v[40:41], v[34:35], v[21:22]
	v_fma_f64 v[42:43], v[42:43], v[34:35], v[23:24]
	s_clause 0x1
	global_load_b128 v[21:24], v[6:7], off offset:2112
	global_load_b128 v[25:28], v[6:7], off offset:2128
	;; [unrolled: 1-line block ×3, first 2 shown]
	s_wait_loadcnt 0x14
	v_fma_f64 v[29:30], v[44:45], v[52:53], v[36:37]
	v_fma_f64 v[116:117], v[46:47], v[52:53], v[38:39]
	;; [unrolled: 1-line block ×4, first 2 shown]
	s_clause 0x2
	global_load_b128 v[36:39], v[6:7], off offset:2144
	global_load_b128 v[40:43], v[6:7], off offset:2160
	;; [unrolled: 1-line block ×3, first 2 shown]
	v_subrev_nc_u32_e32 v52, s12, v118
	s_delay_alu instid0(VALU_DEP_1) | instskip(NEXT) | instid1(VALU_DEP_1)
	v_lshlrev_b32_e32 v52, 2, v52
	v_ashrrev_i32_e32 v53, 31, v52
	s_wait_loadcnt 0x16
	v_fma_f64 v[29:30], v[56:57], v[54:55], v[29:30]
	v_fma_f64 v[56:57], v[58:59], v[54:55], v[116:117]
	s_wait_loadcnt 0x15
	v_fma_f64 v[58:59], v[60:61], v[54:55], v[48:49]
	v_fma_f64 v[60:61], v[62:63], v[54:55], v[50:51]
	v_lshlrev_b64_e32 v[48:49], 3, v[52:53]
	s_delay_alu instid0(VALU_DEP_1) | instskip(SKIP_1) | instid1(VALU_DEP_2)
	v_add_co_u32 v116, vcc_lo, s4, v48
	s_wait_alu 0xfffd
	v_add_co_ci_u32_e64 v117, null, s5, v49, vcc_lo
	global_load_b128 v[48:51], v[6:7], off offset:3072
	global_load_b128 v[52:55], v[116:117], off
	v_add_co_u32 v0, vcc_lo, v0, 32
	s_wait_alu 0xfffd
	v_add_co_ci_u32_e64 v1, null, 0, v1, vcc_lo
	s_wait_loadcnt 0x14
	v_fma_f64 v[29:30], v[68:69], v[72:73], v[29:30]
	v_fma_f64 v[68:69], v[70:71], v[72:73], v[56:57]
	;; [unrolled: 1-line block ×4, first 2 shown]
	s_clause 0x1
	global_load_b128 v[56:59], v[6:7], off offset:3104
	global_load_b128 v[60:63], v[6:7], off offset:3120
	s_wait_loadcnt 0x15
	v_fma_f64 v[29:30], v[76:77], v[74:75], v[29:30]
	v_fma_f64 v[76:77], v[78:79], v[74:75], v[68:69]
	s_wait_loadcnt 0x14
	v_fma_f64 v[78:79], v[80:81], v[74:75], v[64:65]
	v_fma_f64 v[80:81], v[82:83], v[74:75], v[66:67]
	s_clause 0x1
	global_load_b128 v[64:67], v[6:7], off offset:3136
	global_load_b128 v[68:71], v[6:7], off offset:3152
	;; [unrolled: 1-line block ×3, first 2 shown]
	s_wait_loadcnt 0x14
	v_fma_f64 v[29:30], v[84:85], v[92:93], v[29:30]
	v_fma_f64 v[84:85], v[86:87], v[92:93], v[76:77]
	;; [unrolled: 1-line block ×4, first 2 shown]
	s_clause 0x1
	global_load_b128 v[76:79], v[6:7], off offset:3168
	global_load_b128 v[80:83], v[6:7], off offset:3184
	v_add_co_u32 v6, vcc_lo, 0x1000, v6
	s_wait_alu 0xfffd
	v_add_co_ci_u32_e64 v7, null, 0, v7, vcc_lo
	v_cmp_ge_i64_e32 vcc_lo, v[0:1], v[4:5]
	s_wait_alu 0xfffe
	s_or_b32 s7, vcc_lo, s7
	s_wait_loadcnt 0x15
	v_fma_f64 v[29:30], v[96:97], v[94:95], v[29:30]
	v_fma_f64 v[84:85], v[98:99], v[94:95], v[84:85]
	s_wait_loadcnt 0x14
	v_fma_f64 v[86:87], v[100:101], v[94:95], v[86:87]
	v_fma_f64 v[88:89], v[102:103], v[94:95], v[88:89]
	s_wait_loadcnt 0x11
	s_delay_alu instid0(VALU_DEP_4) | instskip(NEXT) | instid1(VALU_DEP_4)
	v_fma_f64 v[29:30], v[108:109], v[112:113], v[29:30]
	v_fma_f64 v[84:85], v[110:111], v[112:113], v[84:85]
	s_delay_alu instid0(VALU_DEP_4) | instskip(NEXT) | instid1(VALU_DEP_4)
	v_fma_f64 v[86:87], v[104:105], v[112:113], v[86:87]
	v_fma_f64 v[88:89], v[106:107], v[112:113], v[88:89]
	s_wait_loadcnt 0x10
	s_delay_alu instid0(VALU_DEP_4) | instskip(NEXT) | instid1(VALU_DEP_4)
	v_fma_f64 v[11:12], v[11:12], v[114:115], v[29:30]
	v_fma_f64 v[13:14], v[13:14], v[114:115], v[84:85]
	s_wait_loadcnt 0xf
	s_delay_alu instid0(VALU_DEP_4) | instskip(NEXT) | instid1(VALU_DEP_4)
	v_fma_f64 v[15:16], v[15:16], v[114:115], v[86:87]
	v_fma_f64 v[17:18], v[17:18], v[114:115], v[88:89]
	s_wait_loadcnt 0xc
	s_delay_alu instid0(VALU_DEP_4) | instskip(NEXT) | instid1(VALU_DEP_4)
	v_fma_f64 v[11:12], v[21:22], v[32:33], v[11:12]
	v_fma_f64 v[13:14], v[23:24], v[32:33], v[13:14]
	s_delay_alu instid0(VALU_DEP_4) | instskip(NEXT) | instid1(VALU_DEP_4)
	v_fma_f64 v[15:16], v[25:26], v[32:33], v[15:16]
	v_fma_f64 v[17:18], v[27:28], v[32:33], v[17:18]
	s_wait_loadcnt 0xb
	s_delay_alu instid0(VALU_DEP_4) | instskip(NEXT) | instid1(VALU_DEP_4)
	v_fma_f64 v[11:12], v[36:37], v[34:35], v[11:12]
	v_fma_f64 v[13:14], v[38:39], v[34:35], v[13:14]
	s_wait_loadcnt 0xa
	s_delay_alu instid0(VALU_DEP_4) | instskip(NEXT) | instid1(VALU_DEP_4)
	;; [unrolled: 15-line block ×4, first 2 shown]
	v_fma_f64 v[13:14], v[80:81], v[74:75], v[21:22]
	v_fma_f64 v[11:12], v[82:83], v[74:75], v[23:24]
	s_wait_alu 0xfffe
	s_and_not1_b32 exec_lo, exec_lo, s7
	s_cbranch_execnz .LBB26_33
; %bb.34:
	s_or_b32 exec_lo, exec_lo, s7
.LBB26_35:
	s_wait_alu 0xfffe
	s_or_b32 exec_lo, exec_lo, s6
.LBB26_36:
	s_wait_alu 0xfffe
	s_or_b32 exec_lo, exec_lo, s3
.LBB26_37:
	v_mbcnt_lo_u32_b32 v23, -1, 0
	s_delay_alu instid0(VALU_DEP_1) | instskip(NEXT) | instid1(VALU_DEP_1)
	v_xor_b32_e32 v0, 4, v23
	v_cmp_gt_i32_e32 vcc_lo, 32, v0
	s_wait_alu 0xfffd
	v_cndmask_b32_e32 v0, v23, v0, vcc_lo
	s_delay_alu instid0(VALU_DEP_1)
	v_lshlrev_b32_e32 v20, 2, v0
	ds_bpermute_b32 v0, v20, v15
	ds_bpermute_b32 v1, v20, v16
	;; [unrolled: 1-line block ×8, first 2 shown]
	s_wait_dscnt 0x6
	v_add_f64_e32 v[0:1], v[15:16], v[0:1]
	s_wait_dscnt 0x4
	v_add_f64_e32 v[4:5], v[17:18], v[4:5]
	;; [unrolled: 2-line block ×3, first 2 shown]
	v_xor_b32_e32 v6, 2, v23
	s_wait_dscnt 0x0
	v_add_f64_e32 v[15:16], v[11:12], v[19:20]
	s_delay_alu instid0(VALU_DEP_2) | instskip(SKIP_2) | instid1(VALU_DEP_1)
	v_cmp_gt_i32_e32 vcc_lo, 32, v6
	s_wait_alu 0xfffd
	v_cndmask_b32_e32 v6, v23, v6, vcc_lo
	v_lshlrev_b32_e32 v11, 2, v6
	ds_bpermute_b32 v6, v11, v0
	ds_bpermute_b32 v7, v11, v1
	;; [unrolled: 1-line block ×8, first 2 shown]
	s_wait_dscnt 0x6
	v_add_f64_e32 v[11:12], v[0:1], v[6:7]
	s_wait_dscnt 0x4
	v_add_f64_e32 v[6:7], v[4:5], v[17:18]
	;; [unrolled: 2-line block ×3, first 2 shown]
	v_xor_b32_e32 v13, 1, v23
	s_wait_dscnt 0x0
	v_add_f64_e32 v[4:5], v[15:16], v[21:22]
	s_delay_alu instid0(VALU_DEP_2) | instskip(SKIP_3) | instid1(VALU_DEP_2)
	v_cmp_gt_i32_e32 vcc_lo, 32, v13
	s_wait_alu 0xfffd
	v_cndmask_b32_e32 v13, v23, v13, vcc_lo
	v_cmp_eq_u32_e32 vcc_lo, 7, v31
	v_lshlrev_b32_e32 v14, 2, v13
	ds_bpermute_b32 v19, v14, v11
	ds_bpermute_b32 v20, v14, v12
	;; [unrolled: 1-line block ×8, first 2 shown]
	s_and_b32 exec_lo, exec_lo, vcc_lo
	s_cbranch_execz .LBB26_10
; %bb.38:
	s_wait_dscnt 0x6
	v_add_f64_e32 v[11:12], v[11:12], v[19:20]
	s_wait_dscnt 0x4
	v_add_f64_e32 v[6:7], v[6:7], v[17:18]
	;; [unrolled: 2-line block ×4, first 2 shown]
	s_load_b64 s[0:1], s[0:1], 0x50
	v_lshlrev_b32_e32 v10, 2, v10
	s_mov_b32 s2, exec_lo
	v_mul_f64_e32 v[4:5], v[2:3], v[11:12]
	v_mul_f64_e32 v[6:7], v[2:3], v[6:7]
	;; [unrolled: 1-line block ×4, first 2 shown]
	v_cmpx_eq_f64_e32 0, v[8:9]
	s_wait_alu 0xfffe
	s_xor_b32 s2, exec_lo, s2
	s_cbranch_execz .LBB26_40
; %bb.39:
	v_ashrrev_i32_e32 v11, 31, v10
	s_delay_alu instid0(VALU_DEP_1) | instskip(SKIP_1) | instid1(VALU_DEP_1)
	v_lshlrev_b64_e32 v[8:9], 3, v[10:11]
                                        ; implicit-def: $vgpr10
	s_wait_kmcnt 0x0
	v_add_co_u32 v8, vcc_lo, s0, v8
	s_wait_alu 0xfffd
	s_delay_alu instid0(VALU_DEP_2)
	v_add_co_ci_u32_e64 v9, null, s1, v9, vcc_lo
	s_clause 0x1
	global_store_b128 v[8:9], v[4:7], off
	global_store_b128 v[8:9], v[0:3], off offset:16
                                        ; implicit-def: $vgpr8_vgpr9
                                        ; implicit-def: $vgpr4_vgpr5
                                        ; implicit-def: $vgpr0_vgpr1
.LBB26_40:
	s_wait_alu 0xfffe
	s_and_not1_saveexec_b32 s2, s2
	s_cbranch_execz .LBB26_10
; %bb.41:
	v_ashrrev_i32_e32 v11, 31, v10
	s_delay_alu instid0(VALU_DEP_1) | instskip(SKIP_1) | instid1(VALU_DEP_1)
	v_lshlrev_b64_e32 v[10:11], 3, v[10:11]
	s_wait_kmcnt 0x0
	v_add_co_u32 v18, vcc_lo, s0, v10
	s_wait_alu 0xfffd
	s_delay_alu instid0(VALU_DEP_2)
	v_add_co_ci_u32_e64 v19, null, s1, v11, vcc_lo
	s_clause 0x1
	global_load_b128 v[10:13], v[18:19], off
	global_load_b128 v[14:17], v[18:19], off offset:16
	s_wait_loadcnt 0x1
	v_fma_f64 v[4:5], v[8:9], v[10:11], v[4:5]
	v_fma_f64 v[6:7], v[8:9], v[12:13], v[6:7]
	s_wait_loadcnt 0x0
	v_fma_f64 v[0:1], v[8:9], v[14:15], v[0:1]
	v_fma_f64 v[2:3], v[8:9], v[16:17], v[2:3]
	s_clause 0x1
	global_store_b128 v[18:19], v[4:7], off
	global_store_b128 v[18:19], v[0:3], off offset:16
	s_nop 0
	s_sendmsg sendmsg(MSG_DEALLOC_VGPRS)
	s_endpgm
	.section	.rodata,"a",@progbits
	.p2align	6, 0x0
	.amdhsa_kernel _ZN9rocsparseL18bsrxmvn_4x4_kernelILj128ELj8EdlidddEEvT3_20rocsparse_direction_NS_24const_host_device_scalarIT1_EES1_PKS1_PKT2_SA_S7_PKT4_PKT5_S5_PT6_21rocsparse_index_base_b
		.amdhsa_group_segment_fixed_size 0
		.amdhsa_private_segment_fixed_size 0
		.amdhsa_kernarg_size 96
		.amdhsa_user_sgpr_count 2
		.amdhsa_user_sgpr_dispatch_ptr 0
		.amdhsa_user_sgpr_queue_ptr 0
		.amdhsa_user_sgpr_kernarg_segment_ptr 1
		.amdhsa_user_sgpr_dispatch_id 0
		.amdhsa_user_sgpr_private_segment_size 0
		.amdhsa_wavefront_size32 1
		.amdhsa_uses_dynamic_stack 0
		.amdhsa_enable_private_segment 0
		.amdhsa_system_sgpr_workgroup_id_x 1
		.amdhsa_system_sgpr_workgroup_id_y 0
		.amdhsa_system_sgpr_workgroup_id_z 0
		.amdhsa_system_sgpr_workgroup_info 0
		.amdhsa_system_vgpr_workitem_id 0
		.amdhsa_next_free_vgpr 147
		.amdhsa_next_free_sgpr 14
		.amdhsa_reserve_vcc 1
		.amdhsa_float_round_mode_32 0
		.amdhsa_float_round_mode_16_64 0
		.amdhsa_float_denorm_mode_32 3
		.amdhsa_float_denorm_mode_16_64 3
		.amdhsa_fp16_overflow 0
		.amdhsa_workgroup_processor_mode 1
		.amdhsa_memory_ordered 1
		.amdhsa_forward_progress 1
		.amdhsa_inst_pref_size 49
		.amdhsa_round_robin_scheduling 0
		.amdhsa_exception_fp_ieee_invalid_op 0
		.amdhsa_exception_fp_denorm_src 0
		.amdhsa_exception_fp_ieee_div_zero 0
		.amdhsa_exception_fp_ieee_overflow 0
		.amdhsa_exception_fp_ieee_underflow 0
		.amdhsa_exception_fp_ieee_inexact 0
		.amdhsa_exception_int_div_zero 0
	.end_amdhsa_kernel
	.section	.text._ZN9rocsparseL18bsrxmvn_4x4_kernelILj128ELj8EdlidddEEvT3_20rocsparse_direction_NS_24const_host_device_scalarIT1_EES1_PKS1_PKT2_SA_S7_PKT4_PKT5_S5_PT6_21rocsparse_index_base_b,"axG",@progbits,_ZN9rocsparseL18bsrxmvn_4x4_kernelILj128ELj8EdlidddEEvT3_20rocsparse_direction_NS_24const_host_device_scalarIT1_EES1_PKS1_PKT2_SA_S7_PKT4_PKT5_S5_PT6_21rocsparse_index_base_b,comdat
.Lfunc_end26:
	.size	_ZN9rocsparseL18bsrxmvn_4x4_kernelILj128ELj8EdlidddEEvT3_20rocsparse_direction_NS_24const_host_device_scalarIT1_EES1_PKS1_PKT2_SA_S7_PKT4_PKT5_S5_PT6_21rocsparse_index_base_b, .Lfunc_end26-_ZN9rocsparseL18bsrxmvn_4x4_kernelILj128ELj8EdlidddEEvT3_20rocsparse_direction_NS_24const_host_device_scalarIT1_EES1_PKS1_PKT2_SA_S7_PKT4_PKT5_S5_PT6_21rocsparse_index_base_b
                                        ; -- End function
	.set _ZN9rocsparseL18bsrxmvn_4x4_kernelILj128ELj8EdlidddEEvT3_20rocsparse_direction_NS_24const_host_device_scalarIT1_EES1_PKS1_PKT2_SA_S7_PKT4_PKT5_S5_PT6_21rocsparse_index_base_b.num_vgpr, 147
	.set _ZN9rocsparseL18bsrxmvn_4x4_kernelILj128ELj8EdlidddEEvT3_20rocsparse_direction_NS_24const_host_device_scalarIT1_EES1_PKS1_PKT2_SA_S7_PKT4_PKT5_S5_PT6_21rocsparse_index_base_b.num_agpr, 0
	.set _ZN9rocsparseL18bsrxmvn_4x4_kernelILj128ELj8EdlidddEEvT3_20rocsparse_direction_NS_24const_host_device_scalarIT1_EES1_PKS1_PKT2_SA_S7_PKT4_PKT5_S5_PT6_21rocsparse_index_base_b.numbered_sgpr, 14
	.set _ZN9rocsparseL18bsrxmvn_4x4_kernelILj128ELj8EdlidddEEvT3_20rocsparse_direction_NS_24const_host_device_scalarIT1_EES1_PKS1_PKT2_SA_S7_PKT4_PKT5_S5_PT6_21rocsparse_index_base_b.num_named_barrier, 0
	.set _ZN9rocsparseL18bsrxmvn_4x4_kernelILj128ELj8EdlidddEEvT3_20rocsparse_direction_NS_24const_host_device_scalarIT1_EES1_PKS1_PKT2_SA_S7_PKT4_PKT5_S5_PT6_21rocsparse_index_base_b.private_seg_size, 0
	.set _ZN9rocsparseL18bsrxmvn_4x4_kernelILj128ELj8EdlidddEEvT3_20rocsparse_direction_NS_24const_host_device_scalarIT1_EES1_PKS1_PKT2_SA_S7_PKT4_PKT5_S5_PT6_21rocsparse_index_base_b.uses_vcc, 1
	.set _ZN9rocsparseL18bsrxmvn_4x4_kernelILj128ELj8EdlidddEEvT3_20rocsparse_direction_NS_24const_host_device_scalarIT1_EES1_PKS1_PKT2_SA_S7_PKT4_PKT5_S5_PT6_21rocsparse_index_base_b.uses_flat_scratch, 0
	.set _ZN9rocsparseL18bsrxmvn_4x4_kernelILj128ELj8EdlidddEEvT3_20rocsparse_direction_NS_24const_host_device_scalarIT1_EES1_PKS1_PKT2_SA_S7_PKT4_PKT5_S5_PT6_21rocsparse_index_base_b.has_dyn_sized_stack, 0
	.set _ZN9rocsparseL18bsrxmvn_4x4_kernelILj128ELj8EdlidddEEvT3_20rocsparse_direction_NS_24const_host_device_scalarIT1_EES1_PKS1_PKT2_SA_S7_PKT4_PKT5_S5_PT6_21rocsparse_index_base_b.has_recursion, 0
	.set _ZN9rocsparseL18bsrxmvn_4x4_kernelILj128ELj8EdlidddEEvT3_20rocsparse_direction_NS_24const_host_device_scalarIT1_EES1_PKS1_PKT2_SA_S7_PKT4_PKT5_S5_PT6_21rocsparse_index_base_b.has_indirect_call, 0
	.section	.AMDGPU.csdata,"",@progbits
; Kernel info:
; codeLenInByte = 6172
; TotalNumSgprs: 16
; NumVgprs: 147
; ScratchSize: 0
; MemoryBound: 1
; FloatMode: 240
; IeeeMode: 1
; LDSByteSize: 0 bytes/workgroup (compile time only)
; SGPRBlocks: 0
; VGPRBlocks: 18
; NumSGPRsForWavesPerEU: 16
; NumVGPRsForWavesPerEU: 147
; Occupancy: 9
; WaveLimiterHint : 1
; COMPUTE_PGM_RSRC2:SCRATCH_EN: 0
; COMPUTE_PGM_RSRC2:USER_SGPR: 2
; COMPUTE_PGM_RSRC2:TRAP_HANDLER: 0
; COMPUTE_PGM_RSRC2:TGID_X_EN: 1
; COMPUTE_PGM_RSRC2:TGID_Y_EN: 0
; COMPUTE_PGM_RSRC2:TGID_Z_EN: 0
; COMPUTE_PGM_RSRC2:TIDIG_COMP_CNT: 0
	.section	.text._ZN9rocsparseL18bsrxmvn_4x4_kernelILj128ELj16EdlidddEEvT3_20rocsparse_direction_NS_24const_host_device_scalarIT1_EES1_PKS1_PKT2_SA_S7_PKT4_PKT5_S5_PT6_21rocsparse_index_base_b,"axG",@progbits,_ZN9rocsparseL18bsrxmvn_4x4_kernelILj128ELj16EdlidddEEvT3_20rocsparse_direction_NS_24const_host_device_scalarIT1_EES1_PKS1_PKT2_SA_S7_PKT4_PKT5_S5_PT6_21rocsparse_index_base_b,comdat
	.globl	_ZN9rocsparseL18bsrxmvn_4x4_kernelILj128ELj16EdlidddEEvT3_20rocsparse_direction_NS_24const_host_device_scalarIT1_EES1_PKS1_PKT2_SA_S7_PKT4_PKT5_S5_PT6_21rocsparse_index_base_b ; -- Begin function _ZN9rocsparseL18bsrxmvn_4x4_kernelILj128ELj16EdlidddEEvT3_20rocsparse_direction_NS_24const_host_device_scalarIT1_EES1_PKS1_PKT2_SA_S7_PKT4_PKT5_S5_PT6_21rocsparse_index_base_b
	.p2align	8
	.type	_ZN9rocsparseL18bsrxmvn_4x4_kernelILj128ELj16EdlidddEEvT3_20rocsparse_direction_NS_24const_host_device_scalarIT1_EES1_PKS1_PKT2_SA_S7_PKT4_PKT5_S5_PT6_21rocsparse_index_base_b,@function
_ZN9rocsparseL18bsrxmvn_4x4_kernelILj128ELj16EdlidddEEvT3_20rocsparse_direction_NS_24const_host_device_scalarIT1_EES1_PKS1_PKT2_SA_S7_PKT4_PKT5_S5_PT6_21rocsparse_index_base_b: ; @_ZN9rocsparseL18bsrxmvn_4x4_kernelILj128ELj16EdlidddEEvT3_20rocsparse_direction_NS_24const_host_device_scalarIT1_EES1_PKS1_PKT2_SA_S7_PKT4_PKT5_S5_PT6_21rocsparse_index_base_b
; %bb.0:
	s_clause 0x2
	s_load_b64 s[12:13], s[0:1], 0x58
	s_load_b64 s[4:5], s[0:1], 0x8
	;; [unrolled: 1-line block ×3, first 2 shown]
	s_wait_kmcnt 0x0
	s_bitcmp1_b32 s13, 0
	v_dual_mov_b32 v2, s4 :: v_dual_mov_b32 v3, s5
	s_cselect_b32 s6, -1, 0
	s_delay_alu instid0(SALU_CYCLE_1)
	s_and_b32 vcc_lo, exec_lo, s6
	s_xor_b32 s6, s6, -1
	s_cbranch_vccnz .LBB27_2
; %bb.1:
	v_dual_mov_b32 v1, s4 :: v_dual_mov_b32 v2, s5
	flat_load_b64 v[2:3], v[1:2]
.LBB27_2:
	v_dual_mov_b32 v9, s3 :: v_dual_mov_b32 v8, s2
	s_and_not1_b32 vcc_lo, exec_lo, s6
	s_cbranch_vccnz .LBB27_4
; %bb.3:
	v_dual_mov_b32 v5, s3 :: v_dual_mov_b32 v4, s2
	flat_load_b64 v[8:9], v[4:5]
.LBB27_4:
	s_wait_loadcnt_dscnt 0x0
	v_cmp_neq_f64_e32 vcc_lo, 0, v[2:3]
	v_cmp_neq_f64_e64 s2, 1.0, v[8:9]
	s_or_b32 s2, vcc_lo, s2
	s_wait_alu 0xfffe
	s_and_saveexec_b32 s3, s2
	s_cbranch_execz .LBB27_10
; %bb.5:
	s_clause 0x1
	s_load_b64 s[4:5], s[0:1], 0x18
	s_load_b64 s[2:3], s[0:1], 0x0
	v_lshrrev_b32_e32 v1, 4, v0
	s_delay_alu instid0(VALU_DEP_1)
	v_lshl_or_b32 v10, ttmp9, 3, v1
	s_wait_kmcnt 0x0
	s_cmp_lg_u64 s[4:5], 0
	s_cbranch_scc0 .LBB27_11
; %bb.6:
	s_load_b32 s6, s[0:1], 0x10
	s_mov_b32 s7, 0
                                        ; implicit-def: $vgpr1
	s_wait_kmcnt 0x0
	v_cmp_gt_i32_e32 vcc_lo, s6, v10
	s_mov_b32 s6, 0
	s_and_saveexec_b32 s8, vcc_lo
	s_delay_alu instid0(SALU_CYCLE_1)
	s_xor_b32 s8, exec_lo, s8
	s_cbranch_execz .LBB27_8
; %bb.7:
	v_ashrrev_i32_e32 v11, 31, v10
	s_mov_b32 s6, exec_lo
	s_delay_alu instid0(VALU_DEP_1) | instskip(NEXT) | instid1(VALU_DEP_1)
	v_lshlrev_b64_e32 v[4:5], 2, v[10:11]
	v_add_co_u32 v4, vcc_lo, s4, v4
	s_delay_alu instid0(VALU_DEP_1)
	v_add_co_ci_u32_e64 v5, null, s5, v5, vcc_lo
	global_load_b32 v1, v[4:5], off
	s_wait_loadcnt 0x0
	v_subrev_nc_u32_e32 v1, s12, v1
.LBB27_8:
	s_or_b32 exec_lo, exec_lo, s8
	s_delay_alu instid0(SALU_CYCLE_1)
	s_and_b32 vcc_lo, exec_lo, s7
	s_wait_alu 0xfffe
	s_cbranch_vccz .LBB27_12
.LBB27_9:
	v_cmp_gt_i32_e32 vcc_lo, s2, v10
	s_and_not1_b32 s2, s6, exec_lo
	s_and_b32 s4, vcc_lo, exec_lo
	s_wait_alu 0xfffe
	s_or_b32 s6, s2, s4
	s_wait_alu 0xfffe
	s_and_b32 exec_lo, exec_lo, s6
	s_cbranch_execnz .LBB27_13
.LBB27_10:
	s_nop 0
	s_sendmsg sendmsg(MSG_DEALLOC_VGPRS)
	s_endpgm
.LBB27_11:
	s_mov_b32 s6, 0
                                        ; implicit-def: $vgpr1
	s_cbranch_execnz .LBB27_9
.LBB27_12:
	v_mov_b32_e32 v10, v1
	s_and_b32 exec_lo, exec_lo, s6
	s_cbranch_execz .LBB27_10
.LBB27_13:
	s_load_b256 s[4:11], s[0:1], 0x20
	s_delay_alu instid0(VALU_DEP_1) | instskip(SKIP_1) | instid1(VALU_DEP_2)
	v_ashrrev_i32_e32 v11, 31, v10
	v_and_b32_e32 v31, 15, v0
	v_lshlrev_b64_e32 v[4:5], 3, v[10:11]
	s_wait_kmcnt 0x0
	s_delay_alu instid0(VALU_DEP_1) | instskip(SKIP_1) | instid1(VALU_DEP_2)
	v_add_co_u32 v6, vcc_lo, s4, v4
	s_wait_alu 0xfffd
	v_add_co_ci_u32_e64 v7, null, s5, v5, vcc_lo
	v_add_co_u32 v1, vcc_lo, s6, v4
	s_wait_alu 0xfffd
	v_add_co_ci_u32_e64 v4, null, s7, v5, vcc_lo
	v_add_co_u32 v11, vcc_lo, v6, 8
	global_load_b64 v[19:20], v[6:7], off
	s_wait_alu 0xfffd
	v_add_co_ci_u32_e64 v5, null, 0, v7, vcc_lo
	s_cmp_eq_u64 s[6:7], 0
	s_load_b64 s[4:5], s[0:1], 0x40
	s_cselect_b32 vcc_lo, -1, 0
	s_cmp_eq_u32 s3, 1
	s_wait_alu 0xfffe
	v_dual_cndmask_b32 v5, v4, v5 :: v_dual_cndmask_b32 v4, v1, v11
	global_load_b64 v[4:5], v[4:5], off
	s_wait_loadcnt 0x1
	v_sub_co_u32 v0, vcc_lo, v19, s12
	s_wait_alu 0xfffd
	v_subrev_co_ci_u32_e64 v1, null, 0, v20, vcc_lo
	s_delay_alu instid0(VALU_DEP_2) | instskip(SKIP_1) | instid1(VALU_DEP_2)
	v_add_co_u32 v0, vcc_lo, v0, v31
	s_wait_alu 0xfffd
	v_add_co_ci_u32_e64 v1, null, 0, v1, vcc_lo
	s_delay_alu instid0(VALU_DEP_1) | instskip(SKIP_4) | instid1(VALU_DEP_3)
	v_lshlrev_b64_e32 v[6:7], 7, v[0:1]
	s_wait_loadcnt 0x0
	v_sub_co_u32 v4, vcc_lo, v4, s12
	s_wait_alu 0xfffd
	v_subrev_co_ci_u32_e64 v5, null, 0, v5, vcc_lo
	v_add_co_u32 v6, vcc_lo, s10, v6
	s_delay_alu instid0(VALU_DEP_2)
	v_cmp_lt_i64_e64 s2, v[0:1], v[4:5]
	s_wait_alu 0xfffd
	v_add_co_ci_u32_e64 v7, null, s11, v7, vcc_lo
	s_cbranch_scc1 .LBB27_25
; %bb.14:
	v_mov_b32_e32 v11, 0
	v_dual_mov_b32 v17, 0 :: v_dual_mov_b32 v12, 0
	v_dual_mov_b32 v13, 0 :: v_dual_mov_b32 v18, 0
	;; [unrolled: 1-line block ×3, first 2 shown]
	v_mov_b32_e32 v16, 0
	s_and_saveexec_b32 s6, s2
	s_cbranch_execz .LBB27_24
; %bb.15:
	v_or_b32_e32 v11, 16, v31
	v_not_b32_e32 v14, v19
	v_not_b32_e32 v13, v20
	v_dual_mov_b32 v24, v1 :: v_dual_mov_b32 v23, v0
	s_delay_alu instid0(VALU_DEP_4) | instskip(SKIP_3) | instid1(VALU_DEP_3)
	v_sub_co_u32 v11, s3, v11, s12
	s_wait_alu 0xf1ff
	v_sub_co_ci_u32_e64 v12, null, 0, 0, s3
	v_sub_co_u32 v15, s3, s12, v31
	v_add_co_u32 v11, vcc_lo, v11, v19
	s_wait_alu 0xfffd
	s_delay_alu instid0(VALU_DEP_3) | instskip(SKIP_3) | instid1(VALU_DEP_3)
	v_add_co_ci_u32_e64 v12, null, v12, v20, vcc_lo
	s_wait_alu 0xf1ff
	v_sub_co_ci_u32_e64 v16, null, 0, 0, s3
	v_mov_b32_e32 v17, 0
	v_cmp_gt_i64_e32 vcc_lo, v[11:12], v[4:5]
	v_mov_b32_e32 v18, 0
	s_wait_alu 0xfffd
	v_dual_cndmask_b32 v12, v5, v12 :: v_dual_cndmask_b32 v11, v4, v11
	v_add_co_u32 v14, vcc_lo, v15, v14
	s_wait_alu 0xfffd
	v_add_co_ci_u32_e64 v13, null, v16, v13, vcc_lo
	v_mov_b32_e32 v15, 0
	s_delay_alu instid0(VALU_DEP_3) | instskip(SKIP_3) | instid1(VALU_DEP_3)
	v_add_co_u32 v25, vcc_lo, v14, v11
	v_mov_b32_e32 v22, 0
	s_wait_alu 0xfffd
	v_add_co_ci_u32_e64 v26, null, v13, v12, vcc_lo
	v_and_b32_e32 v21, 48, v25
	v_dual_mov_b32 v13, 0 :: v_dual_mov_b32 v16, 0
	v_dual_mov_b32 v14, 0 :: v_dual_mov_b32 v11, 0
	s_delay_alu instid0(VALU_DEP_3)
	v_cmp_ne_u64_e32 vcc_lo, 48, v[21:22]
	v_mov_b32_e32 v12, 0
	v_dual_mov_b32 v22, v7 :: v_dual_mov_b32 v21, v6
	s_and_saveexec_b32 s7, vcc_lo
	s_cbranch_execz .LBB27_19
; %bb.16:
	v_lshrrev_b32_e32 v11, 4, v25
	v_lshlrev_b64_e32 v[15:16], 2, v[0:1]
	v_mov_b32_e32 v13, 0
	v_mov_b32_e32 v17, 0
	s_delay_alu instid0(VALU_DEP_4) | instskip(SKIP_3) | instid1(VALU_DEP_4)
	v_dual_mov_b32 v18, 0 :: v_dual_add_nc_u32 v23, 1, v11
	v_dual_mov_b32 v11, 0 :: v_dual_mov_b32 v22, v7
	v_mov_b32_e32 v12, 0
	v_add_co_u32 v27, vcc_lo, s8, v15
	v_and_b32_e32 v23, 3, v23
	s_wait_alu 0xfffd
	v_add_co_ci_u32_e64 v28, null, s9, v16, vcc_lo
	v_mov_b32_e32 v15, 0
	v_dual_mov_b32 v21, v6 :: v_dual_mov_b32 v14, 0
	v_sub_co_u32 v29, s3, 0, v23
	v_mov_b32_e32 v24, v1
	s_wait_alu 0xf1ff
	v_sub_co_ci_u32_e64 v30, null, 0, 0, s3
	v_dual_mov_b32 v16, 0 :: v_dual_mov_b32 v23, v0
	s_mov_b32 s10, 0
.LBB27_17:                              ; =>This Inner Loop Header: Depth=1
	global_load_b32 v60, v[27:28], off
	s_clause 0x6
	global_load_b128 v[32:35], v[21:22], off offset:48
	global_load_b128 v[36:39], v[21:22], off offset:32
	;; [unrolled: 1-line block ×3, first 2 shown]
	global_load_b128 v[44:47], v[21:22], off
	global_load_b128 v[48:51], v[21:22], off offset:112
	global_load_b128 v[52:55], v[21:22], off offset:96
	;; [unrolled: 1-line block ×3, first 2 shown]
	v_add_co_u32 v27, s3, v27, 64
	s_wait_alu 0xf1ff
	v_add_co_ci_u32_e64 v28, null, 0, v28, s3
	s_wait_loadcnt 0x7
	v_subrev_nc_u32_e32 v60, s12, v60
	s_delay_alu instid0(VALU_DEP_1) | instskip(NEXT) | instid1(VALU_DEP_1)
	v_lshlrev_b32_e32 v60, 2, v60
	v_ashrrev_i32_e32 v61, 31, v60
	s_delay_alu instid0(VALU_DEP_1) | instskip(SKIP_1) | instid1(VALU_DEP_1)
	v_lshlrev_b64_e32 v[60:61], 3, v[60:61]
	s_wait_kmcnt 0x0
	v_add_co_u32 v68, vcc_lo, s4, v60
	s_wait_alu 0xfffd
	s_delay_alu instid0(VALU_DEP_2)
	v_add_co_ci_u32_e64 v69, null, s5, v61, vcc_lo
	global_load_b128 v[60:63], v[21:22], off offset:64
	s_clause 0x1
	global_load_b128 v[64:67], v[68:69], off
	global_load_b128 v[68:71], v[68:69], off offset:16
	v_add_co_u32 v21, vcc_lo, 0x800, v21
	s_wait_alu 0xfffd
	v_add_co_ci_u32_e64 v22, null, 0, v22, vcc_lo
	v_add_co_u32 v29, vcc_lo, v29, 1
	s_wait_alu 0xfffd
	v_add_co_ci_u32_e64 v30, null, 0, v30, vcc_lo
	;; [unrolled: 3-line block ×3, first 2 shown]
	s_delay_alu instid0(VALU_DEP_3)
	v_cmp_eq_u64_e32 vcc_lo, 0, v[29:30]
	s_wait_alu 0xfffe
	s_or_b32 s10, vcc_lo, s10
	s_wait_loadcnt 0x1
	v_fma_f64 v[15:16], v[44:45], v[64:65], v[15:16]
	v_fma_f64 v[17:18], v[36:37], v[64:65], v[17:18]
	;; [unrolled: 1-line block ×4, first 2 shown]
	s_delay_alu instid0(VALU_DEP_4) | instskip(NEXT) | instid1(VALU_DEP_4)
	v_fma_f64 v[15:16], v[46:47], v[66:67], v[15:16]
	v_fma_f64 v[17:18], v[38:39], v[66:67], v[17:18]
	s_delay_alu instid0(VALU_DEP_4) | instskip(NEXT) | instid1(VALU_DEP_4)
	v_fma_f64 v[13:14], v[62:63], v[66:67], v[13:14]
	v_fma_f64 v[11:12], v[54:55], v[66:67], v[11:12]
	s_wait_loadcnt 0x0
	s_delay_alu instid0(VALU_DEP_4) | instskip(NEXT) | instid1(VALU_DEP_4)
	v_fma_f64 v[15:16], v[40:41], v[68:69], v[15:16]
	v_fma_f64 v[17:18], v[32:33], v[68:69], v[17:18]
	s_delay_alu instid0(VALU_DEP_4) | instskip(NEXT) | instid1(VALU_DEP_4)
	v_fma_f64 v[13:14], v[56:57], v[68:69], v[13:14]
	v_fma_f64 v[11:12], v[48:49], v[68:69], v[11:12]
	;; [unrolled: 3-line block ×4, first 2 shown]
	s_wait_alu 0xfffe
	s_and_not1_b32 exec_lo, exec_lo, s10
	s_cbranch_execnz .LBB27_17
; %bb.18:
	s_or_b32 exec_lo, exec_lo, s10
.LBB27_19:
	s_wait_alu 0xfffe
	s_or_b32 exec_lo, exec_lo, s7
	s_delay_alu instid0(SALU_CYCLE_1)
	s_mov_b32 s7, exec_lo
	v_cmpx_lt_u64_e32 47, v[25:26]
	s_cbranch_execz .LBB27_23
; %bb.20:
	v_lshlrev_b64_e32 v[25:26], 2, v[23:24]
	s_mov_b32 s10, 0
	s_delay_alu instid0(VALU_DEP_1) | instskip(SKIP_1) | instid1(VALU_DEP_2)
	v_add_co_u32 v25, vcc_lo, s8, v25
	s_wait_alu 0xfffd
	v_add_co_ci_u32_e64 v26, null, s9, v26, vcc_lo
	s_delay_alu instid0(VALU_DEP_2) | instskip(SKIP_1) | instid1(VALU_DEP_2)
	v_add_co_u32 v25, vcc_lo, 0x80, v25
	s_wait_alu 0xfffd
	v_add_co_ci_u32_e64 v26, null, 0, v26, vcc_lo
.LBB27_21:                              ; =>This Inner Loop Header: Depth=1
	s_clause 0x2
	global_load_b32 v56, v[25:26], off offset:-128
	global_load_b32 v96, v[25:26], off offset:-64
	global_load_b32 v136, v[25:26], off
	s_clause 0x6
	global_load_b128 v[27:30], v[21:22], off offset:48
	global_load_b128 v[32:35], v[21:22], off offset:32
	;; [unrolled: 1-line block ×3, first 2 shown]
	global_load_b128 v[40:43], v[21:22], off
	global_load_b128 v[44:47], v[21:22], off offset:112
	global_load_b128 v[48:51], v[21:22], off offset:96
	;; [unrolled: 1-line block ×3, first 2 shown]
	global_load_b32 v146, v[25:26], off offset:64
	v_add_co_u32 v25, s3, 0x100, v25
	s_wait_alu 0xf1ff
	v_add_co_ci_u32_e64 v26, null, 0, v26, s3
	s_wait_loadcnt 0xa
	v_subrev_nc_u32_e32 v56, s12, v56
	s_wait_loadcnt 0x9
	v_subrev_nc_u32_e32 v96, s12, v96
	;; [unrolled: 2-line block ×3, first 2 shown]
	v_lshlrev_b32_e32 v56, 2, v56
	s_delay_alu instid0(VALU_DEP_3) | instskip(NEXT) | instid1(VALU_DEP_3)
	v_lshlrev_b32_e32 v96, 2, v96
	v_lshlrev_b32_e32 v136, 2, v136
	s_delay_alu instid0(VALU_DEP_3) | instskip(NEXT) | instid1(VALU_DEP_3)
	v_ashrrev_i32_e32 v57, 31, v56
	v_ashrrev_i32_e32 v97, 31, v96
	s_delay_alu instid0(VALU_DEP_3) | instskip(NEXT) | instid1(VALU_DEP_3)
	v_ashrrev_i32_e32 v137, 31, v136
	v_lshlrev_b64_e32 v[56:57], 3, v[56:57]
	s_delay_alu instid0(VALU_DEP_3) | instskip(NEXT) | instid1(VALU_DEP_3)
	v_lshlrev_b64_e32 v[96:97], 3, v[96:97]
	v_lshlrev_b64_e32 v[136:137], 3, v[136:137]
	s_wait_kmcnt 0x0
	s_delay_alu instid0(VALU_DEP_3)
	v_add_co_u32 v64, vcc_lo, s4, v56
	s_wait_alu 0xfffd
	v_add_co_ci_u32_e64 v65, null, s5, v57, vcc_lo
	v_add_co_u32 v104, vcc_lo, s4, v96
	global_load_b128 v[56:59], v[21:22], off offset:64
	s_clause 0x1
	global_load_b128 v[60:63], v[64:65], off
	global_load_b128 v[64:67], v[64:65], off offset:16
	s_clause 0x6
	global_load_b128 v[68:71], v[21:22], off offset:2096
	global_load_b128 v[72:75], v[21:22], off offset:2080
	;; [unrolled: 1-line block ×7, first 2 shown]
	s_wait_alu 0xfffd
	v_add_co_ci_u32_e64 v105, null, s5, v97, vcc_lo
	global_load_b128 v[96:99], v[21:22], off offset:2112
	s_clause 0x1
	global_load_b128 v[100:103], v[104:105], off
	global_load_b128 v[104:107], v[104:105], off offset:16
	s_clause 0x6
	global_load_b128 v[108:111], v[21:22], off offset:4144
	global_load_b128 v[112:115], v[21:22], off offset:4128
	global_load_b128 v[116:119], v[21:22], off offset:4112
	global_load_b128 v[120:123], v[21:22], off offset:4096
	global_load_b128 v[124:127], v[21:22], off offset:4208
	global_load_b128 v[128:131], v[21:22], off offset:4192
	global_load_b128 v[132:135], v[21:22], off offset:4176
	v_add_co_u32 v144, vcc_lo, s4, v136
	s_wait_alu 0xfffd
	v_add_co_ci_u32_e64 v145, null, s5, v137, vcc_lo
	global_load_b128 v[136:139], v[21:22], off offset:4160
	global_load_b128 v[140:143], v[144:145], off
	s_wait_loadcnt 0x14
	v_fma_f64 v[15:16], v[40:41], v[60:61], v[15:16]
	v_fma_f64 v[17:18], v[32:33], v[60:61], v[17:18]
	;; [unrolled: 1-line block ×4, first 2 shown]
	v_subrev_nc_u32_e32 v60, s12, v146
	s_delay_alu instid0(VALU_DEP_1) | instskip(NEXT) | instid1(VALU_DEP_1)
	v_lshlrev_b32_e32 v60, 2, v60
	v_ashrrev_i32_e32 v61, 31, v60
	v_fma_f64 v[15:16], v[42:43], v[62:63], v[15:16]
	v_fma_f64 v[17:18], v[34:35], v[62:63], v[17:18]
	;; [unrolled: 1-line block ×4, first 2 shown]
	global_load_b128 v[11:14], v[144:145], off offset:16
	s_wait_loadcnt 0x14
	v_fma_f64 v[36:37], v[36:37], v[64:65], v[15:16]
	v_fma_f64 v[27:28], v[27:28], v[64:65], v[17:18]
	;; [unrolled: 1-line block ×4, first 2 shown]
	s_clause 0x4
	global_load_b128 v[15:18], v[21:22], off offset:6192
	global_load_b128 v[32:35], v[21:22], off offset:6176
	;; [unrolled: 1-line block ×5, first 2 shown]
	v_fma_f64 v[62:63], v[38:39], v[66:67], v[36:37]
	v_fma_f64 v[64:65], v[29:30], v[66:67], v[27:28]
	;; [unrolled: 1-line block ×4, first 2 shown]
	v_lshlrev_b64_e32 v[27:28], 3, v[60:61]
	s_delay_alu instid0(VALU_DEP_1) | instskip(SKIP_1) | instid1(VALU_DEP_2)
	v_add_co_u32 v60, vcc_lo, s4, v27
	s_wait_alu 0xfffd
	v_add_co_ci_u32_e64 v61, null, s5, v28, vcc_lo
	global_load_b128 v[27:30], v[21:22], off offset:6208
	global_load_b128 v[36:39], v[60:61], off
	v_add_co_u32 v23, vcc_lo, v23, 64
	s_wait_alu 0xfffd
	v_add_co_ci_u32_e64 v24, null, 0, v24, vcc_lo
	s_wait_loadcnt 0x12
	v_fma_f64 v[46:47], v[80:81], v[100:101], v[62:63]
	v_fma_f64 v[54:55], v[72:73], v[100:101], v[64:65]
	;; [unrolled: 1-line block ×4, first 2 shown]
	s_delay_alu instid0(VALU_DEP_4) | instskip(NEXT) | instid1(VALU_DEP_4)
	v_fma_f64 v[64:65], v[82:83], v[102:103], v[46:47]
	v_fma_f64 v[66:67], v[74:75], v[102:103], v[54:55]
	s_delay_alu instid0(VALU_DEP_4) | instskip(NEXT) | instid1(VALU_DEP_4)
	v_fma_f64 v[72:73], v[98:99], v[102:103], v[52:53]
	v_fma_f64 v[74:75], v[90:91], v[102:103], v[44:45]
	s_clause 0x1
	global_load_b128 v[44:47], v[21:22], off offset:6256
	global_load_b128 v[52:55], v[21:22], off offset:6224
	global_load_b128 v[60:63], v[60:61], off offset:16
	v_add_co_u32 v21, vcc_lo, 0x2000, v21
	s_wait_alu 0xfffd
	v_add_co_ci_u32_e64 v22, null, 0, v22, vcc_lo
	v_cmp_ge_i64_e32 vcc_lo, v[23:24], v[4:5]
	s_wait_alu 0xfffe
	s_or_b32 s10, vcc_lo, s10
	s_wait_loadcnt 0x14
	v_fma_f64 v[64:65], v[76:77], v[104:105], v[64:65]
	v_fma_f64 v[66:67], v[68:69], v[104:105], v[66:67]
	;; [unrolled: 1-line block ×4, first 2 shown]
	s_delay_alu instid0(VALU_DEP_4) | instskip(NEXT) | instid1(VALU_DEP_4)
	v_fma_f64 v[64:65], v[78:79], v[106:107], v[64:65]
	v_fma_f64 v[66:67], v[70:71], v[106:107], v[66:67]
	s_delay_alu instid0(VALU_DEP_4) | instskip(NEXT) | instid1(VALU_DEP_4)
	v_fma_f64 v[68:69], v[94:95], v[106:107], v[68:69]
	v_fma_f64 v[70:71], v[86:87], v[106:107], v[72:73]
	s_wait_loadcnt 0xb
	s_delay_alu instid0(VALU_DEP_4) | instskip(NEXT) | instid1(VALU_DEP_4)
	v_fma_f64 v[64:65], v[120:121], v[140:141], v[64:65]
	v_fma_f64 v[66:67], v[112:113], v[140:141], v[66:67]
	s_delay_alu instid0(VALU_DEP_4) | instskip(NEXT) | instid1(VALU_DEP_4)
	v_fma_f64 v[68:69], v[136:137], v[140:141], v[68:69]
	v_fma_f64 v[70:71], v[128:129], v[140:141], v[70:71]
	s_delay_alu instid0(VALU_DEP_4) | instskip(NEXT) | instid1(VALU_DEP_4)
	v_fma_f64 v[64:65], v[122:123], v[142:143], v[64:65]
	v_fma_f64 v[66:67], v[114:115], v[142:143], v[66:67]
	s_delay_alu instid0(VALU_DEP_4) | instskip(NEXT) | instid1(VALU_DEP_4)
	v_fma_f64 v[68:69], v[138:139], v[142:143], v[68:69]
	v_fma_f64 v[70:71], v[130:131], v[142:143], v[70:71]
	s_wait_loadcnt 0xa
	s_delay_alu instid0(VALU_DEP_4) | instskip(NEXT) | instid1(VALU_DEP_4)
	v_fma_f64 v[64:65], v[116:117], v[11:12], v[64:65]
	v_fma_f64 v[66:67], v[108:109], v[11:12], v[66:67]
	s_delay_alu instid0(VALU_DEP_4) | instskip(NEXT) | instid1(VALU_DEP_4)
	v_fma_f64 v[68:69], v[132:133], v[11:12], v[68:69]
	v_fma_f64 v[11:12], v[124:125], v[11:12], v[70:71]
	;; [unrolled: 13-line block ×4, first 2 shown]
	s_delay_alu instid0(VALU_DEP_4) | instskip(NEXT) | instid1(VALU_DEP_4)
	v_fma_f64 v[15:16], v[42:43], v[62:63], v[13:14]
	v_fma_f64 v[17:18], v[17:18], v[62:63], v[29:30]
	s_delay_alu instid0(VALU_DEP_4) | instskip(NEXT) | instid1(VALU_DEP_4)
	v_fma_f64 v[13:14], v[54:55], v[62:63], v[27:28]
	v_fma_f64 v[11:12], v[46:47], v[62:63], v[11:12]
	s_wait_alu 0xfffe
	s_and_not1_b32 exec_lo, exec_lo, s10
	s_cbranch_execnz .LBB27_21
; %bb.22:
	s_or_b32 exec_lo, exec_lo, s10
.LBB27_23:
	s_wait_alu 0xfffe
	s_or_b32 exec_lo, exec_lo, s7
.LBB27_24:
	s_wait_alu 0xfffe
	s_or_b32 exec_lo, exec_lo, s6
	s_cbranch_execz .LBB27_26
	s_branch .LBB27_37
.LBB27_25:
                                        ; implicit-def: $vgpr11_vgpr12
                                        ; implicit-def: $vgpr13_vgpr14
                                        ; implicit-def: $vgpr17_vgpr18
                                        ; implicit-def: $vgpr15_vgpr16
.LBB27_26:
	v_mov_b32_e32 v11, 0
	v_dual_mov_b32 v17, 0 :: v_dual_mov_b32 v12, 0
	v_dual_mov_b32 v13, 0 :: v_dual_mov_b32 v18, 0
	;; [unrolled: 1-line block ×3, first 2 shown]
	v_mov_b32_e32 v16, 0
	s_and_saveexec_b32 s3, s2
	s_cbranch_execz .LBB27_36
; %bb.27:
	v_or_b32_e32 v11, 16, v31
	v_not_b32_e32 v14, v19
	v_not_b32_e32 v13, v20
	s_delay_alu instid0(VALU_DEP_3) | instskip(SKIP_3) | instid1(VALU_DEP_3)
	v_sub_co_u32 v11, s2, v11, s12
	s_wait_alu 0xf1ff
	v_sub_co_ci_u32_e64 v12, null, 0, 0, s2
	v_sub_co_u32 v15, s2, s12, v31
	v_add_co_u32 v11, vcc_lo, v11, v19
	s_wait_alu 0xfffd
	s_delay_alu instid0(VALU_DEP_3) | instskip(SKIP_2) | instid1(VALU_DEP_2)
	v_add_co_ci_u32_e64 v12, null, v12, v20, vcc_lo
	s_wait_alu 0xf1ff
	v_sub_co_ci_u32_e64 v16, null, 0, 0, s2
	v_cmp_gt_i64_e32 vcc_lo, v[11:12], v[4:5]
	s_wait_alu 0xfffd
	v_cndmask_b32_e32 v17, v5, v12, vcc_lo
	v_cndmask_b32_e32 v11, v4, v11, vcc_lo
	v_add_co_u32 v12, vcc_lo, v15, v14
	s_wait_alu 0xfffd
	v_add_co_ci_u32_e64 v13, null, v16, v13, vcc_lo
	v_mov_b32_e32 v15, 0
	v_mov_b32_e32 v16, 0
	v_add_co_u32 v19, vcc_lo, v12, v11
	v_mov_b32_e32 v12, 0
	s_wait_alu 0xfffd
	v_add_co_ci_u32_e64 v20, null, v13, v17, vcc_lo
	s_delay_alu instid0(VALU_DEP_3) | instskip(SKIP_3) | instid1(VALU_DEP_4)
	v_and_b32_e32 v11, 48, v19
	v_mov_b32_e32 v17, 0
	v_dual_mov_b32 v18, 0 :: v_dual_mov_b32 v13, 0
	v_mov_b32_e32 v14, 0
	v_cmp_ne_u64_e32 vcc_lo, 48, v[11:12]
	v_mov_b32_e32 v11, 0
	v_mov_b32_e32 v12, 0
	s_and_saveexec_b32 s6, vcc_lo
	s_cbranch_execz .LBB27_31
; %bb.28:
	v_lshrrev_b32_e32 v11, 4, v19
	v_lshlrev_b64_e32 v[21:22], 2, v[0:1]
	v_mov_b32_e32 v13, 0
	v_mov_b32_e32 v17, 0
	;; [unrolled: 1-line block ×3, first 2 shown]
	v_add_nc_u32_e32 v23, 1, v11
	v_dual_mov_b32 v11, 0 :: v_dual_mov_b32 v14, 0
	v_mov_b32_e32 v12, 0
	v_add_co_u32 v21, vcc_lo, s8, v21
	s_delay_alu instid0(VALU_DEP_4) | instskip(SKIP_3) | instid1(VALU_DEP_3)
	v_dual_mov_b32 v18, 0 :: v_dual_and_b32 v23, 3, v23
	v_mov_b32_e32 v16, 0
	s_wait_alu 0xfffd
	v_add_co_ci_u32_e64 v22, null, s9, v22, vcc_lo
	v_sub_co_u32 v23, s2, 0, v23
	s_wait_alu 0xf1ff
	v_sub_co_ci_u32_e64 v24, null, 0, 0, s2
	s_mov_b32 s7, 0
.LBB27_29:                              ; =>This Inner Loop Header: Depth=1
	global_load_b32 v29, v[21:22], off
	global_load_b128 v[25:28], v[6:7], off offset:16
	v_add_co_u32 v21, s2, v21, 64
	s_wait_alu 0xf1ff
	v_add_co_ci_u32_e64 v22, null, 0, v22, s2
	s_wait_loadcnt 0x1
	v_subrev_nc_u32_e32 v29, s12, v29
	s_delay_alu instid0(VALU_DEP_1) | instskip(NEXT) | instid1(VALU_DEP_1)
	v_lshlrev_b32_e32 v29, 2, v29
	v_ashrrev_i32_e32 v30, 31, v29
	s_delay_alu instid0(VALU_DEP_1) | instskip(SKIP_1) | instid1(VALU_DEP_1)
	v_lshlrev_b64_e32 v[29:30], 3, v[29:30]
	s_wait_kmcnt 0x0
	v_add_co_u32 v29, vcc_lo, s4, v29
	s_wait_alu 0xfffd
	s_delay_alu instid0(VALU_DEP_2)
	v_add_co_ci_u32_e64 v30, null, s5, v30, vcc_lo
	global_load_b128 v[32:35], v[6:7], off
	s_clause 0x1
	global_load_b128 v[36:39], v[29:30], off
	global_load_b128 v[40:43], v[29:30], off offset:16
	s_clause 0x5
	global_load_b128 v[44:47], v[6:7], off offset:32
	global_load_b128 v[48:51], v[6:7], off offset:48
	;; [unrolled: 1-line block ×6, first 2 shown]
	v_add_co_u32 v6, vcc_lo, 0x800, v6
	s_wait_alu 0xfffd
	v_add_co_ci_u32_e64 v7, null, 0, v7, vcc_lo
	v_add_co_u32 v23, vcc_lo, v23, 1
	s_wait_alu 0xfffd
	v_add_co_ci_u32_e64 v24, null, 0, v24, vcc_lo
	;; [unrolled: 3-line block ×3, first 2 shown]
	s_delay_alu instid0(VALU_DEP_3)
	v_cmp_eq_u64_e32 vcc_lo, 0, v[23:24]
	s_wait_alu 0xfffe
	s_or_b32 s7, vcc_lo, s7
	s_wait_loadcnt 0x7
	v_fma_f64 v[15:16], v[32:33], v[36:37], v[15:16]
	v_fma_f64 v[17:18], v[34:35], v[36:37], v[17:18]
	;; [unrolled: 1-line block ×4, first 2 shown]
	s_wait_loadcnt 0x5
	s_delay_alu instid0(VALU_DEP_4) | instskip(NEXT) | instid1(VALU_DEP_4)
	v_fma_f64 v[15:16], v[44:45], v[38:39], v[15:16]
	v_fma_f64 v[17:18], v[46:47], v[38:39], v[17:18]
	s_wait_loadcnt 0x4
	s_delay_alu instid0(VALU_DEP_4) | instskip(NEXT) | instid1(VALU_DEP_4)
	v_fma_f64 v[13:14], v[48:49], v[38:39], v[13:14]
	v_fma_f64 v[11:12], v[50:51], v[38:39], v[11:12]
	;; [unrolled: 4-line block ×6, first 2 shown]
	s_wait_alu 0xfffe
	s_and_not1_b32 exec_lo, exec_lo, s7
	s_cbranch_execnz .LBB27_29
; %bb.30:
	s_or_b32 exec_lo, exec_lo, s7
.LBB27_31:
	s_wait_alu 0xfffe
	s_or_b32 exec_lo, exec_lo, s6
	s_delay_alu instid0(SALU_CYCLE_1)
	s_mov_b32 s6, exec_lo
	v_cmpx_lt_u64_e32 47, v[19:20]
	s_cbranch_execz .LBB27_35
; %bb.32:
	v_lshlrev_b64_e32 v[19:20], 2, v[0:1]
	s_mov_b32 s7, 0
	s_delay_alu instid0(VALU_DEP_1) | instskip(SKIP_1) | instid1(VALU_DEP_2)
	v_add_co_u32 v19, vcc_lo, s8, v19
	s_wait_alu 0xfffd
	v_add_co_ci_u32_e64 v20, null, s9, v20, vcc_lo
	s_delay_alu instid0(VALU_DEP_2) | instskip(SKIP_1) | instid1(VALU_DEP_2)
	v_add_co_u32 v19, vcc_lo, 0x80, v19
	s_wait_alu 0xfffd
	v_add_co_ci_u32_e64 v20, null, 0, v20, vcc_lo
.LBB27_33:                              ; =>This Inner Loop Header: Depth=1
	s_clause 0x2
	global_load_b32 v25, v[19:20], off offset:-128
	global_load_b32 v68, v[19:20], off offset:-64
	global_load_b32 v108, v[19:20], off
	global_load_b128 v[21:24], v[6:7], off offset:16
	global_load_b32 v118, v[19:20], off offset:64
	v_add_co_u32 v19, s2, 0x100, v19
	s_wait_alu 0xf1ff
	v_add_co_ci_u32_e64 v20, null, 0, v20, s2
	s_wait_loadcnt 0x4
	v_subrev_nc_u32_e32 v25, s12, v25
	s_delay_alu instid0(VALU_DEP_1) | instskip(NEXT) | instid1(VALU_DEP_1)
	v_lshlrev_b32_e32 v25, 2, v25
	v_ashrrev_i32_e32 v26, 31, v25
	s_delay_alu instid0(VALU_DEP_1) | instskip(SKIP_1) | instid1(VALU_DEP_1)
	v_lshlrev_b64_e32 v[25:26], 3, v[25:26]
	s_wait_kmcnt 0x0
	v_add_co_u32 v29, vcc_lo, s4, v25
	s_wait_alu 0xfffd
	s_delay_alu instid0(VALU_DEP_2)
	v_add_co_ci_u32_e64 v30, null, s5, v26, vcc_lo
	global_load_b128 v[25:28], v[6:7], off
	global_load_b128 v[32:35], v[29:30], off
	s_clause 0x3
	global_load_b128 v[36:39], v[6:7], off offset:32
	global_load_b128 v[40:43], v[6:7], off offset:48
	;; [unrolled: 1-line block ×5, first 2 shown]
	s_clause 0x2
	global_load_b128 v[56:59], v[6:7], off offset:96
	global_load_b128 v[60:63], v[6:7], off offset:112
	;; [unrolled: 1-line block ×3, first 2 shown]
	s_wait_loadcnt 0xd
	v_subrev_nc_u32_e32 v29, s12, v68
	s_delay_alu instid0(VALU_DEP_1) | instskip(NEXT) | instid1(VALU_DEP_1)
	v_lshlrev_b32_e32 v29, 2, v29
	v_ashrrev_i32_e32 v30, 31, v29
	s_delay_alu instid0(VALU_DEP_1) | instskip(NEXT) | instid1(VALU_DEP_1)
	v_lshlrev_b64_e32 v[29:30], 3, v[29:30]
	v_add_co_u32 v29, vcc_lo, s4, v29
	s_wait_alu 0xfffd
	s_delay_alu instid0(VALU_DEP_2)
	v_add_co_ci_u32_e64 v30, null, s5, v30, vcc_lo
	global_load_b128 v[68:71], v[6:7], off offset:2048
	global_load_b128 v[72:75], v[29:30], off
	s_clause 0x3
	global_load_b128 v[76:79], v[6:7], off offset:2080
	global_load_b128 v[80:83], v[6:7], off offset:2096
	;; [unrolled: 1-line block ×5, first 2 shown]
	s_clause 0x2
	global_load_b128 v[96:99], v[6:7], off offset:2144
	global_load_b128 v[100:103], v[6:7], off offset:2160
	;; [unrolled: 1-line block ×3, first 2 shown]
	s_wait_loadcnt 0x16
	v_subrev_nc_u32_e32 v29, s12, v108
	s_delay_alu instid0(VALU_DEP_1) | instskip(NEXT) | instid1(VALU_DEP_1)
	v_lshlrev_b32_e32 v29, 2, v29
	v_ashrrev_i32_e32 v30, 31, v29
	s_delay_alu instid0(VALU_DEP_1) | instskip(NEXT) | instid1(VALU_DEP_1)
	v_lshlrev_b64_e32 v[29:30], 3, v[29:30]
	v_add_co_u32 v29, vcc_lo, s4, v29
	s_wait_alu 0xfffd
	s_delay_alu instid0(VALU_DEP_2)
	v_add_co_ci_u32_e64 v30, null, s5, v30, vcc_lo
	global_load_b128 v[108:111], v[6:7], off offset:4096
	global_load_b128 v[112:115], v[29:30], off
	s_wait_loadcnt 0x14
	v_fma_f64 v[25:26], v[25:26], v[32:33], v[15:16]
	v_fma_f64 v[27:28], v[27:28], v[32:33], v[17:18]
	;; [unrolled: 1-line block ×4, first 2 shown]
	s_clause 0x1
	global_load_b128 v[11:14], v[6:7], off offset:4128
	global_load_b128 v[15:18], v[6:7], off offset:4144
	s_wait_loadcnt 0x15
	v_fma_f64 v[36:37], v[36:37], v[34:35], v[25:26]
	v_fma_f64 v[38:39], v[38:39], v[34:35], v[27:28]
	s_wait_loadcnt 0x14
	v_fma_f64 v[40:41], v[40:41], v[34:35], v[21:22]
	v_fma_f64 v[42:43], v[42:43], v[34:35], v[23:24]
	s_clause 0x1
	global_load_b128 v[21:24], v[6:7], off offset:4160
	global_load_b128 v[25:28], v[6:7], off offset:4176
	global_load_b128 v[32:35], v[29:30], off offset:16
	s_wait_loadcnt 0x14
	v_fma_f64 v[29:30], v[44:45], v[52:53], v[36:37]
	v_fma_f64 v[116:117], v[46:47], v[52:53], v[38:39]
	;; [unrolled: 1-line block ×4, first 2 shown]
	s_clause 0x2
	global_load_b128 v[36:39], v[6:7], off offset:4192
	global_load_b128 v[40:43], v[6:7], off offset:4208
	;; [unrolled: 1-line block ×3, first 2 shown]
	v_subrev_nc_u32_e32 v52, s12, v118
	s_delay_alu instid0(VALU_DEP_1) | instskip(NEXT) | instid1(VALU_DEP_1)
	v_lshlrev_b32_e32 v52, 2, v52
	v_ashrrev_i32_e32 v53, 31, v52
	s_wait_loadcnt 0x16
	v_fma_f64 v[29:30], v[56:57], v[54:55], v[29:30]
	v_fma_f64 v[56:57], v[58:59], v[54:55], v[116:117]
	s_wait_loadcnt 0x15
	v_fma_f64 v[58:59], v[60:61], v[54:55], v[48:49]
	v_fma_f64 v[60:61], v[62:63], v[54:55], v[50:51]
	v_lshlrev_b64_e32 v[48:49], 3, v[52:53]
	s_delay_alu instid0(VALU_DEP_1) | instskip(SKIP_1) | instid1(VALU_DEP_2)
	v_add_co_u32 v116, vcc_lo, s4, v48
	s_wait_alu 0xfffd
	v_add_co_ci_u32_e64 v117, null, s5, v49, vcc_lo
	global_load_b128 v[48:51], v[6:7], off offset:6144
	global_load_b128 v[52:55], v[116:117], off
	v_add_co_u32 v0, vcc_lo, v0, 64
	s_wait_alu 0xfffd
	v_add_co_ci_u32_e64 v1, null, 0, v1, vcc_lo
	s_wait_loadcnt 0x14
	v_fma_f64 v[29:30], v[68:69], v[72:73], v[29:30]
	v_fma_f64 v[68:69], v[70:71], v[72:73], v[56:57]
	;; [unrolled: 1-line block ×4, first 2 shown]
	s_clause 0x1
	global_load_b128 v[56:59], v[6:7], off offset:6176
	global_load_b128 v[60:63], v[6:7], off offset:6192
	s_wait_loadcnt 0x15
	v_fma_f64 v[29:30], v[76:77], v[74:75], v[29:30]
	v_fma_f64 v[76:77], v[78:79], v[74:75], v[68:69]
	s_wait_loadcnt 0x14
	v_fma_f64 v[78:79], v[80:81], v[74:75], v[64:65]
	v_fma_f64 v[80:81], v[82:83], v[74:75], v[66:67]
	s_clause 0x1
	global_load_b128 v[64:67], v[6:7], off offset:6208
	global_load_b128 v[68:71], v[6:7], off offset:6224
	;; [unrolled: 1-line block ×3, first 2 shown]
	s_wait_loadcnt 0x14
	v_fma_f64 v[29:30], v[84:85], v[92:93], v[29:30]
	v_fma_f64 v[84:85], v[86:87], v[92:93], v[76:77]
	v_fma_f64 v[86:87], v[88:89], v[92:93], v[78:79]
	v_fma_f64 v[88:89], v[90:91], v[92:93], v[80:81]
	s_clause 0x1
	global_load_b128 v[76:79], v[6:7], off offset:6240
	global_load_b128 v[80:83], v[6:7], off offset:6256
	v_add_co_u32 v6, vcc_lo, 0x2000, v6
	s_wait_alu 0xfffd
	v_add_co_ci_u32_e64 v7, null, 0, v7, vcc_lo
	v_cmp_ge_i64_e32 vcc_lo, v[0:1], v[4:5]
	s_wait_alu 0xfffe
	s_or_b32 s7, vcc_lo, s7
	s_wait_loadcnt 0x15
	v_fma_f64 v[29:30], v[96:97], v[94:95], v[29:30]
	v_fma_f64 v[84:85], v[98:99], v[94:95], v[84:85]
	s_wait_loadcnt 0x14
	v_fma_f64 v[86:87], v[100:101], v[94:95], v[86:87]
	v_fma_f64 v[88:89], v[102:103], v[94:95], v[88:89]
	s_wait_loadcnt 0x11
	s_delay_alu instid0(VALU_DEP_4) | instskip(NEXT) | instid1(VALU_DEP_4)
	v_fma_f64 v[29:30], v[108:109], v[112:113], v[29:30]
	v_fma_f64 v[84:85], v[110:111], v[112:113], v[84:85]
	s_delay_alu instid0(VALU_DEP_4) | instskip(NEXT) | instid1(VALU_DEP_4)
	v_fma_f64 v[86:87], v[104:105], v[112:113], v[86:87]
	v_fma_f64 v[88:89], v[106:107], v[112:113], v[88:89]
	s_wait_loadcnt 0x10
	s_delay_alu instid0(VALU_DEP_4) | instskip(NEXT) | instid1(VALU_DEP_4)
	v_fma_f64 v[11:12], v[11:12], v[114:115], v[29:30]
	v_fma_f64 v[13:14], v[13:14], v[114:115], v[84:85]
	s_wait_loadcnt 0xf
	s_delay_alu instid0(VALU_DEP_4) | instskip(NEXT) | instid1(VALU_DEP_4)
	v_fma_f64 v[15:16], v[15:16], v[114:115], v[86:87]
	v_fma_f64 v[17:18], v[17:18], v[114:115], v[88:89]
	s_wait_loadcnt 0xc
	s_delay_alu instid0(VALU_DEP_4) | instskip(NEXT) | instid1(VALU_DEP_4)
	v_fma_f64 v[11:12], v[21:22], v[32:33], v[11:12]
	v_fma_f64 v[13:14], v[23:24], v[32:33], v[13:14]
	s_delay_alu instid0(VALU_DEP_4) | instskip(NEXT) | instid1(VALU_DEP_4)
	v_fma_f64 v[15:16], v[25:26], v[32:33], v[15:16]
	v_fma_f64 v[17:18], v[27:28], v[32:33], v[17:18]
	s_wait_loadcnt 0xb
	s_delay_alu instid0(VALU_DEP_4) | instskip(NEXT) | instid1(VALU_DEP_4)
	v_fma_f64 v[11:12], v[36:37], v[34:35], v[11:12]
	v_fma_f64 v[13:14], v[38:39], v[34:35], v[13:14]
	s_wait_loadcnt 0xa
	s_delay_alu instid0(VALU_DEP_4) | instskip(NEXT) | instid1(VALU_DEP_4)
	;; [unrolled: 15-line block ×4, first 2 shown]
	v_fma_f64 v[13:14], v[80:81], v[74:75], v[21:22]
	v_fma_f64 v[11:12], v[82:83], v[74:75], v[23:24]
	s_wait_alu 0xfffe
	s_and_not1_b32 exec_lo, exec_lo, s7
	s_cbranch_execnz .LBB27_33
; %bb.34:
	s_or_b32 exec_lo, exec_lo, s7
.LBB27_35:
	s_wait_alu 0xfffe
	s_or_b32 exec_lo, exec_lo, s6
.LBB27_36:
	s_wait_alu 0xfffe
	s_or_b32 exec_lo, exec_lo, s3
.LBB27_37:
	v_mbcnt_lo_u32_b32 v23, -1, 0
	s_delay_alu instid0(VALU_DEP_1) | instskip(NEXT) | instid1(VALU_DEP_1)
	v_xor_b32_e32 v0, 8, v23
	v_cmp_gt_i32_e32 vcc_lo, 32, v0
	s_wait_alu 0xfffd
	v_cndmask_b32_e32 v0, v23, v0, vcc_lo
	s_delay_alu instid0(VALU_DEP_1)
	v_lshlrev_b32_e32 v20, 2, v0
	ds_bpermute_b32 v6, v20, v13
	ds_bpermute_b32 v7, v20, v14
	s_wait_dscnt 0x0
	v_add_f64_e32 v[6:7], v[13:14], v[6:7]
	v_xor_b32_e32 v13, 4, v23
	s_delay_alu instid0(VALU_DEP_1)
	v_cmp_gt_i32_e32 vcc_lo, 32, v13
	s_wait_alu 0xfffd
	v_cndmask_b32_e32 v13, v23, v13, vcc_lo
	ds_bpermute_b32 v0, v20, v15
	ds_bpermute_b32 v1, v20, v16
	;; [unrolled: 1-line block ×6, first 2 shown]
	s_wait_dscnt 0x4
	v_add_f64_e32 v[0:1], v[15:16], v[0:1]
	s_wait_dscnt 0x2
	v_add_f64_e32 v[4:5], v[17:18], v[4:5]
	s_wait_dscnt 0x0
	v_add_f64_e32 v[11:12], v[11:12], v[19:20]
	v_lshlrev_b32_e32 v20, 2, v13
	ds_bpermute_b32 v17, v20, v6
	ds_bpermute_b32 v18, v20, v7
	;; [unrolled: 1-line block ×8, first 2 shown]
	s_wait_dscnt 0x4
	v_add_f64_e32 v[0:1], v[0:1], v[13:14]
	v_add_f64_e32 v[13:14], v[6:7], v[17:18]
	s_wait_dscnt 0x2
	v_add_f64_e32 v[4:5], v[4:5], v[15:16]
	v_xor_b32_e32 v6, 2, v23
	s_wait_dscnt 0x0
	v_add_f64_e32 v[15:16], v[11:12], v[19:20]
	s_delay_alu instid0(VALU_DEP_2) | instskip(SKIP_2) | instid1(VALU_DEP_1)
	v_cmp_gt_i32_e32 vcc_lo, 32, v6
	s_wait_alu 0xfffd
	v_cndmask_b32_e32 v6, v23, v6, vcc_lo
	v_lshlrev_b32_e32 v11, 2, v6
	ds_bpermute_b32 v6, v11, v0
	ds_bpermute_b32 v7, v11, v1
	ds_bpermute_b32 v17, v11, v4
	ds_bpermute_b32 v18, v11, v5
	ds_bpermute_b32 v19, v11, v13
	ds_bpermute_b32 v20, v11, v14
	ds_bpermute_b32 v21, v11, v15
	ds_bpermute_b32 v22, v11, v16
	s_wait_dscnt 0x6
	v_add_f64_e32 v[11:12], v[0:1], v[6:7]
	s_wait_dscnt 0x4
	v_add_f64_e32 v[6:7], v[4:5], v[17:18]
	;; [unrolled: 2-line block ×3, first 2 shown]
	v_xor_b32_e32 v13, 1, v23
	s_wait_dscnt 0x0
	v_add_f64_e32 v[4:5], v[15:16], v[21:22]
	s_delay_alu instid0(VALU_DEP_2) | instskip(SKIP_3) | instid1(VALU_DEP_2)
	v_cmp_gt_i32_e32 vcc_lo, 32, v13
	s_wait_alu 0xfffd
	v_cndmask_b32_e32 v13, v23, v13, vcc_lo
	v_cmp_eq_u32_e32 vcc_lo, 15, v31
	v_lshlrev_b32_e32 v14, 2, v13
	ds_bpermute_b32 v19, v14, v11
	ds_bpermute_b32 v20, v14, v12
	ds_bpermute_b32 v17, v14, v6
	ds_bpermute_b32 v18, v14, v7
	ds_bpermute_b32 v15, v14, v0
	ds_bpermute_b32 v16, v14, v1
	ds_bpermute_b32 v13, v14, v4
	ds_bpermute_b32 v14, v14, v5
	s_and_b32 exec_lo, exec_lo, vcc_lo
	s_cbranch_execz .LBB27_10
; %bb.38:
	s_wait_dscnt 0x6
	v_add_f64_e32 v[11:12], v[11:12], v[19:20]
	s_wait_dscnt 0x4
	v_add_f64_e32 v[6:7], v[6:7], v[17:18]
	;; [unrolled: 2-line block ×4, first 2 shown]
	s_load_b64 s[0:1], s[0:1], 0x50
	v_lshlrev_b32_e32 v10, 2, v10
	s_mov_b32 s2, exec_lo
	v_mul_f64_e32 v[4:5], v[2:3], v[11:12]
	v_mul_f64_e32 v[6:7], v[2:3], v[6:7]
	;; [unrolled: 1-line block ×4, first 2 shown]
	v_cmpx_eq_f64_e32 0, v[8:9]
	s_wait_alu 0xfffe
	s_xor_b32 s2, exec_lo, s2
	s_cbranch_execz .LBB27_40
; %bb.39:
	v_ashrrev_i32_e32 v11, 31, v10
	s_delay_alu instid0(VALU_DEP_1) | instskip(SKIP_1) | instid1(VALU_DEP_1)
	v_lshlrev_b64_e32 v[8:9], 3, v[10:11]
                                        ; implicit-def: $vgpr10
	s_wait_kmcnt 0x0
	v_add_co_u32 v8, vcc_lo, s0, v8
	s_wait_alu 0xfffd
	s_delay_alu instid0(VALU_DEP_2)
	v_add_co_ci_u32_e64 v9, null, s1, v9, vcc_lo
	s_clause 0x1
	global_store_b128 v[8:9], v[4:7], off
	global_store_b128 v[8:9], v[0:3], off offset:16
                                        ; implicit-def: $vgpr8_vgpr9
                                        ; implicit-def: $vgpr4_vgpr5
                                        ; implicit-def: $vgpr0_vgpr1
.LBB27_40:
	s_wait_alu 0xfffe
	s_and_not1_saveexec_b32 s2, s2
	s_cbranch_execz .LBB27_10
; %bb.41:
	v_ashrrev_i32_e32 v11, 31, v10
	s_delay_alu instid0(VALU_DEP_1) | instskip(SKIP_1) | instid1(VALU_DEP_1)
	v_lshlrev_b64_e32 v[10:11], 3, v[10:11]
	s_wait_kmcnt 0x0
	v_add_co_u32 v18, vcc_lo, s0, v10
	s_wait_alu 0xfffd
	s_delay_alu instid0(VALU_DEP_2)
	v_add_co_ci_u32_e64 v19, null, s1, v11, vcc_lo
	s_clause 0x1
	global_load_b128 v[10:13], v[18:19], off
	global_load_b128 v[14:17], v[18:19], off offset:16
	s_wait_loadcnt 0x1
	v_fma_f64 v[4:5], v[8:9], v[10:11], v[4:5]
	v_fma_f64 v[6:7], v[8:9], v[12:13], v[6:7]
	s_wait_loadcnt 0x0
	v_fma_f64 v[0:1], v[8:9], v[14:15], v[0:1]
	v_fma_f64 v[2:3], v[8:9], v[16:17], v[2:3]
	s_clause 0x1
	global_store_b128 v[18:19], v[4:7], off
	global_store_b128 v[18:19], v[0:3], off offset:16
	s_nop 0
	s_sendmsg sendmsg(MSG_DEALLOC_VGPRS)
	s_endpgm
	.section	.rodata,"a",@progbits
	.p2align	6, 0x0
	.amdhsa_kernel _ZN9rocsparseL18bsrxmvn_4x4_kernelILj128ELj16EdlidddEEvT3_20rocsparse_direction_NS_24const_host_device_scalarIT1_EES1_PKS1_PKT2_SA_S7_PKT4_PKT5_S5_PT6_21rocsparse_index_base_b
		.amdhsa_group_segment_fixed_size 0
		.amdhsa_private_segment_fixed_size 0
		.amdhsa_kernarg_size 96
		.amdhsa_user_sgpr_count 2
		.amdhsa_user_sgpr_dispatch_ptr 0
		.amdhsa_user_sgpr_queue_ptr 0
		.amdhsa_user_sgpr_kernarg_segment_ptr 1
		.amdhsa_user_sgpr_dispatch_id 0
		.amdhsa_user_sgpr_private_segment_size 0
		.amdhsa_wavefront_size32 1
		.amdhsa_uses_dynamic_stack 0
		.amdhsa_enable_private_segment 0
		.amdhsa_system_sgpr_workgroup_id_x 1
		.amdhsa_system_sgpr_workgroup_id_y 0
		.amdhsa_system_sgpr_workgroup_id_z 0
		.amdhsa_system_sgpr_workgroup_info 0
		.amdhsa_system_vgpr_workitem_id 0
		.amdhsa_next_free_vgpr 147
		.amdhsa_next_free_sgpr 14
		.amdhsa_reserve_vcc 1
		.amdhsa_float_round_mode_32 0
		.amdhsa_float_round_mode_16_64 0
		.amdhsa_float_denorm_mode_32 3
		.amdhsa_float_denorm_mode_16_64 3
		.amdhsa_fp16_overflow 0
		.amdhsa_workgroup_processor_mode 1
		.amdhsa_memory_ordered 1
		.amdhsa_forward_progress 1
		.amdhsa_inst_pref_size 50
		.amdhsa_round_robin_scheduling 0
		.amdhsa_exception_fp_ieee_invalid_op 0
		.amdhsa_exception_fp_denorm_src 0
		.amdhsa_exception_fp_ieee_div_zero 0
		.amdhsa_exception_fp_ieee_overflow 0
		.amdhsa_exception_fp_ieee_underflow 0
		.amdhsa_exception_fp_ieee_inexact 0
		.amdhsa_exception_int_div_zero 0
	.end_amdhsa_kernel
	.section	.text._ZN9rocsparseL18bsrxmvn_4x4_kernelILj128ELj16EdlidddEEvT3_20rocsparse_direction_NS_24const_host_device_scalarIT1_EES1_PKS1_PKT2_SA_S7_PKT4_PKT5_S5_PT6_21rocsparse_index_base_b,"axG",@progbits,_ZN9rocsparseL18bsrxmvn_4x4_kernelILj128ELj16EdlidddEEvT3_20rocsparse_direction_NS_24const_host_device_scalarIT1_EES1_PKS1_PKT2_SA_S7_PKT4_PKT5_S5_PT6_21rocsparse_index_base_b,comdat
.Lfunc_end27:
	.size	_ZN9rocsparseL18bsrxmvn_4x4_kernelILj128ELj16EdlidddEEvT3_20rocsparse_direction_NS_24const_host_device_scalarIT1_EES1_PKS1_PKT2_SA_S7_PKT4_PKT5_S5_PT6_21rocsparse_index_base_b, .Lfunc_end27-_ZN9rocsparseL18bsrxmvn_4x4_kernelILj128ELj16EdlidddEEvT3_20rocsparse_direction_NS_24const_host_device_scalarIT1_EES1_PKS1_PKT2_SA_S7_PKT4_PKT5_S5_PT6_21rocsparse_index_base_b
                                        ; -- End function
	.set _ZN9rocsparseL18bsrxmvn_4x4_kernelILj128ELj16EdlidddEEvT3_20rocsparse_direction_NS_24const_host_device_scalarIT1_EES1_PKS1_PKT2_SA_S7_PKT4_PKT5_S5_PT6_21rocsparse_index_base_b.num_vgpr, 147
	.set _ZN9rocsparseL18bsrxmvn_4x4_kernelILj128ELj16EdlidddEEvT3_20rocsparse_direction_NS_24const_host_device_scalarIT1_EES1_PKS1_PKT2_SA_S7_PKT4_PKT5_S5_PT6_21rocsparse_index_base_b.num_agpr, 0
	.set _ZN9rocsparseL18bsrxmvn_4x4_kernelILj128ELj16EdlidddEEvT3_20rocsparse_direction_NS_24const_host_device_scalarIT1_EES1_PKS1_PKT2_SA_S7_PKT4_PKT5_S5_PT6_21rocsparse_index_base_b.numbered_sgpr, 14
	.set _ZN9rocsparseL18bsrxmvn_4x4_kernelILj128ELj16EdlidddEEvT3_20rocsparse_direction_NS_24const_host_device_scalarIT1_EES1_PKS1_PKT2_SA_S7_PKT4_PKT5_S5_PT6_21rocsparse_index_base_b.num_named_barrier, 0
	.set _ZN9rocsparseL18bsrxmvn_4x4_kernelILj128ELj16EdlidddEEvT3_20rocsparse_direction_NS_24const_host_device_scalarIT1_EES1_PKS1_PKT2_SA_S7_PKT4_PKT5_S5_PT6_21rocsparse_index_base_b.private_seg_size, 0
	.set _ZN9rocsparseL18bsrxmvn_4x4_kernelILj128ELj16EdlidddEEvT3_20rocsparse_direction_NS_24const_host_device_scalarIT1_EES1_PKS1_PKT2_SA_S7_PKT4_PKT5_S5_PT6_21rocsparse_index_base_b.uses_vcc, 1
	.set _ZN9rocsparseL18bsrxmvn_4x4_kernelILj128ELj16EdlidddEEvT3_20rocsparse_direction_NS_24const_host_device_scalarIT1_EES1_PKS1_PKT2_SA_S7_PKT4_PKT5_S5_PT6_21rocsparse_index_base_b.uses_flat_scratch, 0
	.set _ZN9rocsparseL18bsrxmvn_4x4_kernelILj128ELj16EdlidddEEvT3_20rocsparse_direction_NS_24const_host_device_scalarIT1_EES1_PKS1_PKT2_SA_S7_PKT4_PKT5_S5_PT6_21rocsparse_index_base_b.has_dyn_sized_stack, 0
	.set _ZN9rocsparseL18bsrxmvn_4x4_kernelILj128ELj16EdlidddEEvT3_20rocsparse_direction_NS_24const_host_device_scalarIT1_EES1_PKS1_PKT2_SA_S7_PKT4_PKT5_S5_PT6_21rocsparse_index_base_b.has_recursion, 0
	.set _ZN9rocsparseL18bsrxmvn_4x4_kernelILj128ELj16EdlidddEEvT3_20rocsparse_direction_NS_24const_host_device_scalarIT1_EES1_PKS1_PKT2_SA_S7_PKT4_PKT5_S5_PT6_21rocsparse_index_base_b.has_indirect_call, 0
	.section	.AMDGPU.csdata,"",@progbits
; Kernel info:
; codeLenInByte = 6296
; TotalNumSgprs: 16
; NumVgprs: 147
; ScratchSize: 0
; MemoryBound: 1
; FloatMode: 240
; IeeeMode: 1
; LDSByteSize: 0 bytes/workgroup (compile time only)
; SGPRBlocks: 0
; VGPRBlocks: 18
; NumSGPRsForWavesPerEU: 16
; NumVGPRsForWavesPerEU: 147
; Occupancy: 9
; WaveLimiterHint : 1
; COMPUTE_PGM_RSRC2:SCRATCH_EN: 0
; COMPUTE_PGM_RSRC2:USER_SGPR: 2
; COMPUTE_PGM_RSRC2:TRAP_HANDLER: 0
; COMPUTE_PGM_RSRC2:TGID_X_EN: 1
; COMPUTE_PGM_RSRC2:TGID_Y_EN: 0
; COMPUTE_PGM_RSRC2:TGID_Z_EN: 0
; COMPUTE_PGM_RSRC2:TIDIG_COMP_CNT: 0
	.section	.text._ZN9rocsparseL18bsrxmvn_4x4_kernelILj128ELj32EdlidddEEvT3_20rocsparse_direction_NS_24const_host_device_scalarIT1_EES1_PKS1_PKT2_SA_S7_PKT4_PKT5_S5_PT6_21rocsparse_index_base_b,"axG",@progbits,_ZN9rocsparseL18bsrxmvn_4x4_kernelILj128ELj32EdlidddEEvT3_20rocsparse_direction_NS_24const_host_device_scalarIT1_EES1_PKS1_PKT2_SA_S7_PKT4_PKT5_S5_PT6_21rocsparse_index_base_b,comdat
	.globl	_ZN9rocsparseL18bsrxmvn_4x4_kernelILj128ELj32EdlidddEEvT3_20rocsparse_direction_NS_24const_host_device_scalarIT1_EES1_PKS1_PKT2_SA_S7_PKT4_PKT5_S5_PT6_21rocsparse_index_base_b ; -- Begin function _ZN9rocsparseL18bsrxmvn_4x4_kernelILj128ELj32EdlidddEEvT3_20rocsparse_direction_NS_24const_host_device_scalarIT1_EES1_PKS1_PKT2_SA_S7_PKT4_PKT5_S5_PT6_21rocsparse_index_base_b
	.p2align	8
	.type	_ZN9rocsparseL18bsrxmvn_4x4_kernelILj128ELj32EdlidddEEvT3_20rocsparse_direction_NS_24const_host_device_scalarIT1_EES1_PKS1_PKT2_SA_S7_PKT4_PKT5_S5_PT6_21rocsparse_index_base_b,@function
_ZN9rocsparseL18bsrxmvn_4x4_kernelILj128ELj32EdlidddEEvT3_20rocsparse_direction_NS_24const_host_device_scalarIT1_EES1_PKS1_PKT2_SA_S7_PKT4_PKT5_S5_PT6_21rocsparse_index_base_b: ; @_ZN9rocsparseL18bsrxmvn_4x4_kernelILj128ELj32EdlidddEEvT3_20rocsparse_direction_NS_24const_host_device_scalarIT1_EES1_PKS1_PKT2_SA_S7_PKT4_PKT5_S5_PT6_21rocsparse_index_base_b
; %bb.0:
	s_clause 0x2
	s_load_b64 s[12:13], s[0:1], 0x58
	s_load_b64 s[4:5], s[0:1], 0x8
	;; [unrolled: 1-line block ×3, first 2 shown]
	s_wait_kmcnt 0x0
	s_bitcmp1_b32 s13, 0
	v_dual_mov_b32 v2, s4 :: v_dual_mov_b32 v3, s5
	s_cselect_b32 s6, -1, 0
	s_delay_alu instid0(SALU_CYCLE_1)
	s_and_b32 vcc_lo, exec_lo, s6
	s_xor_b32 s6, s6, -1
	s_cbranch_vccnz .LBB28_2
; %bb.1:
	v_dual_mov_b32 v1, s4 :: v_dual_mov_b32 v2, s5
	flat_load_b64 v[2:3], v[1:2]
.LBB28_2:
	v_dual_mov_b32 v9, s3 :: v_dual_mov_b32 v8, s2
	s_and_not1_b32 vcc_lo, exec_lo, s6
	s_cbranch_vccnz .LBB28_4
; %bb.3:
	v_dual_mov_b32 v5, s3 :: v_dual_mov_b32 v4, s2
	flat_load_b64 v[8:9], v[4:5]
.LBB28_4:
	s_wait_loadcnt_dscnt 0x0
	v_cmp_neq_f64_e32 vcc_lo, 0, v[2:3]
	v_cmp_neq_f64_e64 s2, 1.0, v[8:9]
	s_or_b32 s2, vcc_lo, s2
	s_wait_alu 0xfffe
	s_and_saveexec_b32 s3, s2
	s_cbranch_execz .LBB28_10
; %bb.5:
	s_clause 0x1
	s_load_b64 s[4:5], s[0:1], 0x18
	s_load_b64 s[2:3], s[0:1], 0x0
	v_lshrrev_b32_e32 v1, 5, v0
	s_delay_alu instid0(VALU_DEP_1)
	v_lshl_or_b32 v10, ttmp9, 2, v1
	s_wait_kmcnt 0x0
	s_cmp_lg_u64 s[4:5], 0
	s_cbranch_scc0 .LBB28_11
; %bb.6:
	s_load_b32 s6, s[0:1], 0x10
	s_mov_b32 s7, 0
                                        ; implicit-def: $vgpr1
	s_wait_kmcnt 0x0
	v_cmp_gt_i32_e32 vcc_lo, s6, v10
	s_mov_b32 s6, 0
	s_and_saveexec_b32 s8, vcc_lo
	s_delay_alu instid0(SALU_CYCLE_1)
	s_xor_b32 s8, exec_lo, s8
	s_cbranch_execz .LBB28_8
; %bb.7:
	v_ashrrev_i32_e32 v11, 31, v10
	s_mov_b32 s6, exec_lo
	s_delay_alu instid0(VALU_DEP_1) | instskip(NEXT) | instid1(VALU_DEP_1)
	v_lshlrev_b64_e32 v[4:5], 2, v[10:11]
	v_add_co_u32 v4, vcc_lo, s4, v4
	s_delay_alu instid0(VALU_DEP_1)
	v_add_co_ci_u32_e64 v5, null, s5, v5, vcc_lo
	global_load_b32 v1, v[4:5], off
	s_wait_loadcnt 0x0
	v_subrev_nc_u32_e32 v1, s12, v1
.LBB28_8:
	s_or_b32 exec_lo, exec_lo, s8
	s_delay_alu instid0(SALU_CYCLE_1)
	s_and_b32 vcc_lo, exec_lo, s7
	s_wait_alu 0xfffe
	s_cbranch_vccz .LBB28_12
.LBB28_9:
	v_cmp_gt_i32_e32 vcc_lo, s2, v10
	s_and_not1_b32 s2, s6, exec_lo
	s_and_b32 s4, vcc_lo, exec_lo
	s_wait_alu 0xfffe
	s_or_b32 s6, s2, s4
	s_wait_alu 0xfffe
	s_and_b32 exec_lo, exec_lo, s6
	s_cbranch_execnz .LBB28_13
.LBB28_10:
	s_nop 0
	s_sendmsg sendmsg(MSG_DEALLOC_VGPRS)
	s_endpgm
.LBB28_11:
	s_mov_b32 s6, 0
                                        ; implicit-def: $vgpr1
	s_cbranch_execnz .LBB28_9
.LBB28_12:
	v_mov_b32_e32 v10, v1
	s_and_b32 exec_lo, exec_lo, s6
	s_cbranch_execz .LBB28_10
.LBB28_13:
	s_load_b256 s[4:11], s[0:1], 0x20
	s_delay_alu instid0(VALU_DEP_1) | instskip(SKIP_1) | instid1(VALU_DEP_2)
	v_ashrrev_i32_e32 v11, 31, v10
	v_and_b32_e32 v31, 31, v0
	v_lshlrev_b64_e32 v[4:5], 3, v[10:11]
	s_wait_kmcnt 0x0
	s_delay_alu instid0(VALU_DEP_1) | instskip(SKIP_1) | instid1(VALU_DEP_2)
	v_add_co_u32 v6, vcc_lo, s4, v4
	s_wait_alu 0xfffd
	v_add_co_ci_u32_e64 v7, null, s5, v5, vcc_lo
	v_add_co_u32 v1, vcc_lo, s6, v4
	s_wait_alu 0xfffd
	v_add_co_ci_u32_e64 v4, null, s7, v5, vcc_lo
	v_add_co_u32 v11, vcc_lo, v6, 8
	global_load_b64 v[19:20], v[6:7], off
	s_wait_alu 0xfffd
	v_add_co_ci_u32_e64 v5, null, 0, v7, vcc_lo
	s_cmp_eq_u64 s[6:7], 0
	s_load_b64 s[4:5], s[0:1], 0x40
	s_cselect_b32 vcc_lo, -1, 0
	s_cmp_eq_u32 s3, 1
	s_wait_alu 0xfffe
	v_dual_cndmask_b32 v5, v4, v5 :: v_dual_cndmask_b32 v4, v1, v11
	global_load_b64 v[4:5], v[4:5], off
	s_wait_loadcnt 0x1
	v_sub_co_u32 v0, vcc_lo, v19, s12
	s_wait_alu 0xfffd
	v_subrev_co_ci_u32_e64 v1, null, 0, v20, vcc_lo
	s_delay_alu instid0(VALU_DEP_2) | instskip(SKIP_1) | instid1(VALU_DEP_2)
	v_add_co_u32 v0, vcc_lo, v0, v31
	s_wait_alu 0xfffd
	v_add_co_ci_u32_e64 v1, null, 0, v1, vcc_lo
	s_delay_alu instid0(VALU_DEP_1) | instskip(SKIP_4) | instid1(VALU_DEP_3)
	v_lshlrev_b64_e32 v[6:7], 7, v[0:1]
	s_wait_loadcnt 0x0
	v_sub_co_u32 v4, vcc_lo, v4, s12
	s_wait_alu 0xfffd
	v_subrev_co_ci_u32_e64 v5, null, 0, v5, vcc_lo
	v_add_co_u32 v6, vcc_lo, s10, v6
	s_delay_alu instid0(VALU_DEP_2)
	v_cmp_lt_i64_e64 s2, v[0:1], v[4:5]
	s_wait_alu 0xfffd
	v_add_co_ci_u32_e64 v7, null, s11, v7, vcc_lo
	s_cbranch_scc1 .LBB28_25
; %bb.14:
	v_mov_b32_e32 v11, 0
	v_dual_mov_b32 v17, 0 :: v_dual_mov_b32 v12, 0
	v_dual_mov_b32 v13, 0 :: v_dual_mov_b32 v18, 0
	;; [unrolled: 1-line block ×3, first 2 shown]
	v_mov_b32_e32 v16, 0
	s_and_saveexec_b32 s6, s2
	s_cbranch_execz .LBB28_24
; %bb.15:
	v_or_b32_e32 v11, 32, v31
	v_not_b32_e32 v14, v19
	v_not_b32_e32 v13, v20
	v_dual_mov_b32 v24, v1 :: v_dual_mov_b32 v23, v0
	s_delay_alu instid0(VALU_DEP_4) | instskip(SKIP_3) | instid1(VALU_DEP_3)
	v_sub_co_u32 v11, s3, v11, s12
	s_wait_alu 0xf1ff
	v_sub_co_ci_u32_e64 v12, null, 0, 0, s3
	v_sub_co_u32 v15, s3, s12, v31
	v_add_co_u32 v11, vcc_lo, v11, v19
	s_wait_alu 0xfffd
	s_delay_alu instid0(VALU_DEP_3) | instskip(SKIP_3) | instid1(VALU_DEP_3)
	v_add_co_ci_u32_e64 v12, null, v12, v20, vcc_lo
	s_wait_alu 0xf1ff
	v_sub_co_ci_u32_e64 v16, null, 0, 0, s3
	v_mov_b32_e32 v17, 0
	v_cmp_gt_i64_e32 vcc_lo, v[11:12], v[4:5]
	v_mov_b32_e32 v18, 0
	s_wait_alu 0xfffd
	v_dual_cndmask_b32 v12, v5, v12 :: v_dual_cndmask_b32 v11, v4, v11
	v_add_co_u32 v14, vcc_lo, v15, v14
	s_wait_alu 0xfffd
	v_add_co_ci_u32_e64 v13, null, v16, v13, vcc_lo
	v_mov_b32_e32 v15, 0
	s_delay_alu instid0(VALU_DEP_3) | instskip(SKIP_3) | instid1(VALU_DEP_3)
	v_add_co_u32 v25, vcc_lo, v14, v11
	v_mov_b32_e32 v22, 0
	s_wait_alu 0xfffd
	v_add_co_ci_u32_e64 v26, null, v13, v12, vcc_lo
	v_and_b32_e32 v21, 0x60, v25
	v_dual_mov_b32 v13, 0 :: v_dual_mov_b32 v16, 0
	v_dual_mov_b32 v14, 0 :: v_dual_mov_b32 v11, 0
	s_delay_alu instid0(VALU_DEP_3)
	v_cmp_ne_u64_e32 vcc_lo, 0x60, v[21:22]
	v_mov_b32_e32 v12, 0
	v_dual_mov_b32 v22, v7 :: v_dual_mov_b32 v21, v6
	s_and_saveexec_b32 s7, vcc_lo
	s_cbranch_execz .LBB28_19
; %bb.16:
	v_lshrrev_b32_e32 v11, 5, v25
	v_lshlrev_b64_e32 v[15:16], 2, v[0:1]
	v_mov_b32_e32 v13, 0
	v_mov_b32_e32 v17, 0
	s_delay_alu instid0(VALU_DEP_4) | instskip(SKIP_3) | instid1(VALU_DEP_4)
	v_dual_mov_b32 v18, 0 :: v_dual_add_nc_u32 v23, 1, v11
	v_dual_mov_b32 v11, 0 :: v_dual_mov_b32 v22, v7
	v_mov_b32_e32 v12, 0
	v_add_co_u32 v27, vcc_lo, s8, v15
	v_and_b32_e32 v23, 3, v23
	s_wait_alu 0xfffd
	v_add_co_ci_u32_e64 v28, null, s9, v16, vcc_lo
	v_mov_b32_e32 v15, 0
	v_dual_mov_b32 v21, v6 :: v_dual_mov_b32 v14, 0
	v_sub_co_u32 v29, s3, 0, v23
	v_mov_b32_e32 v24, v1
	s_wait_alu 0xf1ff
	v_sub_co_ci_u32_e64 v30, null, 0, 0, s3
	v_dual_mov_b32 v16, 0 :: v_dual_mov_b32 v23, v0
	s_mov_b32 s10, 0
.LBB28_17:                              ; =>This Inner Loop Header: Depth=1
	global_load_b32 v60, v[27:28], off
	s_clause 0x6
	global_load_b128 v[32:35], v[21:22], off offset:48
	global_load_b128 v[36:39], v[21:22], off offset:32
	;; [unrolled: 1-line block ×3, first 2 shown]
	global_load_b128 v[44:47], v[21:22], off
	global_load_b128 v[48:51], v[21:22], off offset:112
	global_load_b128 v[52:55], v[21:22], off offset:96
	;; [unrolled: 1-line block ×3, first 2 shown]
	v_add_co_u32 v27, s3, 0x80, v27
	s_wait_alu 0xf1ff
	v_add_co_ci_u32_e64 v28, null, 0, v28, s3
	s_wait_loadcnt 0x7
	v_subrev_nc_u32_e32 v60, s12, v60
	s_delay_alu instid0(VALU_DEP_1) | instskip(NEXT) | instid1(VALU_DEP_1)
	v_lshlrev_b32_e32 v60, 2, v60
	v_ashrrev_i32_e32 v61, 31, v60
	s_delay_alu instid0(VALU_DEP_1) | instskip(SKIP_1) | instid1(VALU_DEP_1)
	v_lshlrev_b64_e32 v[60:61], 3, v[60:61]
	s_wait_kmcnt 0x0
	v_add_co_u32 v68, vcc_lo, s4, v60
	s_wait_alu 0xfffd
	s_delay_alu instid0(VALU_DEP_2)
	v_add_co_ci_u32_e64 v69, null, s5, v61, vcc_lo
	global_load_b128 v[60:63], v[21:22], off offset:64
	s_clause 0x1
	global_load_b128 v[64:67], v[68:69], off
	global_load_b128 v[68:71], v[68:69], off offset:16
	v_add_co_u32 v21, vcc_lo, 0x1000, v21
	s_wait_alu 0xfffd
	v_add_co_ci_u32_e64 v22, null, 0, v22, vcc_lo
	v_add_co_u32 v29, vcc_lo, v29, 1
	s_wait_alu 0xfffd
	v_add_co_ci_u32_e64 v30, null, 0, v30, vcc_lo
	;; [unrolled: 3-line block ×3, first 2 shown]
	s_delay_alu instid0(VALU_DEP_3)
	v_cmp_eq_u64_e32 vcc_lo, 0, v[29:30]
	s_wait_alu 0xfffe
	s_or_b32 s10, vcc_lo, s10
	s_wait_loadcnt 0x1
	v_fma_f64 v[15:16], v[44:45], v[64:65], v[15:16]
	v_fma_f64 v[17:18], v[36:37], v[64:65], v[17:18]
	v_fma_f64 v[13:14], v[60:61], v[64:65], v[13:14]
	v_fma_f64 v[11:12], v[52:53], v[64:65], v[11:12]
	s_delay_alu instid0(VALU_DEP_4) | instskip(NEXT) | instid1(VALU_DEP_4)
	v_fma_f64 v[15:16], v[46:47], v[66:67], v[15:16]
	v_fma_f64 v[17:18], v[38:39], v[66:67], v[17:18]
	s_delay_alu instid0(VALU_DEP_4) | instskip(NEXT) | instid1(VALU_DEP_4)
	v_fma_f64 v[13:14], v[62:63], v[66:67], v[13:14]
	v_fma_f64 v[11:12], v[54:55], v[66:67], v[11:12]
	s_wait_loadcnt 0x0
	s_delay_alu instid0(VALU_DEP_4) | instskip(NEXT) | instid1(VALU_DEP_4)
	v_fma_f64 v[15:16], v[40:41], v[68:69], v[15:16]
	v_fma_f64 v[17:18], v[32:33], v[68:69], v[17:18]
	s_delay_alu instid0(VALU_DEP_4) | instskip(NEXT) | instid1(VALU_DEP_4)
	v_fma_f64 v[13:14], v[56:57], v[68:69], v[13:14]
	v_fma_f64 v[11:12], v[48:49], v[68:69], v[11:12]
	;; [unrolled: 3-line block ×4, first 2 shown]
	s_wait_alu 0xfffe
	s_and_not1_b32 exec_lo, exec_lo, s10
	s_cbranch_execnz .LBB28_17
; %bb.18:
	s_or_b32 exec_lo, exec_lo, s10
.LBB28_19:
	s_wait_alu 0xfffe
	s_or_b32 exec_lo, exec_lo, s7
	s_delay_alu instid0(SALU_CYCLE_1)
	s_mov_b32 s7, exec_lo
	v_cmpx_lt_u64_e32 0x5f, v[25:26]
	s_cbranch_execz .LBB28_23
; %bb.20:
	v_lshlrev_b64_e32 v[25:26], 2, v[23:24]
	s_mov_b32 s10, 0
	s_delay_alu instid0(VALU_DEP_1) | instskip(SKIP_1) | instid1(VALU_DEP_2)
	v_add_co_u32 v25, vcc_lo, s8, v25
	s_wait_alu 0xfffd
	v_add_co_ci_u32_e64 v26, null, s9, v26, vcc_lo
	s_delay_alu instid0(VALU_DEP_2) | instskip(SKIP_1) | instid1(VALU_DEP_2)
	v_add_co_u32 v25, vcc_lo, 0x100, v25
	s_wait_alu 0xfffd
	v_add_co_ci_u32_e64 v26, null, 0, v26, vcc_lo
.LBB28_21:                              ; =>This Inner Loop Header: Depth=1
	s_clause 0x2
	global_load_b32 v56, v[25:26], off offset:-256
	global_load_b32 v96, v[25:26], off offset:-128
	global_load_b32 v136, v[25:26], off
	s_clause 0x6
	global_load_b128 v[27:30], v[21:22], off offset:48
	global_load_b128 v[32:35], v[21:22], off offset:32
	;; [unrolled: 1-line block ×3, first 2 shown]
	global_load_b128 v[40:43], v[21:22], off
	global_load_b128 v[44:47], v[21:22], off offset:112
	global_load_b128 v[48:51], v[21:22], off offset:96
	global_load_b128 v[52:55], v[21:22], off offset:80
	global_load_b32 v146, v[25:26], off offset:128
	v_add_co_u32 v25, s3, 0x200, v25
	s_wait_alu 0xf1ff
	v_add_co_ci_u32_e64 v26, null, 0, v26, s3
	s_wait_loadcnt 0xa
	v_subrev_nc_u32_e32 v56, s12, v56
	s_wait_loadcnt 0x9
	v_subrev_nc_u32_e32 v96, s12, v96
	;; [unrolled: 2-line block ×3, first 2 shown]
	v_lshlrev_b32_e32 v56, 2, v56
	s_delay_alu instid0(VALU_DEP_3) | instskip(NEXT) | instid1(VALU_DEP_3)
	v_lshlrev_b32_e32 v96, 2, v96
	v_lshlrev_b32_e32 v136, 2, v136
	s_delay_alu instid0(VALU_DEP_3) | instskip(NEXT) | instid1(VALU_DEP_3)
	v_ashrrev_i32_e32 v57, 31, v56
	v_ashrrev_i32_e32 v97, 31, v96
	s_delay_alu instid0(VALU_DEP_3) | instskip(NEXT) | instid1(VALU_DEP_3)
	v_ashrrev_i32_e32 v137, 31, v136
	v_lshlrev_b64_e32 v[56:57], 3, v[56:57]
	s_delay_alu instid0(VALU_DEP_3) | instskip(NEXT) | instid1(VALU_DEP_3)
	v_lshlrev_b64_e32 v[96:97], 3, v[96:97]
	v_lshlrev_b64_e32 v[136:137], 3, v[136:137]
	s_wait_kmcnt 0x0
	s_delay_alu instid0(VALU_DEP_3)
	v_add_co_u32 v64, vcc_lo, s4, v56
	s_wait_alu 0xfffd
	v_add_co_ci_u32_e64 v65, null, s5, v57, vcc_lo
	v_add_co_u32 v104, vcc_lo, s4, v96
	global_load_b128 v[56:59], v[21:22], off offset:64
	s_clause 0x1
	global_load_b128 v[60:63], v[64:65], off
	global_load_b128 v[64:67], v[64:65], off offset:16
	s_clause 0x6
	global_load_b128 v[68:71], v[21:22], off offset:4144
	global_load_b128 v[72:75], v[21:22], off offset:4128
	;; [unrolled: 1-line block ×7, first 2 shown]
	s_wait_alu 0xfffd
	v_add_co_ci_u32_e64 v105, null, s5, v97, vcc_lo
	global_load_b128 v[96:99], v[21:22], off offset:4160
	s_clause 0x1
	global_load_b128 v[100:103], v[104:105], off
	global_load_b128 v[104:107], v[104:105], off offset:16
	s_clause 0x6
	global_load_b128 v[108:111], v[21:22], off offset:8240
	global_load_b128 v[112:115], v[21:22], off offset:8224
	;; [unrolled: 1-line block ×7, first 2 shown]
	v_add_co_u32 v144, vcc_lo, s4, v136
	s_wait_alu 0xfffd
	v_add_co_ci_u32_e64 v145, null, s5, v137, vcc_lo
	global_load_b128 v[136:139], v[21:22], off offset:8256
	global_load_b128 v[140:143], v[144:145], off
	s_wait_loadcnt 0x14
	v_fma_f64 v[15:16], v[40:41], v[60:61], v[15:16]
	v_fma_f64 v[17:18], v[32:33], v[60:61], v[17:18]
	;; [unrolled: 1-line block ×4, first 2 shown]
	v_subrev_nc_u32_e32 v60, s12, v146
	s_delay_alu instid0(VALU_DEP_1) | instskip(NEXT) | instid1(VALU_DEP_1)
	v_lshlrev_b32_e32 v60, 2, v60
	v_ashrrev_i32_e32 v61, 31, v60
	v_fma_f64 v[15:16], v[42:43], v[62:63], v[15:16]
	v_fma_f64 v[17:18], v[34:35], v[62:63], v[17:18]
	;; [unrolled: 1-line block ×4, first 2 shown]
	global_load_b128 v[11:14], v[144:145], off offset:16
	s_wait_loadcnt 0x14
	v_fma_f64 v[36:37], v[36:37], v[64:65], v[15:16]
	v_fma_f64 v[27:28], v[27:28], v[64:65], v[17:18]
	;; [unrolled: 1-line block ×4, first 2 shown]
	s_clause 0x4
	global_load_b128 v[15:18], v[21:22], off offset:12336
	global_load_b128 v[32:35], v[21:22], off offset:12320
	global_load_b128 v[40:43], v[21:22], off offset:12304
	global_load_b128 v[48:51], v[21:22], off offset:12288
	global_load_b128 v[56:59], v[21:22], off offset:12384
	v_fma_f64 v[62:63], v[38:39], v[66:67], v[36:37]
	v_fma_f64 v[64:65], v[29:30], v[66:67], v[27:28]
	;; [unrolled: 1-line block ×4, first 2 shown]
	v_lshlrev_b64_e32 v[27:28], 3, v[60:61]
	s_delay_alu instid0(VALU_DEP_1) | instskip(SKIP_1) | instid1(VALU_DEP_2)
	v_add_co_u32 v60, vcc_lo, s4, v27
	s_wait_alu 0xfffd
	v_add_co_ci_u32_e64 v61, null, s5, v28, vcc_lo
	global_load_b128 v[27:30], v[21:22], off offset:12352
	global_load_b128 v[36:39], v[60:61], off
	v_add_co_u32 v23, vcc_lo, 0x80, v23
	s_wait_alu 0xfffd
	v_add_co_ci_u32_e64 v24, null, 0, v24, vcc_lo
	s_wait_loadcnt 0x12
	v_fma_f64 v[46:47], v[80:81], v[100:101], v[62:63]
	v_fma_f64 v[54:55], v[72:73], v[100:101], v[64:65]
	;; [unrolled: 1-line block ×4, first 2 shown]
	s_delay_alu instid0(VALU_DEP_4) | instskip(NEXT) | instid1(VALU_DEP_4)
	v_fma_f64 v[64:65], v[82:83], v[102:103], v[46:47]
	v_fma_f64 v[66:67], v[74:75], v[102:103], v[54:55]
	s_delay_alu instid0(VALU_DEP_4) | instskip(NEXT) | instid1(VALU_DEP_4)
	v_fma_f64 v[72:73], v[98:99], v[102:103], v[52:53]
	v_fma_f64 v[74:75], v[90:91], v[102:103], v[44:45]
	s_clause 0x1
	global_load_b128 v[44:47], v[21:22], off offset:12400
	global_load_b128 v[52:55], v[21:22], off offset:12368
	;; [unrolled: 1-line block ×3, first 2 shown]
	v_add_co_u32 v21, vcc_lo, 0x4000, v21
	s_wait_alu 0xfffd
	v_add_co_ci_u32_e64 v22, null, 0, v22, vcc_lo
	v_cmp_ge_i64_e32 vcc_lo, v[23:24], v[4:5]
	s_wait_alu 0xfffe
	s_or_b32 s10, vcc_lo, s10
	s_wait_loadcnt 0x14
	v_fma_f64 v[64:65], v[76:77], v[104:105], v[64:65]
	v_fma_f64 v[66:67], v[68:69], v[104:105], v[66:67]
	v_fma_f64 v[68:69], v[92:93], v[104:105], v[72:73]
	v_fma_f64 v[72:73], v[84:85], v[104:105], v[74:75]
	s_delay_alu instid0(VALU_DEP_4) | instskip(NEXT) | instid1(VALU_DEP_4)
	v_fma_f64 v[64:65], v[78:79], v[106:107], v[64:65]
	v_fma_f64 v[66:67], v[70:71], v[106:107], v[66:67]
	s_delay_alu instid0(VALU_DEP_4) | instskip(NEXT) | instid1(VALU_DEP_4)
	v_fma_f64 v[68:69], v[94:95], v[106:107], v[68:69]
	v_fma_f64 v[70:71], v[86:87], v[106:107], v[72:73]
	s_wait_loadcnt 0xb
	s_delay_alu instid0(VALU_DEP_4) | instskip(NEXT) | instid1(VALU_DEP_4)
	v_fma_f64 v[64:65], v[120:121], v[140:141], v[64:65]
	v_fma_f64 v[66:67], v[112:113], v[140:141], v[66:67]
	s_delay_alu instid0(VALU_DEP_4) | instskip(NEXT) | instid1(VALU_DEP_4)
	v_fma_f64 v[68:69], v[136:137], v[140:141], v[68:69]
	v_fma_f64 v[70:71], v[128:129], v[140:141], v[70:71]
	s_delay_alu instid0(VALU_DEP_4) | instskip(NEXT) | instid1(VALU_DEP_4)
	v_fma_f64 v[64:65], v[122:123], v[142:143], v[64:65]
	v_fma_f64 v[66:67], v[114:115], v[142:143], v[66:67]
	s_delay_alu instid0(VALU_DEP_4) | instskip(NEXT) | instid1(VALU_DEP_4)
	v_fma_f64 v[68:69], v[138:139], v[142:143], v[68:69]
	v_fma_f64 v[70:71], v[130:131], v[142:143], v[70:71]
	s_wait_loadcnt 0xa
	s_delay_alu instid0(VALU_DEP_4) | instskip(NEXT) | instid1(VALU_DEP_4)
	v_fma_f64 v[64:65], v[116:117], v[11:12], v[64:65]
	v_fma_f64 v[66:67], v[108:109], v[11:12], v[66:67]
	s_delay_alu instid0(VALU_DEP_4) | instskip(NEXT) | instid1(VALU_DEP_4)
	v_fma_f64 v[68:69], v[132:133], v[11:12], v[68:69]
	v_fma_f64 v[11:12], v[124:125], v[11:12], v[70:71]
	s_delay_alu instid0(VALU_DEP_4) | instskip(NEXT) | instid1(VALU_DEP_4)
	v_fma_f64 v[64:65], v[118:119], v[13:14], v[64:65]
	v_fma_f64 v[66:67], v[110:111], v[13:14], v[66:67]
	s_delay_alu instid0(VALU_DEP_4) | instskip(NEXT) | instid1(VALU_DEP_4)
	v_fma_f64 v[68:69], v[134:135], v[13:14], v[68:69]
	v_fma_f64 v[11:12], v[126:127], v[13:14], v[11:12]
	s_wait_loadcnt 0x3
	s_delay_alu instid0(VALU_DEP_4) | instskip(NEXT) | instid1(VALU_DEP_4)
	v_fma_f64 v[13:14], v[48:49], v[36:37], v[64:65]
	v_fma_f64 v[32:33], v[32:33], v[36:37], v[66:67]
	s_delay_alu instid0(VALU_DEP_4) | instskip(NEXT) | instid1(VALU_DEP_4)
	v_fma_f64 v[27:28], v[27:28], v[36:37], v[68:69]
	v_fma_f64 v[11:12], v[56:57], v[36:37], v[11:12]
	s_delay_alu instid0(VALU_DEP_4) | instskip(NEXT) | instid1(VALU_DEP_4)
	v_fma_f64 v[13:14], v[50:51], v[38:39], v[13:14]
	v_fma_f64 v[32:33], v[34:35], v[38:39], v[32:33]
	s_delay_alu instid0(VALU_DEP_4) | instskip(NEXT) | instid1(VALU_DEP_4)
	v_fma_f64 v[27:28], v[29:30], v[38:39], v[27:28]
	v_fma_f64 v[11:12], v[58:59], v[38:39], v[11:12]
	s_wait_loadcnt 0x0
	s_delay_alu instid0(VALU_DEP_4) | instskip(NEXT) | instid1(VALU_DEP_4)
	v_fma_f64 v[13:14], v[40:41], v[60:61], v[13:14]
	v_fma_f64 v[29:30], v[15:16], v[60:61], v[32:33]
	s_delay_alu instid0(VALU_DEP_4) | instskip(NEXT) | instid1(VALU_DEP_4)
	v_fma_f64 v[27:28], v[52:53], v[60:61], v[27:28]
	v_fma_f64 v[11:12], v[44:45], v[60:61], v[11:12]
	s_delay_alu instid0(VALU_DEP_4) | instskip(NEXT) | instid1(VALU_DEP_4)
	v_fma_f64 v[15:16], v[42:43], v[62:63], v[13:14]
	v_fma_f64 v[17:18], v[17:18], v[62:63], v[29:30]
	s_delay_alu instid0(VALU_DEP_4) | instskip(NEXT) | instid1(VALU_DEP_4)
	v_fma_f64 v[13:14], v[54:55], v[62:63], v[27:28]
	v_fma_f64 v[11:12], v[46:47], v[62:63], v[11:12]
	s_wait_alu 0xfffe
	s_and_not1_b32 exec_lo, exec_lo, s10
	s_cbranch_execnz .LBB28_21
; %bb.22:
	s_or_b32 exec_lo, exec_lo, s10
.LBB28_23:
	s_wait_alu 0xfffe
	s_or_b32 exec_lo, exec_lo, s7
.LBB28_24:
	s_wait_alu 0xfffe
	s_or_b32 exec_lo, exec_lo, s6
	s_cbranch_execz .LBB28_26
	s_branch .LBB28_37
.LBB28_25:
                                        ; implicit-def: $vgpr11_vgpr12
                                        ; implicit-def: $vgpr13_vgpr14
                                        ; implicit-def: $vgpr17_vgpr18
                                        ; implicit-def: $vgpr15_vgpr16
.LBB28_26:
	v_mov_b32_e32 v11, 0
	v_dual_mov_b32 v17, 0 :: v_dual_mov_b32 v12, 0
	v_dual_mov_b32 v13, 0 :: v_dual_mov_b32 v18, 0
	;; [unrolled: 1-line block ×3, first 2 shown]
	v_mov_b32_e32 v16, 0
	s_and_saveexec_b32 s3, s2
	s_cbranch_execz .LBB28_36
; %bb.27:
	v_or_b32_e32 v11, 32, v31
	v_not_b32_e32 v14, v19
	v_not_b32_e32 v13, v20
	s_delay_alu instid0(VALU_DEP_3) | instskip(SKIP_3) | instid1(VALU_DEP_3)
	v_sub_co_u32 v11, s2, v11, s12
	s_wait_alu 0xf1ff
	v_sub_co_ci_u32_e64 v12, null, 0, 0, s2
	v_sub_co_u32 v15, s2, s12, v31
	v_add_co_u32 v11, vcc_lo, v11, v19
	s_wait_alu 0xfffd
	s_delay_alu instid0(VALU_DEP_3) | instskip(SKIP_2) | instid1(VALU_DEP_2)
	v_add_co_ci_u32_e64 v12, null, v12, v20, vcc_lo
	s_wait_alu 0xf1ff
	v_sub_co_ci_u32_e64 v16, null, 0, 0, s2
	v_cmp_gt_i64_e32 vcc_lo, v[11:12], v[4:5]
	s_wait_alu 0xfffd
	v_cndmask_b32_e32 v17, v5, v12, vcc_lo
	v_cndmask_b32_e32 v11, v4, v11, vcc_lo
	v_add_co_u32 v12, vcc_lo, v15, v14
	s_wait_alu 0xfffd
	v_add_co_ci_u32_e64 v13, null, v16, v13, vcc_lo
	v_mov_b32_e32 v15, 0
	v_mov_b32_e32 v16, 0
	v_add_co_u32 v19, vcc_lo, v12, v11
	v_mov_b32_e32 v12, 0
	s_wait_alu 0xfffd
	v_add_co_ci_u32_e64 v20, null, v13, v17, vcc_lo
	s_delay_alu instid0(VALU_DEP_3) | instskip(SKIP_3) | instid1(VALU_DEP_4)
	v_and_b32_e32 v11, 0x60, v19
	v_mov_b32_e32 v17, 0
	v_dual_mov_b32 v18, 0 :: v_dual_mov_b32 v13, 0
	v_mov_b32_e32 v14, 0
	v_cmp_ne_u64_e32 vcc_lo, 0x60, v[11:12]
	v_mov_b32_e32 v11, 0
	v_mov_b32_e32 v12, 0
	s_and_saveexec_b32 s6, vcc_lo
	s_cbranch_execz .LBB28_31
; %bb.28:
	v_lshrrev_b32_e32 v11, 5, v19
	v_lshlrev_b64_e32 v[21:22], 2, v[0:1]
	v_mov_b32_e32 v13, 0
	v_mov_b32_e32 v17, 0
	;; [unrolled: 1-line block ×3, first 2 shown]
	v_add_nc_u32_e32 v23, 1, v11
	v_dual_mov_b32 v11, 0 :: v_dual_mov_b32 v14, 0
	v_mov_b32_e32 v12, 0
	v_add_co_u32 v21, vcc_lo, s8, v21
	s_delay_alu instid0(VALU_DEP_4) | instskip(SKIP_3) | instid1(VALU_DEP_3)
	v_dual_mov_b32 v18, 0 :: v_dual_and_b32 v23, 3, v23
	v_mov_b32_e32 v16, 0
	s_wait_alu 0xfffd
	v_add_co_ci_u32_e64 v22, null, s9, v22, vcc_lo
	v_sub_co_u32 v23, s2, 0, v23
	s_wait_alu 0xf1ff
	v_sub_co_ci_u32_e64 v24, null, 0, 0, s2
	s_mov_b32 s7, 0
.LBB28_29:                              ; =>This Inner Loop Header: Depth=1
	global_load_b32 v29, v[21:22], off
	global_load_b128 v[25:28], v[6:7], off offset:16
	v_add_co_u32 v21, s2, 0x80, v21
	s_wait_alu 0xf1ff
	v_add_co_ci_u32_e64 v22, null, 0, v22, s2
	s_wait_loadcnt 0x1
	v_subrev_nc_u32_e32 v29, s12, v29
	s_delay_alu instid0(VALU_DEP_1) | instskip(NEXT) | instid1(VALU_DEP_1)
	v_lshlrev_b32_e32 v29, 2, v29
	v_ashrrev_i32_e32 v30, 31, v29
	s_delay_alu instid0(VALU_DEP_1) | instskip(SKIP_1) | instid1(VALU_DEP_1)
	v_lshlrev_b64_e32 v[29:30], 3, v[29:30]
	s_wait_kmcnt 0x0
	v_add_co_u32 v29, vcc_lo, s4, v29
	s_wait_alu 0xfffd
	s_delay_alu instid0(VALU_DEP_2)
	v_add_co_ci_u32_e64 v30, null, s5, v30, vcc_lo
	global_load_b128 v[32:35], v[6:7], off
	s_clause 0x1
	global_load_b128 v[36:39], v[29:30], off
	global_load_b128 v[40:43], v[29:30], off offset:16
	s_clause 0x5
	global_load_b128 v[44:47], v[6:7], off offset:32
	global_load_b128 v[48:51], v[6:7], off offset:48
	;; [unrolled: 1-line block ×6, first 2 shown]
	v_add_co_u32 v6, vcc_lo, 0x1000, v6
	s_wait_alu 0xfffd
	v_add_co_ci_u32_e64 v7, null, 0, v7, vcc_lo
	v_add_co_u32 v23, vcc_lo, v23, 1
	s_wait_alu 0xfffd
	v_add_co_ci_u32_e64 v24, null, 0, v24, vcc_lo
	;; [unrolled: 3-line block ×3, first 2 shown]
	s_delay_alu instid0(VALU_DEP_3)
	v_cmp_eq_u64_e32 vcc_lo, 0, v[23:24]
	s_wait_alu 0xfffe
	s_or_b32 s7, vcc_lo, s7
	s_wait_loadcnt 0x7
	v_fma_f64 v[15:16], v[32:33], v[36:37], v[15:16]
	v_fma_f64 v[17:18], v[34:35], v[36:37], v[17:18]
	;; [unrolled: 1-line block ×4, first 2 shown]
	s_wait_loadcnt 0x5
	s_delay_alu instid0(VALU_DEP_4) | instskip(NEXT) | instid1(VALU_DEP_4)
	v_fma_f64 v[15:16], v[44:45], v[38:39], v[15:16]
	v_fma_f64 v[17:18], v[46:47], v[38:39], v[17:18]
	s_wait_loadcnt 0x4
	s_delay_alu instid0(VALU_DEP_4) | instskip(NEXT) | instid1(VALU_DEP_4)
	v_fma_f64 v[13:14], v[48:49], v[38:39], v[13:14]
	v_fma_f64 v[11:12], v[50:51], v[38:39], v[11:12]
	;; [unrolled: 4-line block ×6, first 2 shown]
	s_wait_alu 0xfffe
	s_and_not1_b32 exec_lo, exec_lo, s7
	s_cbranch_execnz .LBB28_29
; %bb.30:
	s_or_b32 exec_lo, exec_lo, s7
.LBB28_31:
	s_wait_alu 0xfffe
	s_or_b32 exec_lo, exec_lo, s6
	s_delay_alu instid0(SALU_CYCLE_1)
	s_mov_b32 s6, exec_lo
	v_cmpx_lt_u64_e32 0x5f, v[19:20]
	s_cbranch_execz .LBB28_35
; %bb.32:
	v_lshlrev_b64_e32 v[19:20], 2, v[0:1]
	s_mov_b32 s7, 0
	s_delay_alu instid0(VALU_DEP_1) | instskip(SKIP_1) | instid1(VALU_DEP_2)
	v_add_co_u32 v19, vcc_lo, s8, v19
	s_wait_alu 0xfffd
	v_add_co_ci_u32_e64 v20, null, s9, v20, vcc_lo
	s_delay_alu instid0(VALU_DEP_2) | instskip(SKIP_1) | instid1(VALU_DEP_2)
	v_add_co_u32 v19, vcc_lo, 0x100, v19
	s_wait_alu 0xfffd
	v_add_co_ci_u32_e64 v20, null, 0, v20, vcc_lo
.LBB28_33:                              ; =>This Inner Loop Header: Depth=1
	s_clause 0x2
	global_load_b32 v25, v[19:20], off offset:-256
	global_load_b32 v68, v[19:20], off offset:-128
	global_load_b32 v108, v[19:20], off
	global_load_b128 v[21:24], v[6:7], off offset:16
	global_load_b32 v118, v[19:20], off offset:128
	v_add_co_u32 v19, s2, 0x200, v19
	s_wait_alu 0xf1ff
	v_add_co_ci_u32_e64 v20, null, 0, v20, s2
	s_wait_loadcnt 0x4
	v_subrev_nc_u32_e32 v25, s12, v25
	s_delay_alu instid0(VALU_DEP_1) | instskip(NEXT) | instid1(VALU_DEP_1)
	v_lshlrev_b32_e32 v25, 2, v25
	v_ashrrev_i32_e32 v26, 31, v25
	s_delay_alu instid0(VALU_DEP_1) | instskip(SKIP_1) | instid1(VALU_DEP_1)
	v_lshlrev_b64_e32 v[25:26], 3, v[25:26]
	s_wait_kmcnt 0x0
	v_add_co_u32 v29, vcc_lo, s4, v25
	s_wait_alu 0xfffd
	s_delay_alu instid0(VALU_DEP_2)
	v_add_co_ci_u32_e64 v30, null, s5, v26, vcc_lo
	global_load_b128 v[25:28], v[6:7], off
	global_load_b128 v[32:35], v[29:30], off
	s_clause 0x3
	global_load_b128 v[36:39], v[6:7], off offset:32
	global_load_b128 v[40:43], v[6:7], off offset:48
	;; [unrolled: 1-line block ×5, first 2 shown]
	s_clause 0x2
	global_load_b128 v[56:59], v[6:7], off offset:96
	global_load_b128 v[60:63], v[6:7], off offset:112
	;; [unrolled: 1-line block ×3, first 2 shown]
	s_wait_loadcnt 0xd
	v_subrev_nc_u32_e32 v29, s12, v68
	s_delay_alu instid0(VALU_DEP_1) | instskip(NEXT) | instid1(VALU_DEP_1)
	v_lshlrev_b32_e32 v29, 2, v29
	v_ashrrev_i32_e32 v30, 31, v29
	s_delay_alu instid0(VALU_DEP_1) | instskip(NEXT) | instid1(VALU_DEP_1)
	v_lshlrev_b64_e32 v[29:30], 3, v[29:30]
	v_add_co_u32 v29, vcc_lo, s4, v29
	s_wait_alu 0xfffd
	s_delay_alu instid0(VALU_DEP_2)
	v_add_co_ci_u32_e64 v30, null, s5, v30, vcc_lo
	global_load_b128 v[68:71], v[6:7], off offset:4096
	global_load_b128 v[72:75], v[29:30], off
	s_clause 0x3
	global_load_b128 v[76:79], v[6:7], off offset:4128
	global_load_b128 v[80:83], v[6:7], off offset:4144
	;; [unrolled: 1-line block ×5, first 2 shown]
	s_clause 0x2
	global_load_b128 v[96:99], v[6:7], off offset:4192
	global_load_b128 v[100:103], v[6:7], off offset:4208
	;; [unrolled: 1-line block ×3, first 2 shown]
	s_wait_loadcnt 0x16
	v_subrev_nc_u32_e32 v29, s12, v108
	s_delay_alu instid0(VALU_DEP_1) | instskip(NEXT) | instid1(VALU_DEP_1)
	v_lshlrev_b32_e32 v29, 2, v29
	v_ashrrev_i32_e32 v30, 31, v29
	s_delay_alu instid0(VALU_DEP_1) | instskip(NEXT) | instid1(VALU_DEP_1)
	v_lshlrev_b64_e32 v[29:30], 3, v[29:30]
	v_add_co_u32 v29, vcc_lo, s4, v29
	s_wait_alu 0xfffd
	s_delay_alu instid0(VALU_DEP_2)
	v_add_co_ci_u32_e64 v30, null, s5, v30, vcc_lo
	global_load_b128 v[108:111], v[6:7], off offset:8192
	global_load_b128 v[112:115], v[29:30], off
	s_wait_loadcnt 0x14
	v_fma_f64 v[25:26], v[25:26], v[32:33], v[15:16]
	v_fma_f64 v[27:28], v[27:28], v[32:33], v[17:18]
	;; [unrolled: 1-line block ×4, first 2 shown]
	s_clause 0x1
	global_load_b128 v[11:14], v[6:7], off offset:8224
	global_load_b128 v[15:18], v[6:7], off offset:8240
	s_wait_loadcnt 0x15
	v_fma_f64 v[36:37], v[36:37], v[34:35], v[25:26]
	v_fma_f64 v[38:39], v[38:39], v[34:35], v[27:28]
	s_wait_loadcnt 0x14
	v_fma_f64 v[40:41], v[40:41], v[34:35], v[21:22]
	v_fma_f64 v[42:43], v[42:43], v[34:35], v[23:24]
	s_clause 0x1
	global_load_b128 v[21:24], v[6:7], off offset:8256
	global_load_b128 v[25:28], v[6:7], off offset:8272
	;; [unrolled: 1-line block ×3, first 2 shown]
	s_wait_loadcnt 0x14
	v_fma_f64 v[29:30], v[44:45], v[52:53], v[36:37]
	v_fma_f64 v[116:117], v[46:47], v[52:53], v[38:39]
	;; [unrolled: 1-line block ×4, first 2 shown]
	s_clause 0x2
	global_load_b128 v[36:39], v[6:7], off offset:8288
	global_load_b128 v[40:43], v[6:7], off offset:8304
	;; [unrolled: 1-line block ×3, first 2 shown]
	v_subrev_nc_u32_e32 v52, s12, v118
	s_delay_alu instid0(VALU_DEP_1) | instskip(NEXT) | instid1(VALU_DEP_1)
	v_lshlrev_b32_e32 v52, 2, v52
	v_ashrrev_i32_e32 v53, 31, v52
	s_wait_loadcnt 0x16
	v_fma_f64 v[29:30], v[56:57], v[54:55], v[29:30]
	v_fma_f64 v[56:57], v[58:59], v[54:55], v[116:117]
	s_wait_loadcnt 0x15
	v_fma_f64 v[58:59], v[60:61], v[54:55], v[48:49]
	v_fma_f64 v[60:61], v[62:63], v[54:55], v[50:51]
	v_lshlrev_b64_e32 v[48:49], 3, v[52:53]
	s_delay_alu instid0(VALU_DEP_1) | instskip(SKIP_1) | instid1(VALU_DEP_2)
	v_add_co_u32 v116, vcc_lo, s4, v48
	s_wait_alu 0xfffd
	v_add_co_ci_u32_e64 v117, null, s5, v49, vcc_lo
	global_load_b128 v[48:51], v[6:7], off offset:12288
	global_load_b128 v[52:55], v[116:117], off
	v_add_co_u32 v0, vcc_lo, 0x80, v0
	s_wait_alu 0xfffd
	v_add_co_ci_u32_e64 v1, null, 0, v1, vcc_lo
	s_wait_loadcnt 0x14
	v_fma_f64 v[29:30], v[68:69], v[72:73], v[29:30]
	v_fma_f64 v[68:69], v[70:71], v[72:73], v[56:57]
	;; [unrolled: 1-line block ×4, first 2 shown]
	s_clause 0x1
	global_load_b128 v[56:59], v[6:7], off offset:12320
	global_load_b128 v[60:63], v[6:7], off offset:12336
	s_wait_loadcnt 0x15
	v_fma_f64 v[29:30], v[76:77], v[74:75], v[29:30]
	v_fma_f64 v[76:77], v[78:79], v[74:75], v[68:69]
	s_wait_loadcnt 0x14
	v_fma_f64 v[78:79], v[80:81], v[74:75], v[64:65]
	v_fma_f64 v[80:81], v[82:83], v[74:75], v[66:67]
	s_clause 0x1
	global_load_b128 v[64:67], v[6:7], off offset:12352
	global_load_b128 v[68:71], v[6:7], off offset:12368
	;; [unrolled: 1-line block ×3, first 2 shown]
	s_wait_loadcnt 0x14
	v_fma_f64 v[29:30], v[84:85], v[92:93], v[29:30]
	v_fma_f64 v[84:85], v[86:87], v[92:93], v[76:77]
	;; [unrolled: 1-line block ×4, first 2 shown]
	s_clause 0x1
	global_load_b128 v[76:79], v[6:7], off offset:12384
	global_load_b128 v[80:83], v[6:7], off offset:12400
	v_add_co_u32 v6, vcc_lo, 0x4000, v6
	s_wait_alu 0xfffd
	v_add_co_ci_u32_e64 v7, null, 0, v7, vcc_lo
	v_cmp_ge_i64_e32 vcc_lo, v[0:1], v[4:5]
	s_wait_alu 0xfffe
	s_or_b32 s7, vcc_lo, s7
	s_wait_loadcnt 0x15
	v_fma_f64 v[29:30], v[96:97], v[94:95], v[29:30]
	v_fma_f64 v[84:85], v[98:99], v[94:95], v[84:85]
	s_wait_loadcnt 0x14
	v_fma_f64 v[86:87], v[100:101], v[94:95], v[86:87]
	v_fma_f64 v[88:89], v[102:103], v[94:95], v[88:89]
	s_wait_loadcnt 0x11
	s_delay_alu instid0(VALU_DEP_4) | instskip(NEXT) | instid1(VALU_DEP_4)
	v_fma_f64 v[29:30], v[108:109], v[112:113], v[29:30]
	v_fma_f64 v[84:85], v[110:111], v[112:113], v[84:85]
	s_delay_alu instid0(VALU_DEP_4) | instskip(NEXT) | instid1(VALU_DEP_4)
	v_fma_f64 v[86:87], v[104:105], v[112:113], v[86:87]
	v_fma_f64 v[88:89], v[106:107], v[112:113], v[88:89]
	s_wait_loadcnt 0x10
	s_delay_alu instid0(VALU_DEP_4) | instskip(NEXT) | instid1(VALU_DEP_4)
	v_fma_f64 v[11:12], v[11:12], v[114:115], v[29:30]
	v_fma_f64 v[13:14], v[13:14], v[114:115], v[84:85]
	s_wait_loadcnt 0xf
	s_delay_alu instid0(VALU_DEP_4) | instskip(NEXT) | instid1(VALU_DEP_4)
	v_fma_f64 v[15:16], v[15:16], v[114:115], v[86:87]
	v_fma_f64 v[17:18], v[17:18], v[114:115], v[88:89]
	s_wait_loadcnt 0xc
	s_delay_alu instid0(VALU_DEP_4) | instskip(NEXT) | instid1(VALU_DEP_4)
	v_fma_f64 v[11:12], v[21:22], v[32:33], v[11:12]
	v_fma_f64 v[13:14], v[23:24], v[32:33], v[13:14]
	s_delay_alu instid0(VALU_DEP_4) | instskip(NEXT) | instid1(VALU_DEP_4)
	v_fma_f64 v[15:16], v[25:26], v[32:33], v[15:16]
	v_fma_f64 v[17:18], v[27:28], v[32:33], v[17:18]
	s_wait_loadcnt 0xb
	s_delay_alu instid0(VALU_DEP_4) | instskip(NEXT) | instid1(VALU_DEP_4)
	v_fma_f64 v[11:12], v[36:37], v[34:35], v[11:12]
	v_fma_f64 v[13:14], v[38:39], v[34:35], v[13:14]
	s_wait_loadcnt 0xa
	s_delay_alu instid0(VALU_DEP_4) | instskip(NEXT) | instid1(VALU_DEP_4)
	;; [unrolled: 15-line block ×4, first 2 shown]
	v_fma_f64 v[13:14], v[80:81], v[74:75], v[21:22]
	v_fma_f64 v[11:12], v[82:83], v[74:75], v[23:24]
	s_wait_alu 0xfffe
	s_and_not1_b32 exec_lo, exec_lo, s7
	s_cbranch_execnz .LBB28_33
; %bb.34:
	s_or_b32 exec_lo, exec_lo, s7
.LBB28_35:
	s_wait_alu 0xfffe
	s_or_b32 exec_lo, exec_lo, s6
.LBB28_36:
	s_wait_alu 0xfffe
	s_or_b32 exec_lo, exec_lo, s3
.LBB28_37:
	v_mbcnt_lo_u32_b32 v23, -1, 0
	s_delay_alu instid0(VALU_DEP_1) | instskip(NEXT) | instid1(VALU_DEP_1)
	v_xor_b32_e32 v0, 16, v23
	v_cmp_gt_i32_e32 vcc_lo, 32, v0
	s_wait_alu 0xfffd
	v_cndmask_b32_e32 v0, v23, v0, vcc_lo
	s_delay_alu instid0(VALU_DEP_1)
	v_lshlrev_b32_e32 v20, 2, v0
	ds_bpermute_b32 v6, v20, v13
	ds_bpermute_b32 v7, v20, v14
	s_wait_dscnt 0x0
	v_add_f64_e32 v[6:7], v[13:14], v[6:7]
	v_xor_b32_e32 v13, 8, v23
	s_delay_alu instid0(VALU_DEP_1)
	v_cmp_gt_i32_e32 vcc_lo, 32, v13
	s_wait_alu 0xfffd
	v_cndmask_b32_e32 v13, v23, v13, vcc_lo
	ds_bpermute_b32 v0, v20, v15
	ds_bpermute_b32 v1, v20, v16
	;; [unrolled: 1-line block ×6, first 2 shown]
	s_wait_dscnt 0x4
	v_add_f64_e32 v[0:1], v[15:16], v[0:1]
	s_wait_dscnt 0x2
	v_add_f64_e32 v[4:5], v[17:18], v[4:5]
	;; [unrolled: 2-line block ×3, first 2 shown]
	v_lshlrev_b32_e32 v20, 2, v13
	ds_bpermute_b32 v17, v20, v6
	ds_bpermute_b32 v18, v20, v7
	s_wait_dscnt 0x0
	v_add_f64_e32 v[6:7], v[6:7], v[17:18]
	ds_bpermute_b32 v13, v20, v0
	ds_bpermute_b32 v14, v20, v1
	;; [unrolled: 1-line block ×6, first 2 shown]
	s_wait_dscnt 0x4
	v_add_f64_e32 v[0:1], v[0:1], v[13:14]
	v_xor_b32_e32 v13, 4, v23
	s_wait_dscnt 0x2
	v_add_f64_e32 v[4:5], v[4:5], v[15:16]
	s_wait_dscnt 0x0
	v_add_f64_e32 v[11:12], v[11:12], v[19:20]
	v_cmp_gt_i32_e32 vcc_lo, 32, v13
	s_wait_alu 0xfffd
	v_cndmask_b32_e32 v13, v23, v13, vcc_lo
	s_delay_alu instid0(VALU_DEP_1)
	v_lshlrev_b32_e32 v20, 2, v13
	ds_bpermute_b32 v17, v20, v6
	ds_bpermute_b32 v18, v20, v7
	;; [unrolled: 1-line block ×8, first 2 shown]
	s_wait_dscnt 0x4
	v_add_f64_e32 v[0:1], v[0:1], v[13:14]
	v_add_f64_e32 v[13:14], v[6:7], v[17:18]
	s_wait_dscnt 0x2
	v_add_f64_e32 v[4:5], v[4:5], v[15:16]
	v_xor_b32_e32 v6, 2, v23
	s_wait_dscnt 0x0
	v_add_f64_e32 v[15:16], v[11:12], v[19:20]
	s_delay_alu instid0(VALU_DEP_2) | instskip(SKIP_2) | instid1(VALU_DEP_1)
	v_cmp_gt_i32_e32 vcc_lo, 32, v6
	s_wait_alu 0xfffd
	v_cndmask_b32_e32 v6, v23, v6, vcc_lo
	v_lshlrev_b32_e32 v11, 2, v6
	ds_bpermute_b32 v6, v11, v0
	ds_bpermute_b32 v7, v11, v1
	;; [unrolled: 1-line block ×8, first 2 shown]
	s_wait_dscnt 0x6
	v_add_f64_e32 v[11:12], v[0:1], v[6:7]
	s_wait_dscnt 0x4
	v_add_f64_e32 v[6:7], v[4:5], v[17:18]
	;; [unrolled: 2-line block ×3, first 2 shown]
	v_xor_b32_e32 v13, 1, v23
	s_wait_dscnt 0x0
	v_add_f64_e32 v[4:5], v[15:16], v[21:22]
	s_delay_alu instid0(VALU_DEP_2) | instskip(SKIP_3) | instid1(VALU_DEP_2)
	v_cmp_gt_i32_e32 vcc_lo, 32, v13
	s_wait_alu 0xfffd
	v_cndmask_b32_e32 v13, v23, v13, vcc_lo
	v_cmp_eq_u32_e32 vcc_lo, 31, v31
	v_lshlrev_b32_e32 v14, 2, v13
	ds_bpermute_b32 v19, v14, v11
	ds_bpermute_b32 v20, v14, v12
	;; [unrolled: 1-line block ×8, first 2 shown]
	s_and_b32 exec_lo, exec_lo, vcc_lo
	s_cbranch_execz .LBB28_10
; %bb.38:
	s_wait_dscnt 0x6
	v_add_f64_e32 v[11:12], v[11:12], v[19:20]
	s_wait_dscnt 0x4
	v_add_f64_e32 v[6:7], v[6:7], v[17:18]
	;; [unrolled: 2-line block ×4, first 2 shown]
	s_load_b64 s[0:1], s[0:1], 0x50
	v_lshlrev_b32_e32 v10, 2, v10
	s_mov_b32 s2, exec_lo
	v_mul_f64_e32 v[4:5], v[2:3], v[11:12]
	v_mul_f64_e32 v[6:7], v[2:3], v[6:7]
	v_mul_f64_e32 v[0:1], v[2:3], v[0:1]
	v_mul_f64_e32 v[2:3], v[2:3], v[13:14]
	v_cmpx_eq_f64_e32 0, v[8:9]
	s_wait_alu 0xfffe
	s_xor_b32 s2, exec_lo, s2
	s_cbranch_execz .LBB28_40
; %bb.39:
	v_ashrrev_i32_e32 v11, 31, v10
	s_delay_alu instid0(VALU_DEP_1) | instskip(SKIP_1) | instid1(VALU_DEP_1)
	v_lshlrev_b64_e32 v[8:9], 3, v[10:11]
                                        ; implicit-def: $vgpr10
	s_wait_kmcnt 0x0
	v_add_co_u32 v8, vcc_lo, s0, v8
	s_wait_alu 0xfffd
	s_delay_alu instid0(VALU_DEP_2)
	v_add_co_ci_u32_e64 v9, null, s1, v9, vcc_lo
	s_clause 0x1
	global_store_b128 v[8:9], v[4:7], off
	global_store_b128 v[8:9], v[0:3], off offset:16
                                        ; implicit-def: $vgpr8_vgpr9
                                        ; implicit-def: $vgpr4_vgpr5
                                        ; implicit-def: $vgpr0_vgpr1
.LBB28_40:
	s_wait_alu 0xfffe
	s_and_not1_saveexec_b32 s2, s2
	s_cbranch_execz .LBB28_10
; %bb.41:
	v_ashrrev_i32_e32 v11, 31, v10
	s_delay_alu instid0(VALU_DEP_1) | instskip(SKIP_1) | instid1(VALU_DEP_1)
	v_lshlrev_b64_e32 v[10:11], 3, v[10:11]
	s_wait_kmcnt 0x0
	v_add_co_u32 v18, vcc_lo, s0, v10
	s_wait_alu 0xfffd
	s_delay_alu instid0(VALU_DEP_2)
	v_add_co_ci_u32_e64 v19, null, s1, v11, vcc_lo
	s_clause 0x1
	global_load_b128 v[10:13], v[18:19], off
	global_load_b128 v[14:17], v[18:19], off offset:16
	s_wait_loadcnt 0x1
	v_fma_f64 v[4:5], v[8:9], v[10:11], v[4:5]
	v_fma_f64 v[6:7], v[8:9], v[12:13], v[6:7]
	s_wait_loadcnt 0x0
	v_fma_f64 v[0:1], v[8:9], v[14:15], v[0:1]
	v_fma_f64 v[2:3], v[8:9], v[16:17], v[2:3]
	s_clause 0x1
	global_store_b128 v[18:19], v[4:7], off
	global_store_b128 v[18:19], v[0:3], off offset:16
	s_nop 0
	s_sendmsg sendmsg(MSG_DEALLOC_VGPRS)
	s_endpgm
	.section	.rodata,"a",@progbits
	.p2align	6, 0x0
	.amdhsa_kernel _ZN9rocsparseL18bsrxmvn_4x4_kernelILj128ELj32EdlidddEEvT3_20rocsparse_direction_NS_24const_host_device_scalarIT1_EES1_PKS1_PKT2_SA_S7_PKT4_PKT5_S5_PT6_21rocsparse_index_base_b
		.amdhsa_group_segment_fixed_size 0
		.amdhsa_private_segment_fixed_size 0
		.amdhsa_kernarg_size 96
		.amdhsa_user_sgpr_count 2
		.amdhsa_user_sgpr_dispatch_ptr 0
		.amdhsa_user_sgpr_queue_ptr 0
		.amdhsa_user_sgpr_kernarg_segment_ptr 1
		.amdhsa_user_sgpr_dispatch_id 0
		.amdhsa_user_sgpr_private_segment_size 0
		.amdhsa_wavefront_size32 1
		.amdhsa_uses_dynamic_stack 0
		.amdhsa_enable_private_segment 0
		.amdhsa_system_sgpr_workgroup_id_x 1
		.amdhsa_system_sgpr_workgroup_id_y 0
		.amdhsa_system_sgpr_workgroup_id_z 0
		.amdhsa_system_sgpr_workgroup_info 0
		.amdhsa_system_vgpr_workitem_id 0
		.amdhsa_next_free_vgpr 147
		.amdhsa_next_free_sgpr 14
		.amdhsa_reserve_vcc 1
		.amdhsa_float_round_mode_32 0
		.amdhsa_float_round_mode_16_64 0
		.amdhsa_float_denorm_mode_32 3
		.amdhsa_float_denorm_mode_16_64 3
		.amdhsa_fp16_overflow 0
		.amdhsa_workgroup_processor_mode 1
		.amdhsa_memory_ordered 1
		.amdhsa_forward_progress 1
		.amdhsa_inst_pref_size 51
		.amdhsa_round_robin_scheduling 0
		.amdhsa_exception_fp_ieee_invalid_op 0
		.amdhsa_exception_fp_denorm_src 0
		.amdhsa_exception_fp_ieee_div_zero 0
		.amdhsa_exception_fp_ieee_overflow 0
		.amdhsa_exception_fp_ieee_underflow 0
		.amdhsa_exception_fp_ieee_inexact 0
		.amdhsa_exception_int_div_zero 0
	.end_amdhsa_kernel
	.section	.text._ZN9rocsparseL18bsrxmvn_4x4_kernelILj128ELj32EdlidddEEvT3_20rocsparse_direction_NS_24const_host_device_scalarIT1_EES1_PKS1_PKT2_SA_S7_PKT4_PKT5_S5_PT6_21rocsparse_index_base_b,"axG",@progbits,_ZN9rocsparseL18bsrxmvn_4x4_kernelILj128ELj32EdlidddEEvT3_20rocsparse_direction_NS_24const_host_device_scalarIT1_EES1_PKS1_PKT2_SA_S7_PKT4_PKT5_S5_PT6_21rocsparse_index_base_b,comdat
.Lfunc_end28:
	.size	_ZN9rocsparseL18bsrxmvn_4x4_kernelILj128ELj32EdlidddEEvT3_20rocsparse_direction_NS_24const_host_device_scalarIT1_EES1_PKS1_PKT2_SA_S7_PKT4_PKT5_S5_PT6_21rocsparse_index_base_b, .Lfunc_end28-_ZN9rocsparseL18bsrxmvn_4x4_kernelILj128ELj32EdlidddEEvT3_20rocsparse_direction_NS_24const_host_device_scalarIT1_EES1_PKS1_PKT2_SA_S7_PKT4_PKT5_S5_PT6_21rocsparse_index_base_b
                                        ; -- End function
	.set _ZN9rocsparseL18bsrxmvn_4x4_kernelILj128ELj32EdlidddEEvT3_20rocsparse_direction_NS_24const_host_device_scalarIT1_EES1_PKS1_PKT2_SA_S7_PKT4_PKT5_S5_PT6_21rocsparse_index_base_b.num_vgpr, 147
	.set _ZN9rocsparseL18bsrxmvn_4x4_kernelILj128ELj32EdlidddEEvT3_20rocsparse_direction_NS_24const_host_device_scalarIT1_EES1_PKS1_PKT2_SA_S7_PKT4_PKT5_S5_PT6_21rocsparse_index_base_b.num_agpr, 0
	.set _ZN9rocsparseL18bsrxmvn_4x4_kernelILj128ELj32EdlidddEEvT3_20rocsparse_direction_NS_24const_host_device_scalarIT1_EES1_PKS1_PKT2_SA_S7_PKT4_PKT5_S5_PT6_21rocsparse_index_base_b.numbered_sgpr, 14
	.set _ZN9rocsparseL18bsrxmvn_4x4_kernelILj128ELj32EdlidddEEvT3_20rocsparse_direction_NS_24const_host_device_scalarIT1_EES1_PKS1_PKT2_SA_S7_PKT4_PKT5_S5_PT6_21rocsparse_index_base_b.num_named_barrier, 0
	.set _ZN9rocsparseL18bsrxmvn_4x4_kernelILj128ELj32EdlidddEEvT3_20rocsparse_direction_NS_24const_host_device_scalarIT1_EES1_PKS1_PKT2_SA_S7_PKT4_PKT5_S5_PT6_21rocsparse_index_base_b.private_seg_size, 0
	.set _ZN9rocsparseL18bsrxmvn_4x4_kernelILj128ELj32EdlidddEEvT3_20rocsparse_direction_NS_24const_host_device_scalarIT1_EES1_PKS1_PKT2_SA_S7_PKT4_PKT5_S5_PT6_21rocsparse_index_base_b.uses_vcc, 1
	.set _ZN9rocsparseL18bsrxmvn_4x4_kernelILj128ELj32EdlidddEEvT3_20rocsparse_direction_NS_24const_host_device_scalarIT1_EES1_PKS1_PKT2_SA_S7_PKT4_PKT5_S5_PT6_21rocsparse_index_base_b.uses_flat_scratch, 0
	.set _ZN9rocsparseL18bsrxmvn_4x4_kernelILj128ELj32EdlidddEEvT3_20rocsparse_direction_NS_24const_host_device_scalarIT1_EES1_PKS1_PKT2_SA_S7_PKT4_PKT5_S5_PT6_21rocsparse_index_base_b.has_dyn_sized_stack, 0
	.set _ZN9rocsparseL18bsrxmvn_4x4_kernelILj128ELj32EdlidddEEvT3_20rocsparse_direction_NS_24const_host_device_scalarIT1_EES1_PKS1_PKT2_SA_S7_PKT4_PKT5_S5_PT6_21rocsparse_index_base_b.has_recursion, 0
	.set _ZN9rocsparseL18bsrxmvn_4x4_kernelILj128ELj32EdlidddEEvT3_20rocsparse_direction_NS_24const_host_device_scalarIT1_EES1_PKS1_PKT2_SA_S7_PKT4_PKT5_S5_PT6_21rocsparse_index_base_b.has_indirect_call, 0
	.section	.AMDGPU.csdata,"",@progbits
; Kernel info:
; codeLenInByte = 6456
; TotalNumSgprs: 16
; NumVgprs: 147
; ScratchSize: 0
; MemoryBound: 1
; FloatMode: 240
; IeeeMode: 1
; LDSByteSize: 0 bytes/workgroup (compile time only)
; SGPRBlocks: 0
; VGPRBlocks: 18
; NumSGPRsForWavesPerEU: 16
; NumVGPRsForWavesPerEU: 147
; Occupancy: 9
; WaveLimiterHint : 1
; COMPUTE_PGM_RSRC2:SCRATCH_EN: 0
; COMPUTE_PGM_RSRC2:USER_SGPR: 2
; COMPUTE_PGM_RSRC2:TRAP_HANDLER: 0
; COMPUTE_PGM_RSRC2:TGID_X_EN: 1
; COMPUTE_PGM_RSRC2:TGID_Y_EN: 0
; COMPUTE_PGM_RSRC2:TGID_Z_EN: 0
; COMPUTE_PGM_RSRC2:TIDIG_COMP_CNT: 0
	.section	.text._ZN9rocsparseL18bsrxmvn_4x4_kernelILj128ELj64EdlidddEEvT3_20rocsparse_direction_NS_24const_host_device_scalarIT1_EES1_PKS1_PKT2_SA_S7_PKT4_PKT5_S5_PT6_21rocsparse_index_base_b,"axG",@progbits,_ZN9rocsparseL18bsrxmvn_4x4_kernelILj128ELj64EdlidddEEvT3_20rocsparse_direction_NS_24const_host_device_scalarIT1_EES1_PKS1_PKT2_SA_S7_PKT4_PKT5_S5_PT6_21rocsparse_index_base_b,comdat
	.globl	_ZN9rocsparseL18bsrxmvn_4x4_kernelILj128ELj64EdlidddEEvT3_20rocsparse_direction_NS_24const_host_device_scalarIT1_EES1_PKS1_PKT2_SA_S7_PKT4_PKT5_S5_PT6_21rocsparse_index_base_b ; -- Begin function _ZN9rocsparseL18bsrxmvn_4x4_kernelILj128ELj64EdlidddEEvT3_20rocsparse_direction_NS_24const_host_device_scalarIT1_EES1_PKS1_PKT2_SA_S7_PKT4_PKT5_S5_PT6_21rocsparse_index_base_b
	.p2align	8
	.type	_ZN9rocsparseL18bsrxmvn_4x4_kernelILj128ELj64EdlidddEEvT3_20rocsparse_direction_NS_24const_host_device_scalarIT1_EES1_PKS1_PKT2_SA_S7_PKT4_PKT5_S5_PT6_21rocsparse_index_base_b,@function
_ZN9rocsparseL18bsrxmvn_4x4_kernelILj128ELj64EdlidddEEvT3_20rocsparse_direction_NS_24const_host_device_scalarIT1_EES1_PKS1_PKT2_SA_S7_PKT4_PKT5_S5_PT6_21rocsparse_index_base_b: ; @_ZN9rocsparseL18bsrxmvn_4x4_kernelILj128ELj64EdlidddEEvT3_20rocsparse_direction_NS_24const_host_device_scalarIT1_EES1_PKS1_PKT2_SA_S7_PKT4_PKT5_S5_PT6_21rocsparse_index_base_b
; %bb.0:
	s_clause 0x2
	s_load_b64 s[12:13], s[0:1], 0x58
	s_load_b64 s[4:5], s[0:1], 0x8
	;; [unrolled: 1-line block ×3, first 2 shown]
	s_wait_kmcnt 0x0
	s_bitcmp1_b32 s13, 0
	v_dual_mov_b32 v2, s4 :: v_dual_mov_b32 v3, s5
	s_cselect_b32 s6, -1, 0
	s_delay_alu instid0(SALU_CYCLE_1)
	s_and_b32 vcc_lo, exec_lo, s6
	s_xor_b32 s6, s6, -1
	s_cbranch_vccnz .LBB29_2
; %bb.1:
	v_dual_mov_b32 v1, s4 :: v_dual_mov_b32 v2, s5
	flat_load_b64 v[2:3], v[1:2]
.LBB29_2:
	v_dual_mov_b32 v9, s3 :: v_dual_mov_b32 v8, s2
	s_and_not1_b32 vcc_lo, exec_lo, s6
	s_cbranch_vccnz .LBB29_4
; %bb.3:
	v_dual_mov_b32 v5, s3 :: v_dual_mov_b32 v4, s2
	flat_load_b64 v[8:9], v[4:5]
.LBB29_4:
	s_wait_loadcnt_dscnt 0x0
	v_cmp_neq_f64_e32 vcc_lo, 0, v[2:3]
	v_cmp_neq_f64_e64 s2, 1.0, v[8:9]
	s_or_b32 s2, vcc_lo, s2
	s_wait_alu 0xfffe
	s_and_saveexec_b32 s3, s2
	s_cbranch_execz .LBB29_10
; %bb.5:
	s_clause 0x1
	s_load_b64 s[4:5], s[0:1], 0x18
	s_load_b64 s[2:3], s[0:1], 0x0
	v_lshrrev_b32_e32 v1, 6, v0
	s_delay_alu instid0(VALU_DEP_1)
	v_lshl_or_b32 v10, ttmp9, 1, v1
	s_wait_kmcnt 0x0
	s_cmp_lg_u64 s[4:5], 0
	s_cbranch_scc0 .LBB29_11
; %bb.6:
	s_load_b32 s6, s[0:1], 0x10
	s_mov_b32 s7, 0
                                        ; implicit-def: $vgpr1
	s_wait_kmcnt 0x0
	v_cmp_gt_i32_e32 vcc_lo, s6, v10
	s_mov_b32 s6, 0
	s_and_saveexec_b32 s8, vcc_lo
	s_delay_alu instid0(SALU_CYCLE_1)
	s_xor_b32 s8, exec_lo, s8
	s_cbranch_execz .LBB29_8
; %bb.7:
	v_ashrrev_i32_e32 v11, 31, v10
	s_mov_b32 s6, exec_lo
	s_delay_alu instid0(VALU_DEP_1) | instskip(NEXT) | instid1(VALU_DEP_1)
	v_lshlrev_b64_e32 v[4:5], 2, v[10:11]
	v_add_co_u32 v4, vcc_lo, s4, v4
	s_delay_alu instid0(VALU_DEP_1)
	v_add_co_ci_u32_e64 v5, null, s5, v5, vcc_lo
	global_load_b32 v1, v[4:5], off
	s_wait_loadcnt 0x0
	v_subrev_nc_u32_e32 v1, s12, v1
.LBB29_8:
	s_or_b32 exec_lo, exec_lo, s8
	s_delay_alu instid0(SALU_CYCLE_1)
	s_and_b32 vcc_lo, exec_lo, s7
	s_wait_alu 0xfffe
	s_cbranch_vccz .LBB29_12
.LBB29_9:
	v_cmp_gt_i32_e32 vcc_lo, s2, v10
	s_and_not1_b32 s2, s6, exec_lo
	s_and_b32 s4, vcc_lo, exec_lo
	s_wait_alu 0xfffe
	s_or_b32 s6, s2, s4
	s_wait_alu 0xfffe
	s_and_b32 exec_lo, exec_lo, s6
	s_cbranch_execnz .LBB29_13
.LBB29_10:
	s_nop 0
	s_sendmsg sendmsg(MSG_DEALLOC_VGPRS)
	s_endpgm
.LBB29_11:
	s_mov_b32 s6, 0
                                        ; implicit-def: $vgpr1
	s_cbranch_execnz .LBB29_9
.LBB29_12:
	v_mov_b32_e32 v10, v1
	s_and_b32 exec_lo, exec_lo, s6
	s_cbranch_execz .LBB29_10
.LBB29_13:
	s_load_b256 s[4:11], s[0:1], 0x20
	s_delay_alu instid0(VALU_DEP_1) | instskip(SKIP_1) | instid1(VALU_DEP_2)
	v_ashrrev_i32_e32 v11, 31, v10
	v_and_b32_e32 v31, 63, v0
	v_lshlrev_b64_e32 v[4:5], 3, v[10:11]
	s_wait_kmcnt 0x0
	s_delay_alu instid0(VALU_DEP_1) | instskip(SKIP_1) | instid1(VALU_DEP_2)
	v_add_co_u32 v6, vcc_lo, s4, v4
	s_wait_alu 0xfffd
	v_add_co_ci_u32_e64 v7, null, s5, v5, vcc_lo
	v_add_co_u32 v1, vcc_lo, s6, v4
	s_wait_alu 0xfffd
	v_add_co_ci_u32_e64 v4, null, s7, v5, vcc_lo
	v_add_co_u32 v11, vcc_lo, v6, 8
	global_load_b64 v[19:20], v[6:7], off
	s_wait_alu 0xfffd
	v_add_co_ci_u32_e64 v5, null, 0, v7, vcc_lo
	s_cmp_eq_u64 s[6:7], 0
	s_load_b64 s[4:5], s[0:1], 0x40
	s_cselect_b32 vcc_lo, -1, 0
	s_cmp_eq_u32 s3, 1
	s_wait_alu 0xfffe
	v_dual_cndmask_b32 v5, v4, v5 :: v_dual_cndmask_b32 v4, v1, v11
	global_load_b64 v[4:5], v[4:5], off
	s_wait_loadcnt 0x1
	v_sub_co_u32 v0, vcc_lo, v19, s12
	s_wait_alu 0xfffd
	v_subrev_co_ci_u32_e64 v1, null, 0, v20, vcc_lo
	s_delay_alu instid0(VALU_DEP_2) | instskip(SKIP_1) | instid1(VALU_DEP_2)
	v_add_co_u32 v0, vcc_lo, v0, v31
	s_wait_alu 0xfffd
	v_add_co_ci_u32_e64 v1, null, 0, v1, vcc_lo
	s_delay_alu instid0(VALU_DEP_1) | instskip(SKIP_4) | instid1(VALU_DEP_3)
	v_lshlrev_b64_e32 v[6:7], 7, v[0:1]
	s_wait_loadcnt 0x0
	v_sub_co_u32 v4, vcc_lo, v4, s12
	s_wait_alu 0xfffd
	v_subrev_co_ci_u32_e64 v5, null, 0, v5, vcc_lo
	v_add_co_u32 v6, vcc_lo, s10, v6
	s_delay_alu instid0(VALU_DEP_2)
	v_cmp_lt_i64_e64 s2, v[0:1], v[4:5]
	s_wait_alu 0xfffd
	v_add_co_ci_u32_e64 v7, null, s11, v7, vcc_lo
	s_cbranch_scc1 .LBB29_25
; %bb.14:
	v_mov_b32_e32 v11, 0
	v_dual_mov_b32 v17, 0 :: v_dual_mov_b32 v12, 0
	v_dual_mov_b32 v13, 0 :: v_dual_mov_b32 v18, 0
	v_dual_mov_b32 v15, 0 :: v_dual_mov_b32 v14, 0
	v_mov_b32_e32 v16, 0
	s_and_saveexec_b32 s6, s2
	s_cbranch_execz .LBB29_24
; %bb.15:
	v_or_b32_e32 v11, 64, v31
	v_not_b32_e32 v14, v19
	v_not_b32_e32 v13, v20
	v_dual_mov_b32 v24, v1 :: v_dual_mov_b32 v23, v0
	s_delay_alu instid0(VALU_DEP_4) | instskip(SKIP_3) | instid1(VALU_DEP_3)
	v_sub_co_u32 v11, s3, v11, s12
	s_wait_alu 0xf1ff
	v_sub_co_ci_u32_e64 v12, null, 0, 0, s3
	v_sub_co_u32 v15, s3, s12, v31
	v_add_co_u32 v11, vcc_lo, v11, v19
	s_wait_alu 0xfffd
	s_delay_alu instid0(VALU_DEP_3) | instskip(SKIP_3) | instid1(VALU_DEP_3)
	v_add_co_ci_u32_e64 v12, null, v12, v20, vcc_lo
	s_wait_alu 0xf1ff
	v_sub_co_ci_u32_e64 v16, null, 0, 0, s3
	v_mov_b32_e32 v17, 0
	v_cmp_gt_i64_e32 vcc_lo, v[11:12], v[4:5]
	v_mov_b32_e32 v18, 0
	s_wait_alu 0xfffd
	v_dual_cndmask_b32 v12, v5, v12 :: v_dual_cndmask_b32 v11, v4, v11
	v_add_co_u32 v14, vcc_lo, v15, v14
	s_wait_alu 0xfffd
	v_add_co_ci_u32_e64 v13, null, v16, v13, vcc_lo
	v_mov_b32_e32 v15, 0
	s_delay_alu instid0(VALU_DEP_3) | instskip(SKIP_3) | instid1(VALU_DEP_3)
	v_add_co_u32 v25, vcc_lo, v14, v11
	v_mov_b32_e32 v22, 0
	s_wait_alu 0xfffd
	v_add_co_ci_u32_e64 v26, null, v13, v12, vcc_lo
	v_and_b32_e32 v21, 0xc0, v25
	v_dual_mov_b32 v13, 0 :: v_dual_mov_b32 v16, 0
	v_dual_mov_b32 v14, 0 :: v_dual_mov_b32 v11, 0
	s_delay_alu instid0(VALU_DEP_3)
	v_cmp_ne_u64_e32 vcc_lo, 0xc0, v[21:22]
	v_mov_b32_e32 v12, 0
	v_dual_mov_b32 v22, v7 :: v_dual_mov_b32 v21, v6
	s_and_saveexec_b32 s7, vcc_lo
	s_cbranch_execz .LBB29_19
; %bb.16:
	v_lshrrev_b32_e32 v11, 6, v25
	v_lshlrev_b64_e32 v[15:16], 2, v[0:1]
	v_mov_b32_e32 v13, 0
	v_mov_b32_e32 v17, 0
	s_delay_alu instid0(VALU_DEP_4) | instskip(SKIP_3) | instid1(VALU_DEP_4)
	v_dual_mov_b32 v18, 0 :: v_dual_add_nc_u32 v23, 1, v11
	v_dual_mov_b32 v11, 0 :: v_dual_mov_b32 v22, v7
	v_mov_b32_e32 v12, 0
	v_add_co_u32 v27, vcc_lo, s8, v15
	v_and_b32_e32 v23, 3, v23
	s_wait_alu 0xfffd
	v_add_co_ci_u32_e64 v28, null, s9, v16, vcc_lo
	v_mov_b32_e32 v15, 0
	v_dual_mov_b32 v21, v6 :: v_dual_mov_b32 v14, 0
	v_sub_co_u32 v29, s3, 0, v23
	v_mov_b32_e32 v24, v1
	s_wait_alu 0xf1ff
	v_sub_co_ci_u32_e64 v30, null, 0, 0, s3
	v_dual_mov_b32 v16, 0 :: v_dual_mov_b32 v23, v0
	s_mov_b32 s10, 0
.LBB29_17:                              ; =>This Inner Loop Header: Depth=1
	global_load_b32 v60, v[27:28], off
	s_clause 0x6
	global_load_b128 v[32:35], v[21:22], off offset:48
	global_load_b128 v[36:39], v[21:22], off offset:32
	;; [unrolled: 1-line block ×3, first 2 shown]
	global_load_b128 v[44:47], v[21:22], off
	global_load_b128 v[48:51], v[21:22], off offset:112
	global_load_b128 v[52:55], v[21:22], off offset:96
	;; [unrolled: 1-line block ×3, first 2 shown]
	v_add_co_u32 v27, s3, 0x100, v27
	s_wait_alu 0xf1ff
	v_add_co_ci_u32_e64 v28, null, 0, v28, s3
	s_wait_loadcnt 0x7
	v_subrev_nc_u32_e32 v60, s12, v60
	s_delay_alu instid0(VALU_DEP_1) | instskip(NEXT) | instid1(VALU_DEP_1)
	v_lshlrev_b32_e32 v60, 2, v60
	v_ashrrev_i32_e32 v61, 31, v60
	s_delay_alu instid0(VALU_DEP_1) | instskip(SKIP_1) | instid1(VALU_DEP_1)
	v_lshlrev_b64_e32 v[60:61], 3, v[60:61]
	s_wait_kmcnt 0x0
	v_add_co_u32 v68, vcc_lo, s4, v60
	s_wait_alu 0xfffd
	s_delay_alu instid0(VALU_DEP_2)
	v_add_co_ci_u32_e64 v69, null, s5, v61, vcc_lo
	global_load_b128 v[60:63], v[21:22], off offset:64
	s_clause 0x1
	global_load_b128 v[64:67], v[68:69], off
	global_load_b128 v[68:71], v[68:69], off offset:16
	v_add_co_u32 v21, vcc_lo, 0x2000, v21
	s_wait_alu 0xfffd
	v_add_co_ci_u32_e64 v22, null, 0, v22, vcc_lo
	v_add_co_u32 v29, vcc_lo, v29, 1
	s_wait_alu 0xfffd
	v_add_co_ci_u32_e64 v30, null, 0, v30, vcc_lo
	;; [unrolled: 3-line block ×3, first 2 shown]
	s_delay_alu instid0(VALU_DEP_3)
	v_cmp_eq_u64_e32 vcc_lo, 0, v[29:30]
	s_wait_alu 0xfffe
	s_or_b32 s10, vcc_lo, s10
	s_wait_loadcnt 0x1
	v_fma_f64 v[15:16], v[44:45], v[64:65], v[15:16]
	v_fma_f64 v[17:18], v[36:37], v[64:65], v[17:18]
	;; [unrolled: 1-line block ×4, first 2 shown]
	s_delay_alu instid0(VALU_DEP_4) | instskip(NEXT) | instid1(VALU_DEP_4)
	v_fma_f64 v[15:16], v[46:47], v[66:67], v[15:16]
	v_fma_f64 v[17:18], v[38:39], v[66:67], v[17:18]
	s_delay_alu instid0(VALU_DEP_4) | instskip(NEXT) | instid1(VALU_DEP_4)
	v_fma_f64 v[13:14], v[62:63], v[66:67], v[13:14]
	v_fma_f64 v[11:12], v[54:55], v[66:67], v[11:12]
	s_wait_loadcnt 0x0
	s_delay_alu instid0(VALU_DEP_4) | instskip(NEXT) | instid1(VALU_DEP_4)
	v_fma_f64 v[15:16], v[40:41], v[68:69], v[15:16]
	v_fma_f64 v[17:18], v[32:33], v[68:69], v[17:18]
	s_delay_alu instid0(VALU_DEP_4) | instskip(NEXT) | instid1(VALU_DEP_4)
	v_fma_f64 v[13:14], v[56:57], v[68:69], v[13:14]
	v_fma_f64 v[11:12], v[48:49], v[68:69], v[11:12]
	;; [unrolled: 3-line block ×4, first 2 shown]
	s_wait_alu 0xfffe
	s_and_not1_b32 exec_lo, exec_lo, s10
	s_cbranch_execnz .LBB29_17
; %bb.18:
	s_or_b32 exec_lo, exec_lo, s10
.LBB29_19:
	s_wait_alu 0xfffe
	s_or_b32 exec_lo, exec_lo, s7
	s_delay_alu instid0(SALU_CYCLE_1)
	s_mov_b32 s7, exec_lo
	v_cmpx_lt_u64_e32 0xbf, v[25:26]
	s_cbranch_execz .LBB29_23
; %bb.20:
	v_lshlrev_b64_e32 v[25:26], 2, v[23:24]
	s_mov_b32 s10, 0
	s_delay_alu instid0(VALU_DEP_1) | instskip(SKIP_1) | instid1(VALU_DEP_2)
	v_add_co_u32 v25, vcc_lo, s8, v25
	s_wait_alu 0xfffd
	v_add_co_ci_u32_e64 v26, null, s9, v26, vcc_lo
	s_delay_alu instid0(VALU_DEP_2) | instskip(SKIP_1) | instid1(VALU_DEP_2)
	v_add_co_u32 v25, vcc_lo, 0x200, v25
	s_wait_alu 0xfffd
	v_add_co_ci_u32_e64 v26, null, 0, v26, vcc_lo
.LBB29_21:                              ; =>This Inner Loop Header: Depth=1
	s_clause 0x2
	global_load_b32 v56, v[25:26], off offset:-512
	global_load_b32 v96, v[25:26], off offset:-256
	global_load_b32 v136, v[25:26], off
	s_clause 0x6
	global_load_b128 v[27:30], v[21:22], off offset:48
	global_load_b128 v[32:35], v[21:22], off offset:32
	;; [unrolled: 1-line block ×3, first 2 shown]
	global_load_b128 v[40:43], v[21:22], off
	global_load_b128 v[44:47], v[21:22], off offset:112
	global_load_b128 v[48:51], v[21:22], off offset:96
	;; [unrolled: 1-line block ×3, first 2 shown]
	global_load_b32 v146, v[25:26], off offset:256
	v_add_co_u32 v25, s3, 0x400, v25
	s_wait_alu 0xf1ff
	v_add_co_ci_u32_e64 v26, null, 0, v26, s3
	s_wait_loadcnt 0xa
	v_subrev_nc_u32_e32 v56, s12, v56
	s_wait_loadcnt 0x9
	v_subrev_nc_u32_e32 v96, s12, v96
	;; [unrolled: 2-line block ×3, first 2 shown]
	v_lshlrev_b32_e32 v56, 2, v56
	s_delay_alu instid0(VALU_DEP_3) | instskip(NEXT) | instid1(VALU_DEP_3)
	v_lshlrev_b32_e32 v96, 2, v96
	v_lshlrev_b32_e32 v136, 2, v136
	s_delay_alu instid0(VALU_DEP_3) | instskip(NEXT) | instid1(VALU_DEP_3)
	v_ashrrev_i32_e32 v57, 31, v56
	v_ashrrev_i32_e32 v97, 31, v96
	s_delay_alu instid0(VALU_DEP_3) | instskip(NEXT) | instid1(VALU_DEP_3)
	v_ashrrev_i32_e32 v137, 31, v136
	v_lshlrev_b64_e32 v[56:57], 3, v[56:57]
	s_delay_alu instid0(VALU_DEP_3) | instskip(NEXT) | instid1(VALU_DEP_3)
	v_lshlrev_b64_e32 v[96:97], 3, v[96:97]
	v_lshlrev_b64_e32 v[136:137], 3, v[136:137]
	s_wait_kmcnt 0x0
	s_delay_alu instid0(VALU_DEP_3)
	v_add_co_u32 v64, vcc_lo, s4, v56
	s_wait_alu 0xfffd
	v_add_co_ci_u32_e64 v65, null, s5, v57, vcc_lo
	v_add_co_u32 v104, vcc_lo, s4, v96
	global_load_b128 v[56:59], v[21:22], off offset:64
	s_clause 0x1
	global_load_b128 v[60:63], v[64:65], off
	global_load_b128 v[64:67], v[64:65], off offset:16
	s_clause 0x6
	global_load_b128 v[68:71], v[21:22], off offset:8240
	global_load_b128 v[72:75], v[21:22], off offset:8224
	;; [unrolled: 1-line block ×7, first 2 shown]
	s_wait_alu 0xfffd
	v_add_co_ci_u32_e64 v105, null, s5, v97, vcc_lo
	global_load_b128 v[96:99], v[21:22], off offset:8256
	s_clause 0x1
	global_load_b128 v[100:103], v[104:105], off
	global_load_b128 v[104:107], v[104:105], off offset:16
	s_clause 0x6
	global_load_b128 v[108:111], v[21:22], off offset:16432
	global_load_b128 v[112:115], v[21:22], off offset:16416
	;; [unrolled: 1-line block ×7, first 2 shown]
	v_add_co_u32 v144, vcc_lo, s4, v136
	s_wait_alu 0xfffd
	v_add_co_ci_u32_e64 v145, null, s5, v137, vcc_lo
	global_load_b128 v[136:139], v[21:22], off offset:16448
	global_load_b128 v[140:143], v[144:145], off
	s_wait_loadcnt 0x14
	v_fma_f64 v[15:16], v[40:41], v[60:61], v[15:16]
	v_fma_f64 v[17:18], v[32:33], v[60:61], v[17:18]
	;; [unrolled: 1-line block ×4, first 2 shown]
	v_subrev_nc_u32_e32 v60, s12, v146
	s_delay_alu instid0(VALU_DEP_1) | instskip(NEXT) | instid1(VALU_DEP_1)
	v_lshlrev_b32_e32 v60, 2, v60
	v_ashrrev_i32_e32 v61, 31, v60
	v_fma_f64 v[15:16], v[42:43], v[62:63], v[15:16]
	v_fma_f64 v[17:18], v[34:35], v[62:63], v[17:18]
	;; [unrolled: 1-line block ×4, first 2 shown]
	global_load_b128 v[11:14], v[144:145], off offset:16
	s_wait_loadcnt 0x14
	v_fma_f64 v[36:37], v[36:37], v[64:65], v[15:16]
	v_fma_f64 v[27:28], v[27:28], v[64:65], v[17:18]
	;; [unrolled: 1-line block ×4, first 2 shown]
	s_clause 0x4
	global_load_b128 v[15:18], v[21:22], off offset:24624
	global_load_b128 v[32:35], v[21:22], off offset:24608
	;; [unrolled: 1-line block ×5, first 2 shown]
	v_fma_f64 v[62:63], v[38:39], v[66:67], v[36:37]
	v_fma_f64 v[64:65], v[29:30], v[66:67], v[27:28]
	;; [unrolled: 1-line block ×4, first 2 shown]
	v_lshlrev_b64_e32 v[27:28], 3, v[60:61]
	s_delay_alu instid0(VALU_DEP_1) | instskip(SKIP_1) | instid1(VALU_DEP_2)
	v_add_co_u32 v60, vcc_lo, s4, v27
	s_wait_alu 0xfffd
	v_add_co_ci_u32_e64 v61, null, s5, v28, vcc_lo
	global_load_b128 v[27:30], v[21:22], off offset:24640
	global_load_b128 v[36:39], v[60:61], off
	v_add_co_u32 v23, vcc_lo, 0x100, v23
	s_wait_alu 0xfffd
	v_add_co_ci_u32_e64 v24, null, 0, v24, vcc_lo
	s_wait_loadcnt 0x12
	v_fma_f64 v[46:47], v[80:81], v[100:101], v[62:63]
	v_fma_f64 v[54:55], v[72:73], v[100:101], v[64:65]
	;; [unrolled: 1-line block ×4, first 2 shown]
	s_delay_alu instid0(VALU_DEP_4) | instskip(NEXT) | instid1(VALU_DEP_4)
	v_fma_f64 v[64:65], v[82:83], v[102:103], v[46:47]
	v_fma_f64 v[66:67], v[74:75], v[102:103], v[54:55]
	s_delay_alu instid0(VALU_DEP_4) | instskip(NEXT) | instid1(VALU_DEP_4)
	v_fma_f64 v[72:73], v[98:99], v[102:103], v[52:53]
	v_fma_f64 v[74:75], v[90:91], v[102:103], v[44:45]
	s_clause 0x1
	global_load_b128 v[44:47], v[21:22], off offset:24688
	global_load_b128 v[52:55], v[21:22], off offset:24656
	;; [unrolled: 1-line block ×3, first 2 shown]
	v_add_co_u32 v21, vcc_lo, 0x8000, v21
	s_wait_alu 0xfffd
	v_add_co_ci_u32_e64 v22, null, 0, v22, vcc_lo
	v_cmp_ge_i64_e32 vcc_lo, v[23:24], v[4:5]
	s_wait_alu 0xfffe
	s_or_b32 s10, vcc_lo, s10
	s_wait_loadcnt 0x14
	v_fma_f64 v[64:65], v[76:77], v[104:105], v[64:65]
	v_fma_f64 v[66:67], v[68:69], v[104:105], v[66:67]
	;; [unrolled: 1-line block ×4, first 2 shown]
	s_delay_alu instid0(VALU_DEP_4) | instskip(NEXT) | instid1(VALU_DEP_4)
	v_fma_f64 v[64:65], v[78:79], v[106:107], v[64:65]
	v_fma_f64 v[66:67], v[70:71], v[106:107], v[66:67]
	s_delay_alu instid0(VALU_DEP_4) | instskip(NEXT) | instid1(VALU_DEP_4)
	v_fma_f64 v[68:69], v[94:95], v[106:107], v[68:69]
	v_fma_f64 v[70:71], v[86:87], v[106:107], v[72:73]
	s_wait_loadcnt 0xb
	s_delay_alu instid0(VALU_DEP_4) | instskip(NEXT) | instid1(VALU_DEP_4)
	v_fma_f64 v[64:65], v[120:121], v[140:141], v[64:65]
	v_fma_f64 v[66:67], v[112:113], v[140:141], v[66:67]
	s_delay_alu instid0(VALU_DEP_4) | instskip(NEXT) | instid1(VALU_DEP_4)
	v_fma_f64 v[68:69], v[136:137], v[140:141], v[68:69]
	v_fma_f64 v[70:71], v[128:129], v[140:141], v[70:71]
	s_delay_alu instid0(VALU_DEP_4) | instskip(NEXT) | instid1(VALU_DEP_4)
	v_fma_f64 v[64:65], v[122:123], v[142:143], v[64:65]
	v_fma_f64 v[66:67], v[114:115], v[142:143], v[66:67]
	s_delay_alu instid0(VALU_DEP_4) | instskip(NEXT) | instid1(VALU_DEP_4)
	v_fma_f64 v[68:69], v[138:139], v[142:143], v[68:69]
	v_fma_f64 v[70:71], v[130:131], v[142:143], v[70:71]
	s_wait_loadcnt 0xa
	s_delay_alu instid0(VALU_DEP_4) | instskip(NEXT) | instid1(VALU_DEP_4)
	v_fma_f64 v[64:65], v[116:117], v[11:12], v[64:65]
	v_fma_f64 v[66:67], v[108:109], v[11:12], v[66:67]
	s_delay_alu instid0(VALU_DEP_4) | instskip(NEXT) | instid1(VALU_DEP_4)
	v_fma_f64 v[68:69], v[132:133], v[11:12], v[68:69]
	v_fma_f64 v[11:12], v[124:125], v[11:12], v[70:71]
	;; [unrolled: 13-line block ×4, first 2 shown]
	s_delay_alu instid0(VALU_DEP_4) | instskip(NEXT) | instid1(VALU_DEP_4)
	v_fma_f64 v[15:16], v[42:43], v[62:63], v[13:14]
	v_fma_f64 v[17:18], v[17:18], v[62:63], v[29:30]
	s_delay_alu instid0(VALU_DEP_4) | instskip(NEXT) | instid1(VALU_DEP_4)
	v_fma_f64 v[13:14], v[54:55], v[62:63], v[27:28]
	v_fma_f64 v[11:12], v[46:47], v[62:63], v[11:12]
	s_wait_alu 0xfffe
	s_and_not1_b32 exec_lo, exec_lo, s10
	s_cbranch_execnz .LBB29_21
; %bb.22:
	s_or_b32 exec_lo, exec_lo, s10
.LBB29_23:
	s_wait_alu 0xfffe
	s_or_b32 exec_lo, exec_lo, s7
.LBB29_24:
	s_wait_alu 0xfffe
	s_or_b32 exec_lo, exec_lo, s6
	s_cbranch_execz .LBB29_26
	s_branch .LBB29_37
.LBB29_25:
                                        ; implicit-def: $vgpr11_vgpr12
                                        ; implicit-def: $vgpr13_vgpr14
                                        ; implicit-def: $vgpr17_vgpr18
                                        ; implicit-def: $vgpr15_vgpr16
.LBB29_26:
	v_mov_b32_e32 v11, 0
	v_dual_mov_b32 v17, 0 :: v_dual_mov_b32 v12, 0
	v_dual_mov_b32 v13, 0 :: v_dual_mov_b32 v18, 0
	;; [unrolled: 1-line block ×3, first 2 shown]
	v_mov_b32_e32 v16, 0
	s_and_saveexec_b32 s3, s2
	s_cbranch_execz .LBB29_36
; %bb.27:
	v_or_b32_e32 v11, 64, v31
	v_not_b32_e32 v14, v19
	v_not_b32_e32 v13, v20
	s_delay_alu instid0(VALU_DEP_3) | instskip(SKIP_3) | instid1(VALU_DEP_3)
	v_sub_co_u32 v11, s2, v11, s12
	s_wait_alu 0xf1ff
	v_sub_co_ci_u32_e64 v12, null, 0, 0, s2
	v_sub_co_u32 v15, s2, s12, v31
	v_add_co_u32 v11, vcc_lo, v11, v19
	s_wait_alu 0xfffd
	s_delay_alu instid0(VALU_DEP_3) | instskip(SKIP_2) | instid1(VALU_DEP_2)
	v_add_co_ci_u32_e64 v12, null, v12, v20, vcc_lo
	s_wait_alu 0xf1ff
	v_sub_co_ci_u32_e64 v16, null, 0, 0, s2
	v_cmp_gt_i64_e32 vcc_lo, v[11:12], v[4:5]
	s_wait_alu 0xfffd
	v_cndmask_b32_e32 v17, v5, v12, vcc_lo
	v_cndmask_b32_e32 v11, v4, v11, vcc_lo
	v_add_co_u32 v12, vcc_lo, v15, v14
	s_wait_alu 0xfffd
	v_add_co_ci_u32_e64 v13, null, v16, v13, vcc_lo
	v_mov_b32_e32 v15, 0
	v_mov_b32_e32 v16, 0
	v_add_co_u32 v19, vcc_lo, v12, v11
	v_mov_b32_e32 v12, 0
	s_wait_alu 0xfffd
	v_add_co_ci_u32_e64 v20, null, v13, v17, vcc_lo
	s_delay_alu instid0(VALU_DEP_3) | instskip(SKIP_3) | instid1(VALU_DEP_4)
	v_and_b32_e32 v11, 0xc0, v19
	v_mov_b32_e32 v17, 0
	v_dual_mov_b32 v18, 0 :: v_dual_mov_b32 v13, 0
	v_mov_b32_e32 v14, 0
	v_cmp_ne_u64_e32 vcc_lo, 0xc0, v[11:12]
	v_mov_b32_e32 v11, 0
	v_mov_b32_e32 v12, 0
	s_and_saveexec_b32 s6, vcc_lo
	s_cbranch_execz .LBB29_31
; %bb.28:
	v_lshrrev_b32_e32 v11, 6, v19
	v_lshlrev_b64_e32 v[21:22], 2, v[0:1]
	v_mov_b32_e32 v13, 0
	v_mov_b32_e32 v17, 0
	;; [unrolled: 1-line block ×3, first 2 shown]
	v_add_nc_u32_e32 v23, 1, v11
	v_dual_mov_b32 v11, 0 :: v_dual_mov_b32 v14, 0
	v_mov_b32_e32 v12, 0
	v_add_co_u32 v21, vcc_lo, s8, v21
	s_delay_alu instid0(VALU_DEP_4) | instskip(SKIP_3) | instid1(VALU_DEP_3)
	v_dual_mov_b32 v18, 0 :: v_dual_and_b32 v23, 3, v23
	v_mov_b32_e32 v16, 0
	s_wait_alu 0xfffd
	v_add_co_ci_u32_e64 v22, null, s9, v22, vcc_lo
	v_sub_co_u32 v23, s2, 0, v23
	s_wait_alu 0xf1ff
	v_sub_co_ci_u32_e64 v24, null, 0, 0, s2
	s_mov_b32 s7, 0
.LBB29_29:                              ; =>This Inner Loop Header: Depth=1
	global_load_b32 v29, v[21:22], off
	global_load_b128 v[25:28], v[6:7], off offset:16
	v_add_co_u32 v21, s2, 0x100, v21
	s_wait_alu 0xf1ff
	v_add_co_ci_u32_e64 v22, null, 0, v22, s2
	s_wait_loadcnt 0x1
	v_subrev_nc_u32_e32 v29, s12, v29
	s_delay_alu instid0(VALU_DEP_1) | instskip(NEXT) | instid1(VALU_DEP_1)
	v_lshlrev_b32_e32 v29, 2, v29
	v_ashrrev_i32_e32 v30, 31, v29
	s_delay_alu instid0(VALU_DEP_1) | instskip(SKIP_1) | instid1(VALU_DEP_1)
	v_lshlrev_b64_e32 v[29:30], 3, v[29:30]
	s_wait_kmcnt 0x0
	v_add_co_u32 v29, vcc_lo, s4, v29
	s_wait_alu 0xfffd
	s_delay_alu instid0(VALU_DEP_2)
	v_add_co_ci_u32_e64 v30, null, s5, v30, vcc_lo
	global_load_b128 v[32:35], v[6:7], off
	s_clause 0x1
	global_load_b128 v[36:39], v[29:30], off
	global_load_b128 v[40:43], v[29:30], off offset:16
	s_clause 0x5
	global_load_b128 v[44:47], v[6:7], off offset:32
	global_load_b128 v[48:51], v[6:7], off offset:48
	;; [unrolled: 1-line block ×6, first 2 shown]
	v_add_co_u32 v6, vcc_lo, 0x2000, v6
	s_wait_alu 0xfffd
	v_add_co_ci_u32_e64 v7, null, 0, v7, vcc_lo
	v_add_co_u32 v23, vcc_lo, v23, 1
	s_wait_alu 0xfffd
	v_add_co_ci_u32_e64 v24, null, 0, v24, vcc_lo
	;; [unrolled: 3-line block ×3, first 2 shown]
	s_delay_alu instid0(VALU_DEP_3)
	v_cmp_eq_u64_e32 vcc_lo, 0, v[23:24]
	s_wait_alu 0xfffe
	s_or_b32 s7, vcc_lo, s7
	s_wait_loadcnt 0x7
	v_fma_f64 v[15:16], v[32:33], v[36:37], v[15:16]
	v_fma_f64 v[17:18], v[34:35], v[36:37], v[17:18]
	;; [unrolled: 1-line block ×4, first 2 shown]
	s_wait_loadcnt 0x5
	s_delay_alu instid0(VALU_DEP_4) | instskip(NEXT) | instid1(VALU_DEP_4)
	v_fma_f64 v[15:16], v[44:45], v[38:39], v[15:16]
	v_fma_f64 v[17:18], v[46:47], v[38:39], v[17:18]
	s_wait_loadcnt 0x4
	s_delay_alu instid0(VALU_DEP_4) | instskip(NEXT) | instid1(VALU_DEP_4)
	v_fma_f64 v[13:14], v[48:49], v[38:39], v[13:14]
	v_fma_f64 v[11:12], v[50:51], v[38:39], v[11:12]
	;; [unrolled: 4-line block ×6, first 2 shown]
	s_wait_alu 0xfffe
	s_and_not1_b32 exec_lo, exec_lo, s7
	s_cbranch_execnz .LBB29_29
; %bb.30:
	s_or_b32 exec_lo, exec_lo, s7
.LBB29_31:
	s_wait_alu 0xfffe
	s_or_b32 exec_lo, exec_lo, s6
	s_delay_alu instid0(SALU_CYCLE_1)
	s_mov_b32 s6, exec_lo
	v_cmpx_lt_u64_e32 0xbf, v[19:20]
	s_cbranch_execz .LBB29_35
; %bb.32:
	v_lshlrev_b64_e32 v[19:20], 2, v[0:1]
	s_mov_b32 s7, 0
	s_delay_alu instid0(VALU_DEP_1) | instskip(SKIP_1) | instid1(VALU_DEP_2)
	v_add_co_u32 v19, vcc_lo, s8, v19
	s_wait_alu 0xfffd
	v_add_co_ci_u32_e64 v20, null, s9, v20, vcc_lo
	s_delay_alu instid0(VALU_DEP_2) | instskip(SKIP_1) | instid1(VALU_DEP_2)
	v_add_co_u32 v19, vcc_lo, 0x200, v19
	s_wait_alu 0xfffd
	v_add_co_ci_u32_e64 v20, null, 0, v20, vcc_lo
.LBB29_33:                              ; =>This Inner Loop Header: Depth=1
	s_clause 0x2
	global_load_b32 v25, v[19:20], off offset:-512
	global_load_b32 v68, v[19:20], off offset:-256
	global_load_b32 v108, v[19:20], off
	global_load_b128 v[21:24], v[6:7], off offset:16
	global_load_b32 v118, v[19:20], off offset:256
	v_add_co_u32 v19, s2, 0x400, v19
	s_wait_alu 0xf1ff
	v_add_co_ci_u32_e64 v20, null, 0, v20, s2
	s_wait_loadcnt 0x4
	v_subrev_nc_u32_e32 v25, s12, v25
	s_delay_alu instid0(VALU_DEP_1) | instskip(NEXT) | instid1(VALU_DEP_1)
	v_lshlrev_b32_e32 v25, 2, v25
	v_ashrrev_i32_e32 v26, 31, v25
	s_delay_alu instid0(VALU_DEP_1) | instskip(SKIP_1) | instid1(VALU_DEP_1)
	v_lshlrev_b64_e32 v[25:26], 3, v[25:26]
	s_wait_kmcnt 0x0
	v_add_co_u32 v29, vcc_lo, s4, v25
	s_wait_alu 0xfffd
	s_delay_alu instid0(VALU_DEP_2)
	v_add_co_ci_u32_e64 v30, null, s5, v26, vcc_lo
	global_load_b128 v[25:28], v[6:7], off
	global_load_b128 v[32:35], v[29:30], off
	s_clause 0x3
	global_load_b128 v[36:39], v[6:7], off offset:32
	global_load_b128 v[40:43], v[6:7], off offset:48
	;; [unrolled: 1-line block ×5, first 2 shown]
	s_clause 0x2
	global_load_b128 v[56:59], v[6:7], off offset:96
	global_load_b128 v[60:63], v[6:7], off offset:112
	;; [unrolled: 1-line block ×3, first 2 shown]
	s_wait_loadcnt 0xd
	v_subrev_nc_u32_e32 v29, s12, v68
	s_delay_alu instid0(VALU_DEP_1) | instskip(NEXT) | instid1(VALU_DEP_1)
	v_lshlrev_b32_e32 v29, 2, v29
	v_ashrrev_i32_e32 v30, 31, v29
	s_delay_alu instid0(VALU_DEP_1) | instskip(NEXT) | instid1(VALU_DEP_1)
	v_lshlrev_b64_e32 v[29:30], 3, v[29:30]
	v_add_co_u32 v29, vcc_lo, s4, v29
	s_wait_alu 0xfffd
	s_delay_alu instid0(VALU_DEP_2)
	v_add_co_ci_u32_e64 v30, null, s5, v30, vcc_lo
	global_load_b128 v[68:71], v[6:7], off offset:8192
	global_load_b128 v[72:75], v[29:30], off
	s_clause 0x3
	global_load_b128 v[76:79], v[6:7], off offset:8224
	global_load_b128 v[80:83], v[6:7], off offset:8240
	;; [unrolled: 1-line block ×5, first 2 shown]
	s_clause 0x2
	global_load_b128 v[96:99], v[6:7], off offset:8288
	global_load_b128 v[100:103], v[6:7], off offset:8304
	;; [unrolled: 1-line block ×3, first 2 shown]
	s_wait_loadcnt 0x16
	v_subrev_nc_u32_e32 v29, s12, v108
	s_delay_alu instid0(VALU_DEP_1) | instskip(NEXT) | instid1(VALU_DEP_1)
	v_lshlrev_b32_e32 v29, 2, v29
	v_ashrrev_i32_e32 v30, 31, v29
	s_delay_alu instid0(VALU_DEP_1) | instskip(NEXT) | instid1(VALU_DEP_1)
	v_lshlrev_b64_e32 v[29:30], 3, v[29:30]
	v_add_co_u32 v29, vcc_lo, s4, v29
	s_wait_alu 0xfffd
	s_delay_alu instid0(VALU_DEP_2)
	v_add_co_ci_u32_e64 v30, null, s5, v30, vcc_lo
	global_load_b128 v[108:111], v[6:7], off offset:16384
	global_load_b128 v[112:115], v[29:30], off
	s_wait_loadcnt 0x14
	v_fma_f64 v[25:26], v[25:26], v[32:33], v[15:16]
	v_fma_f64 v[27:28], v[27:28], v[32:33], v[17:18]
	v_fma_f64 v[21:22], v[21:22], v[32:33], v[13:14]
	v_fma_f64 v[23:24], v[23:24], v[32:33], v[11:12]
	s_clause 0x1
	global_load_b128 v[11:14], v[6:7], off offset:16416
	global_load_b128 v[15:18], v[6:7], off offset:16432
	s_wait_loadcnt 0x15
	v_fma_f64 v[36:37], v[36:37], v[34:35], v[25:26]
	v_fma_f64 v[38:39], v[38:39], v[34:35], v[27:28]
	s_wait_loadcnt 0x14
	v_fma_f64 v[40:41], v[40:41], v[34:35], v[21:22]
	v_fma_f64 v[42:43], v[42:43], v[34:35], v[23:24]
	s_clause 0x1
	global_load_b128 v[21:24], v[6:7], off offset:16448
	global_load_b128 v[25:28], v[6:7], off offset:16464
	;; [unrolled: 1-line block ×3, first 2 shown]
	s_wait_loadcnt 0x14
	v_fma_f64 v[29:30], v[44:45], v[52:53], v[36:37]
	v_fma_f64 v[116:117], v[46:47], v[52:53], v[38:39]
	v_fma_f64 v[48:49], v[48:49], v[52:53], v[40:41]
	v_fma_f64 v[50:51], v[50:51], v[52:53], v[42:43]
	s_clause 0x2
	global_load_b128 v[36:39], v[6:7], off offset:16480
	global_load_b128 v[40:43], v[6:7], off offset:16496
	global_load_b128 v[44:47], v[6:7], off offset:24592
	v_subrev_nc_u32_e32 v52, s12, v118
	s_delay_alu instid0(VALU_DEP_1) | instskip(NEXT) | instid1(VALU_DEP_1)
	v_lshlrev_b32_e32 v52, 2, v52
	v_ashrrev_i32_e32 v53, 31, v52
	s_wait_loadcnt 0x16
	v_fma_f64 v[29:30], v[56:57], v[54:55], v[29:30]
	v_fma_f64 v[56:57], v[58:59], v[54:55], v[116:117]
	s_wait_loadcnt 0x15
	v_fma_f64 v[58:59], v[60:61], v[54:55], v[48:49]
	v_fma_f64 v[60:61], v[62:63], v[54:55], v[50:51]
	v_lshlrev_b64_e32 v[48:49], 3, v[52:53]
	s_delay_alu instid0(VALU_DEP_1) | instskip(SKIP_1) | instid1(VALU_DEP_2)
	v_add_co_u32 v116, vcc_lo, s4, v48
	s_wait_alu 0xfffd
	v_add_co_ci_u32_e64 v117, null, s5, v49, vcc_lo
	global_load_b128 v[48:51], v[6:7], off offset:24576
	global_load_b128 v[52:55], v[116:117], off
	v_add_co_u32 v0, vcc_lo, 0x100, v0
	s_wait_alu 0xfffd
	v_add_co_ci_u32_e64 v1, null, 0, v1, vcc_lo
	s_wait_loadcnt 0x14
	v_fma_f64 v[29:30], v[68:69], v[72:73], v[29:30]
	v_fma_f64 v[68:69], v[70:71], v[72:73], v[56:57]
	;; [unrolled: 1-line block ×4, first 2 shown]
	s_clause 0x1
	global_load_b128 v[56:59], v[6:7], off offset:24608
	global_load_b128 v[60:63], v[6:7], off offset:24624
	s_wait_loadcnt 0x15
	v_fma_f64 v[29:30], v[76:77], v[74:75], v[29:30]
	v_fma_f64 v[76:77], v[78:79], v[74:75], v[68:69]
	s_wait_loadcnt 0x14
	v_fma_f64 v[78:79], v[80:81], v[74:75], v[64:65]
	v_fma_f64 v[80:81], v[82:83], v[74:75], v[66:67]
	s_clause 0x1
	global_load_b128 v[64:67], v[6:7], off offset:24640
	global_load_b128 v[68:71], v[6:7], off offset:24656
	;; [unrolled: 1-line block ×3, first 2 shown]
	s_wait_loadcnt 0x14
	v_fma_f64 v[29:30], v[84:85], v[92:93], v[29:30]
	v_fma_f64 v[84:85], v[86:87], v[92:93], v[76:77]
	;; [unrolled: 1-line block ×4, first 2 shown]
	s_clause 0x1
	global_load_b128 v[76:79], v[6:7], off offset:24672
	global_load_b128 v[80:83], v[6:7], off offset:24688
	v_add_co_u32 v6, vcc_lo, 0x8000, v6
	s_wait_alu 0xfffd
	v_add_co_ci_u32_e64 v7, null, 0, v7, vcc_lo
	v_cmp_ge_i64_e32 vcc_lo, v[0:1], v[4:5]
	s_wait_alu 0xfffe
	s_or_b32 s7, vcc_lo, s7
	s_wait_loadcnt 0x15
	v_fma_f64 v[29:30], v[96:97], v[94:95], v[29:30]
	v_fma_f64 v[84:85], v[98:99], v[94:95], v[84:85]
	s_wait_loadcnt 0x14
	v_fma_f64 v[86:87], v[100:101], v[94:95], v[86:87]
	v_fma_f64 v[88:89], v[102:103], v[94:95], v[88:89]
	s_wait_loadcnt 0x11
	s_delay_alu instid0(VALU_DEP_4) | instskip(NEXT) | instid1(VALU_DEP_4)
	v_fma_f64 v[29:30], v[108:109], v[112:113], v[29:30]
	v_fma_f64 v[84:85], v[110:111], v[112:113], v[84:85]
	s_delay_alu instid0(VALU_DEP_4) | instskip(NEXT) | instid1(VALU_DEP_4)
	v_fma_f64 v[86:87], v[104:105], v[112:113], v[86:87]
	v_fma_f64 v[88:89], v[106:107], v[112:113], v[88:89]
	s_wait_loadcnt 0x10
	s_delay_alu instid0(VALU_DEP_4) | instskip(NEXT) | instid1(VALU_DEP_4)
	v_fma_f64 v[11:12], v[11:12], v[114:115], v[29:30]
	v_fma_f64 v[13:14], v[13:14], v[114:115], v[84:85]
	s_wait_loadcnt 0xf
	s_delay_alu instid0(VALU_DEP_4) | instskip(NEXT) | instid1(VALU_DEP_4)
	v_fma_f64 v[15:16], v[15:16], v[114:115], v[86:87]
	v_fma_f64 v[17:18], v[17:18], v[114:115], v[88:89]
	s_wait_loadcnt 0xc
	s_delay_alu instid0(VALU_DEP_4) | instskip(NEXT) | instid1(VALU_DEP_4)
	v_fma_f64 v[11:12], v[21:22], v[32:33], v[11:12]
	v_fma_f64 v[13:14], v[23:24], v[32:33], v[13:14]
	s_delay_alu instid0(VALU_DEP_4) | instskip(NEXT) | instid1(VALU_DEP_4)
	v_fma_f64 v[15:16], v[25:26], v[32:33], v[15:16]
	v_fma_f64 v[17:18], v[27:28], v[32:33], v[17:18]
	s_wait_loadcnt 0xb
	s_delay_alu instid0(VALU_DEP_4) | instskip(NEXT) | instid1(VALU_DEP_4)
	v_fma_f64 v[11:12], v[36:37], v[34:35], v[11:12]
	v_fma_f64 v[13:14], v[38:39], v[34:35], v[13:14]
	s_wait_loadcnt 0xa
	s_delay_alu instid0(VALU_DEP_4) | instskip(NEXT) | instid1(VALU_DEP_4)
	;; [unrolled: 15-line block ×4, first 2 shown]
	v_fma_f64 v[13:14], v[80:81], v[74:75], v[21:22]
	v_fma_f64 v[11:12], v[82:83], v[74:75], v[23:24]
	s_wait_alu 0xfffe
	s_and_not1_b32 exec_lo, exec_lo, s7
	s_cbranch_execnz .LBB29_33
; %bb.34:
	s_or_b32 exec_lo, exec_lo, s7
.LBB29_35:
	s_wait_alu 0xfffe
	s_or_b32 exec_lo, exec_lo, s6
.LBB29_36:
	s_wait_alu 0xfffe
	s_or_b32 exec_lo, exec_lo, s3
.LBB29_37:
	v_mbcnt_lo_u32_b32 v23, -1, 0
	s_delay_alu instid0(VALU_DEP_1) | instskip(NEXT) | instid1(VALU_DEP_1)
	v_or_b32_e32 v0, 32, v23
	v_cmp_gt_i32_e32 vcc_lo, 32, v0
	s_wait_alu 0xfffd
	v_cndmask_b32_e32 v0, v23, v0, vcc_lo
	s_delay_alu instid0(VALU_DEP_1)
	v_lshlrev_b32_e32 v20, 2, v0
	ds_bpermute_b32 v6, v20, v13
	ds_bpermute_b32 v7, v20, v14
	s_wait_dscnt 0x0
	v_add_f64_e32 v[6:7], v[13:14], v[6:7]
	v_xor_b32_e32 v13, 16, v23
	s_delay_alu instid0(VALU_DEP_1)
	v_cmp_gt_i32_e32 vcc_lo, 32, v13
	s_wait_alu 0xfffd
	v_cndmask_b32_e32 v13, v23, v13, vcc_lo
	ds_bpermute_b32 v0, v20, v15
	ds_bpermute_b32 v1, v20, v16
	ds_bpermute_b32 v4, v20, v17
	ds_bpermute_b32 v5, v20, v18
	ds_bpermute_b32 v19, v20, v11
	ds_bpermute_b32 v20, v20, v12
	s_wait_dscnt 0x4
	v_add_f64_e32 v[0:1], v[15:16], v[0:1]
	s_wait_dscnt 0x2
	v_add_f64_e32 v[4:5], v[17:18], v[4:5]
	;; [unrolled: 2-line block ×3, first 2 shown]
	v_lshlrev_b32_e32 v20, 2, v13
	ds_bpermute_b32 v17, v20, v6
	ds_bpermute_b32 v18, v20, v7
	s_wait_dscnt 0x0
	v_add_f64_e32 v[6:7], v[6:7], v[17:18]
	ds_bpermute_b32 v13, v20, v0
	ds_bpermute_b32 v14, v20, v1
	;; [unrolled: 1-line block ×6, first 2 shown]
	s_wait_dscnt 0x4
	v_add_f64_e32 v[0:1], v[0:1], v[13:14]
	v_xor_b32_e32 v13, 8, v23
	s_wait_dscnt 0x2
	v_add_f64_e32 v[4:5], v[4:5], v[15:16]
	s_wait_dscnt 0x0
	v_add_f64_e32 v[11:12], v[11:12], v[19:20]
	v_cmp_gt_i32_e32 vcc_lo, 32, v13
	s_wait_alu 0xfffd
	v_cndmask_b32_e32 v13, v23, v13, vcc_lo
	s_delay_alu instid0(VALU_DEP_1)
	v_lshlrev_b32_e32 v20, 2, v13
	ds_bpermute_b32 v17, v20, v6
	ds_bpermute_b32 v18, v20, v7
	;; [unrolled: 1-line block ×8, first 2 shown]
	s_wait_dscnt 0x6
	v_add_f64_e32 v[6:7], v[6:7], v[17:18]
	s_wait_dscnt 0x4
	v_add_f64_e32 v[0:1], v[0:1], v[13:14]
	v_xor_b32_e32 v13, 4, v23
	s_wait_dscnt 0x2
	v_add_f64_e32 v[4:5], v[4:5], v[15:16]
	s_wait_dscnt 0x0
	v_add_f64_e32 v[11:12], v[11:12], v[19:20]
	v_cmp_gt_i32_e32 vcc_lo, 32, v13
	s_wait_alu 0xfffd
	v_cndmask_b32_e32 v13, v23, v13, vcc_lo
	s_delay_alu instid0(VALU_DEP_1)
	v_lshlrev_b32_e32 v20, 2, v13
	ds_bpermute_b32 v17, v20, v6
	ds_bpermute_b32 v18, v20, v7
	;; [unrolled: 1-line block ×8, first 2 shown]
	s_wait_dscnt 0x4
	v_add_f64_e32 v[0:1], v[0:1], v[13:14]
	v_add_f64_e32 v[13:14], v[6:7], v[17:18]
	s_wait_dscnt 0x2
	v_add_f64_e32 v[4:5], v[4:5], v[15:16]
	v_xor_b32_e32 v6, 2, v23
	s_wait_dscnt 0x0
	v_add_f64_e32 v[15:16], v[11:12], v[19:20]
	s_delay_alu instid0(VALU_DEP_2) | instskip(SKIP_2) | instid1(VALU_DEP_1)
	v_cmp_gt_i32_e32 vcc_lo, 32, v6
	s_wait_alu 0xfffd
	v_cndmask_b32_e32 v6, v23, v6, vcc_lo
	v_lshlrev_b32_e32 v11, 2, v6
	ds_bpermute_b32 v6, v11, v0
	ds_bpermute_b32 v7, v11, v1
	;; [unrolled: 1-line block ×8, first 2 shown]
	s_wait_dscnt 0x6
	v_add_f64_e32 v[11:12], v[0:1], v[6:7]
	s_wait_dscnt 0x4
	v_add_f64_e32 v[6:7], v[4:5], v[17:18]
	;; [unrolled: 2-line block ×3, first 2 shown]
	v_xor_b32_e32 v13, 1, v23
	s_wait_dscnt 0x0
	v_add_f64_e32 v[4:5], v[15:16], v[21:22]
	s_delay_alu instid0(VALU_DEP_2) | instskip(SKIP_3) | instid1(VALU_DEP_2)
	v_cmp_gt_i32_e32 vcc_lo, 32, v13
	s_wait_alu 0xfffd
	v_cndmask_b32_e32 v13, v23, v13, vcc_lo
	v_cmp_eq_u32_e32 vcc_lo, 63, v31
	v_lshlrev_b32_e32 v14, 2, v13
	ds_bpermute_b32 v19, v14, v11
	ds_bpermute_b32 v20, v14, v12
	;; [unrolled: 1-line block ×8, first 2 shown]
	s_and_b32 exec_lo, exec_lo, vcc_lo
	s_cbranch_execz .LBB29_10
; %bb.38:
	s_wait_dscnt 0x6
	v_add_f64_e32 v[11:12], v[11:12], v[19:20]
	s_wait_dscnt 0x4
	v_add_f64_e32 v[6:7], v[6:7], v[17:18]
	;; [unrolled: 2-line block ×4, first 2 shown]
	s_load_b64 s[0:1], s[0:1], 0x50
	v_lshlrev_b32_e32 v10, 2, v10
	s_mov_b32 s2, exec_lo
	v_mul_f64_e32 v[4:5], v[2:3], v[11:12]
	v_mul_f64_e32 v[6:7], v[2:3], v[6:7]
	;; [unrolled: 1-line block ×4, first 2 shown]
	v_cmpx_eq_f64_e32 0, v[8:9]
	s_wait_alu 0xfffe
	s_xor_b32 s2, exec_lo, s2
	s_cbranch_execz .LBB29_40
; %bb.39:
	v_ashrrev_i32_e32 v11, 31, v10
	s_delay_alu instid0(VALU_DEP_1) | instskip(SKIP_1) | instid1(VALU_DEP_1)
	v_lshlrev_b64_e32 v[8:9], 3, v[10:11]
                                        ; implicit-def: $vgpr10
	s_wait_kmcnt 0x0
	v_add_co_u32 v8, vcc_lo, s0, v8
	s_wait_alu 0xfffd
	s_delay_alu instid0(VALU_DEP_2)
	v_add_co_ci_u32_e64 v9, null, s1, v9, vcc_lo
	s_clause 0x1
	global_store_b128 v[8:9], v[4:7], off
	global_store_b128 v[8:9], v[0:3], off offset:16
                                        ; implicit-def: $vgpr8_vgpr9
                                        ; implicit-def: $vgpr4_vgpr5
                                        ; implicit-def: $vgpr0_vgpr1
.LBB29_40:
	s_wait_alu 0xfffe
	s_and_not1_saveexec_b32 s2, s2
	s_cbranch_execz .LBB29_10
; %bb.41:
	v_ashrrev_i32_e32 v11, 31, v10
	s_delay_alu instid0(VALU_DEP_1) | instskip(SKIP_1) | instid1(VALU_DEP_1)
	v_lshlrev_b64_e32 v[10:11], 3, v[10:11]
	s_wait_kmcnt 0x0
	v_add_co_u32 v18, vcc_lo, s0, v10
	s_wait_alu 0xfffd
	s_delay_alu instid0(VALU_DEP_2)
	v_add_co_ci_u32_e64 v19, null, s1, v11, vcc_lo
	s_clause 0x1
	global_load_b128 v[10:13], v[18:19], off
	global_load_b128 v[14:17], v[18:19], off offset:16
	s_wait_loadcnt 0x1
	v_fma_f64 v[4:5], v[8:9], v[10:11], v[4:5]
	v_fma_f64 v[6:7], v[8:9], v[12:13], v[6:7]
	s_wait_loadcnt 0x0
	v_fma_f64 v[0:1], v[8:9], v[14:15], v[0:1]
	v_fma_f64 v[2:3], v[8:9], v[16:17], v[2:3]
	s_clause 0x1
	global_store_b128 v[18:19], v[4:7], off
	global_store_b128 v[18:19], v[0:3], off offset:16
	s_nop 0
	s_sendmsg sendmsg(MSG_DEALLOC_VGPRS)
	s_endpgm
	.section	.rodata,"a",@progbits
	.p2align	6, 0x0
	.amdhsa_kernel _ZN9rocsparseL18bsrxmvn_4x4_kernelILj128ELj64EdlidddEEvT3_20rocsparse_direction_NS_24const_host_device_scalarIT1_EES1_PKS1_PKT2_SA_S7_PKT4_PKT5_S5_PT6_21rocsparse_index_base_b
		.amdhsa_group_segment_fixed_size 0
		.amdhsa_private_segment_fixed_size 0
		.amdhsa_kernarg_size 96
		.amdhsa_user_sgpr_count 2
		.amdhsa_user_sgpr_dispatch_ptr 0
		.amdhsa_user_sgpr_queue_ptr 0
		.amdhsa_user_sgpr_kernarg_segment_ptr 1
		.amdhsa_user_sgpr_dispatch_id 0
		.amdhsa_user_sgpr_private_segment_size 0
		.amdhsa_wavefront_size32 1
		.amdhsa_uses_dynamic_stack 0
		.amdhsa_enable_private_segment 0
		.amdhsa_system_sgpr_workgroup_id_x 1
		.amdhsa_system_sgpr_workgroup_id_y 0
		.amdhsa_system_sgpr_workgroup_id_z 0
		.amdhsa_system_sgpr_workgroup_info 0
		.amdhsa_system_vgpr_workitem_id 0
		.amdhsa_next_free_vgpr 147
		.amdhsa_next_free_sgpr 14
		.amdhsa_reserve_vcc 1
		.amdhsa_float_round_mode_32 0
		.amdhsa_float_round_mode_16_64 0
		.amdhsa_float_denorm_mode_32 3
		.amdhsa_float_denorm_mode_16_64 3
		.amdhsa_fp16_overflow 0
		.amdhsa_workgroup_processor_mode 1
		.amdhsa_memory_ordered 1
		.amdhsa_forward_progress 1
		.amdhsa_inst_pref_size 52
		.amdhsa_round_robin_scheduling 0
		.amdhsa_exception_fp_ieee_invalid_op 0
		.amdhsa_exception_fp_denorm_src 0
		.amdhsa_exception_fp_ieee_div_zero 0
		.amdhsa_exception_fp_ieee_overflow 0
		.amdhsa_exception_fp_ieee_underflow 0
		.amdhsa_exception_fp_ieee_inexact 0
		.amdhsa_exception_int_div_zero 0
	.end_amdhsa_kernel
	.section	.text._ZN9rocsparseL18bsrxmvn_4x4_kernelILj128ELj64EdlidddEEvT3_20rocsparse_direction_NS_24const_host_device_scalarIT1_EES1_PKS1_PKT2_SA_S7_PKT4_PKT5_S5_PT6_21rocsparse_index_base_b,"axG",@progbits,_ZN9rocsparseL18bsrxmvn_4x4_kernelILj128ELj64EdlidddEEvT3_20rocsparse_direction_NS_24const_host_device_scalarIT1_EES1_PKS1_PKT2_SA_S7_PKT4_PKT5_S5_PT6_21rocsparse_index_base_b,comdat
.Lfunc_end29:
	.size	_ZN9rocsparseL18bsrxmvn_4x4_kernelILj128ELj64EdlidddEEvT3_20rocsparse_direction_NS_24const_host_device_scalarIT1_EES1_PKS1_PKT2_SA_S7_PKT4_PKT5_S5_PT6_21rocsparse_index_base_b, .Lfunc_end29-_ZN9rocsparseL18bsrxmvn_4x4_kernelILj128ELj64EdlidddEEvT3_20rocsparse_direction_NS_24const_host_device_scalarIT1_EES1_PKS1_PKT2_SA_S7_PKT4_PKT5_S5_PT6_21rocsparse_index_base_b
                                        ; -- End function
	.set _ZN9rocsparseL18bsrxmvn_4x4_kernelILj128ELj64EdlidddEEvT3_20rocsparse_direction_NS_24const_host_device_scalarIT1_EES1_PKS1_PKT2_SA_S7_PKT4_PKT5_S5_PT6_21rocsparse_index_base_b.num_vgpr, 147
	.set _ZN9rocsparseL18bsrxmvn_4x4_kernelILj128ELj64EdlidddEEvT3_20rocsparse_direction_NS_24const_host_device_scalarIT1_EES1_PKS1_PKT2_SA_S7_PKT4_PKT5_S5_PT6_21rocsparse_index_base_b.num_agpr, 0
	.set _ZN9rocsparseL18bsrxmvn_4x4_kernelILj128ELj64EdlidddEEvT3_20rocsparse_direction_NS_24const_host_device_scalarIT1_EES1_PKS1_PKT2_SA_S7_PKT4_PKT5_S5_PT6_21rocsparse_index_base_b.numbered_sgpr, 14
	.set _ZN9rocsparseL18bsrxmvn_4x4_kernelILj128ELj64EdlidddEEvT3_20rocsparse_direction_NS_24const_host_device_scalarIT1_EES1_PKS1_PKT2_SA_S7_PKT4_PKT5_S5_PT6_21rocsparse_index_base_b.num_named_barrier, 0
	.set _ZN9rocsparseL18bsrxmvn_4x4_kernelILj128ELj64EdlidddEEvT3_20rocsparse_direction_NS_24const_host_device_scalarIT1_EES1_PKS1_PKT2_SA_S7_PKT4_PKT5_S5_PT6_21rocsparse_index_base_b.private_seg_size, 0
	.set _ZN9rocsparseL18bsrxmvn_4x4_kernelILj128ELj64EdlidddEEvT3_20rocsparse_direction_NS_24const_host_device_scalarIT1_EES1_PKS1_PKT2_SA_S7_PKT4_PKT5_S5_PT6_21rocsparse_index_base_b.uses_vcc, 1
	.set _ZN9rocsparseL18bsrxmvn_4x4_kernelILj128ELj64EdlidddEEvT3_20rocsparse_direction_NS_24const_host_device_scalarIT1_EES1_PKS1_PKT2_SA_S7_PKT4_PKT5_S5_PT6_21rocsparse_index_base_b.uses_flat_scratch, 0
	.set _ZN9rocsparseL18bsrxmvn_4x4_kernelILj128ELj64EdlidddEEvT3_20rocsparse_direction_NS_24const_host_device_scalarIT1_EES1_PKS1_PKT2_SA_S7_PKT4_PKT5_S5_PT6_21rocsparse_index_base_b.has_dyn_sized_stack, 0
	.set _ZN9rocsparseL18bsrxmvn_4x4_kernelILj128ELj64EdlidddEEvT3_20rocsparse_direction_NS_24const_host_device_scalarIT1_EES1_PKS1_PKT2_SA_S7_PKT4_PKT5_S5_PT6_21rocsparse_index_base_b.has_recursion, 0
	.set _ZN9rocsparseL18bsrxmvn_4x4_kernelILj128ELj64EdlidddEEvT3_20rocsparse_direction_NS_24const_host_device_scalarIT1_EES1_PKS1_PKT2_SA_S7_PKT4_PKT5_S5_PT6_21rocsparse_index_base_b.has_indirect_call, 0
	.section	.AMDGPU.csdata,"",@progbits
; Kernel info:
; codeLenInByte = 6576
; TotalNumSgprs: 16
; NumVgprs: 147
; ScratchSize: 0
; MemoryBound: 1
; FloatMode: 240
; IeeeMode: 1
; LDSByteSize: 0 bytes/workgroup (compile time only)
; SGPRBlocks: 0
; VGPRBlocks: 18
; NumSGPRsForWavesPerEU: 16
; NumVGPRsForWavesPerEU: 147
; Occupancy: 9
; WaveLimiterHint : 1
; COMPUTE_PGM_RSRC2:SCRATCH_EN: 0
; COMPUTE_PGM_RSRC2:USER_SGPR: 2
; COMPUTE_PGM_RSRC2:TRAP_HANDLER: 0
; COMPUTE_PGM_RSRC2:TGID_X_EN: 1
; COMPUTE_PGM_RSRC2:TGID_Y_EN: 0
; COMPUTE_PGM_RSRC2:TGID_Z_EN: 0
; COMPUTE_PGM_RSRC2:TIDIG_COMP_CNT: 0
	.section	.text._ZN9rocsparseL18bsrxmvn_4x4_kernelILj128ELj4E21rocsparse_complex_numIfEliS2_S2_S2_EEvT3_20rocsparse_direction_NS_24const_host_device_scalarIT1_EES3_PKS3_PKT2_SC_S9_PKT4_PKT5_S7_PT6_21rocsparse_index_base_b,"axG",@progbits,_ZN9rocsparseL18bsrxmvn_4x4_kernelILj128ELj4E21rocsparse_complex_numIfEliS2_S2_S2_EEvT3_20rocsparse_direction_NS_24const_host_device_scalarIT1_EES3_PKS3_PKT2_SC_S9_PKT4_PKT5_S7_PT6_21rocsparse_index_base_b,comdat
	.globl	_ZN9rocsparseL18bsrxmvn_4x4_kernelILj128ELj4E21rocsparse_complex_numIfEliS2_S2_S2_EEvT3_20rocsparse_direction_NS_24const_host_device_scalarIT1_EES3_PKS3_PKT2_SC_S9_PKT4_PKT5_S7_PT6_21rocsparse_index_base_b ; -- Begin function _ZN9rocsparseL18bsrxmvn_4x4_kernelILj128ELj4E21rocsparse_complex_numIfEliS2_S2_S2_EEvT3_20rocsparse_direction_NS_24const_host_device_scalarIT1_EES3_PKS3_PKT2_SC_S9_PKT4_PKT5_S7_PT6_21rocsparse_index_base_b
	.p2align	8
	.type	_ZN9rocsparseL18bsrxmvn_4x4_kernelILj128ELj4E21rocsparse_complex_numIfEliS2_S2_S2_EEvT3_20rocsparse_direction_NS_24const_host_device_scalarIT1_EES3_PKS3_PKT2_SC_S9_PKT4_PKT5_S7_PT6_21rocsparse_index_base_b,@function
_ZN9rocsparseL18bsrxmvn_4x4_kernelILj128ELj4E21rocsparse_complex_numIfEliS2_S2_S2_EEvT3_20rocsparse_direction_NS_24const_host_device_scalarIT1_EES3_PKS3_PKT2_SC_S9_PKT4_PKT5_S7_PT6_21rocsparse_index_base_b: ; @_ZN9rocsparseL18bsrxmvn_4x4_kernelILj128ELj4E21rocsparse_complex_numIfEliS2_S2_S2_EEvT3_20rocsparse_direction_NS_24const_host_device_scalarIT1_EES3_PKS3_PKT2_SC_S9_PKT4_PKT5_S7_PT6_21rocsparse_index_base_b
; %bb.0:
	s_clause 0x2
	s_load_b64 s[12:13], s[0:1], 0x58
	s_load_b64 s[2:3], s[0:1], 0x8
	;; [unrolled: 1-line block ×3, first 2 shown]
	s_add_nc_u64 s[6:7], s[0:1], 8
	s_wait_kmcnt 0x0
	s_bitcmp1_b32 s13, 0
	s_cselect_b32 s2, s6, s2
	s_cselect_b32 s3, s7, s3
	s_delay_alu instid0(SALU_CYCLE_1)
	v_dual_mov_b32 v1, s2 :: v_dual_mov_b32 v2, s3
	s_add_nc_u64 s[2:3], s[0:1], 0x48
	s_wait_alu 0xfffe
	s_cselect_b32 s2, s2, s4
	s_cselect_b32 s3, s3, s5
	flat_load_b64 v[38:39], v[1:2]
	s_wait_alu 0xfffe
	v_dual_mov_b32 v1, s2 :: v_dual_mov_b32 v2, s3
	flat_load_b64 v[36:37], v[1:2]
	s_wait_loadcnt_dscnt 0x101
	v_cmp_eq_f32_e32 vcc_lo, 0, v38
	v_cmp_eq_f32_e64 s2, 0, v39
	s_and_b32 s4, vcc_lo, s2
	s_mov_b32 s2, -1
	s_and_saveexec_b32 s3, s4
	s_cbranch_execz .LBB30_2
; %bb.1:
	s_wait_loadcnt_dscnt 0x0
	v_cmp_neq_f32_e32 vcc_lo, 1.0, v36
	v_cmp_neq_f32_e64 s2, 0, v37
	s_wait_alu 0xfffe
	s_or_b32 s2, vcc_lo, s2
	s_wait_alu 0xfffe
	s_or_not1_b32 s2, s2, exec_lo
.LBB30_2:
	s_wait_alu 0xfffe
	s_or_b32 exec_lo, exec_lo, s3
	s_and_saveexec_b32 s3, s2
	s_cbranch_execz .LBB30_8
; %bb.3:
	s_clause 0x1
	s_load_b64 s[4:5], s[0:1], 0x18
	s_load_b64 s[2:3], s[0:1], 0x0
	v_lshrrev_b32_e32 v1, 2, v0
	s_delay_alu instid0(VALU_DEP_1)
	v_lshl_or_b32 v40, ttmp9, 5, v1
	s_wait_kmcnt 0x0
	s_cmp_lg_u64 s[4:5], 0
	s_cbranch_scc0 .LBB30_9
; %bb.4:
	s_load_b32 s6, s[0:1], 0x10
	s_mov_b32 s7, 0
                                        ; implicit-def: $vgpr1
	s_wait_kmcnt 0x0
	v_cmp_gt_i32_e32 vcc_lo, s6, v40
	s_mov_b32 s6, 0
	s_and_saveexec_b32 s8, vcc_lo
	s_delay_alu instid0(SALU_CYCLE_1)
	s_xor_b32 s8, exec_lo, s8
	s_cbranch_execz .LBB30_6
; %bb.5:
	v_ashrrev_i32_e32 v41, 31, v40
	s_mov_b32 s6, exec_lo
	s_delay_alu instid0(VALU_DEP_1) | instskip(NEXT) | instid1(VALU_DEP_1)
	v_lshlrev_b64_e32 v[1:2], 2, v[40:41]
	v_add_co_u32 v1, vcc_lo, s4, v1
	s_delay_alu instid0(VALU_DEP_1)
	v_add_co_ci_u32_e64 v2, null, s5, v2, vcc_lo
	global_load_b32 v1, v[1:2], off
	s_wait_loadcnt 0x0
	v_subrev_nc_u32_e32 v1, s12, v1
.LBB30_6:
	s_or_b32 exec_lo, exec_lo, s8
	s_delay_alu instid0(SALU_CYCLE_1)
	s_and_b32 vcc_lo, exec_lo, s7
	s_wait_alu 0xfffe
	s_cbranch_vccz .LBB30_10
.LBB30_7:
	v_cmp_gt_i32_e32 vcc_lo, s2, v40
	s_and_not1_b32 s2, s6, exec_lo
	s_and_b32 s4, vcc_lo, exec_lo
	s_wait_alu 0xfffe
	s_or_b32 s6, s2, s4
	s_wait_alu 0xfffe
	s_and_b32 exec_lo, exec_lo, s6
	s_cbranch_execnz .LBB30_11
.LBB30_8:
	s_nop 0
	s_sendmsg sendmsg(MSG_DEALLOC_VGPRS)
	s_endpgm
.LBB30_9:
	s_mov_b32 s6, 0
                                        ; implicit-def: $vgpr1
	s_cbranch_execnz .LBB30_7
.LBB30_10:
	v_mov_b32_e32 v40, v1
	s_and_b32 exec_lo, exec_lo, s6
	s_cbranch_execz .LBB30_8
.LBB30_11:
	s_load_b256 s[4:11], s[0:1], 0x20
	s_delay_alu instid0(VALU_DEP_1) | instskip(SKIP_1) | instid1(VALU_DEP_2)
	v_ashrrev_i32_e32 v41, 31, v40
	v_dual_mov_b32 v58, 0 :: v_dual_and_b32 v57, 3, v0
	v_lshlrev_b64_e32 v[1:2], 3, v[40:41]
	s_wait_kmcnt 0x0
	s_delay_alu instid0(VALU_DEP_1) | instskip(SKIP_1) | instid1(VALU_DEP_2)
	v_add_co_u32 v3, vcc_lo, s4, v1
	s_wait_alu 0xfffd
	v_add_co_ci_u32_e64 v4, null, s5, v2, vcc_lo
	v_add_co_u32 v1, vcc_lo, s6, v1
	s_wait_alu 0xfffd
	v_add_co_ci_u32_e64 v2, null, s7, v2, vcc_lo
	v_add_co_u32 v5, vcc_lo, v3, 8
	global_load_b64 v[49:50], v[3:4], off
	s_wait_alu 0xfffd
	v_add_co_ci_u32_e64 v6, null, 0, v4, vcc_lo
	s_cmp_eq_u64 s[6:7], 0
	s_load_b64 s[4:5], s[0:1], 0x40
	s_cselect_b32 vcc_lo, -1, 0
	s_cmp_eq_u32 s3, 1
	s_wait_alu 0xfffe
	v_dual_cndmask_b32 v2, v2, v6 :: v_dual_cndmask_b32 v1, v1, v5
	global_load_b64 v[1:2], v[1:2], off
	s_wait_loadcnt 0x1
	v_sub_co_u32 v0, vcc_lo, v49, s12
	s_wait_alu 0xfffd
	v_subrev_co_ci_u32_e64 v3, null, 0, v50, vcc_lo
	s_delay_alu instid0(VALU_DEP_2) | instskip(SKIP_1) | instid1(VALU_DEP_2)
	v_add_co_u32 v41, vcc_lo, v0, v57
	s_wait_alu 0xfffd
	v_add_co_ci_u32_e64 v42, null, 0, v3, vcc_lo
	s_wait_loadcnt 0x0
	v_sub_co_u32 v43, vcc_lo, v1, s12
	s_delay_alu instid0(VALU_DEP_2) | instskip(SKIP_2) | instid1(VALU_DEP_2)
	v_lshlrev_b64_e32 v[0:1], 7, v[41:42]
	s_wait_alu 0xfffd
	v_subrev_co_ci_u32_e64 v44, null, 0, v2, vcc_lo
	v_add_co_u32 v45, vcc_lo, s10, v0
	s_delay_alu instid0(VALU_DEP_2)
	v_cmp_lt_i64_e64 s2, v[41:42], v[43:44]
	s_wait_alu 0xfffd
	v_add_co_ci_u32_e64 v46, null, s11, v1, vcc_lo
	s_cbranch_scc1 .LBB30_23
; %bb.12:
	v_dual_mov_b32 v63, 0 :: v_dual_mov_b32 v62, 0
	v_dual_mov_b32 v61, 0 :: v_dual_mov_b32 v60, 0
	;; [unrolled: 1-line block ×3, first 2 shown]
	v_mov_b32_e32 v48, 0
	s_and_saveexec_b32 s3, s2
	s_cbranch_execz .LBB30_22
; %bb.13:
	v_or_b32_e32 v0, 4, v57
	v_not_b32_e32 v3, v49
	v_not_b32_e32 v2, v50
	v_mov_b32_e32 v52, v46
	v_mov_b32_e32 v54, v42
	v_sub_co_u32 v0, s6, v0, s12
	s_wait_alu 0xf1ff
	v_sub_co_ci_u32_e64 v1, null, 0, 0, s6
	v_sub_co_u32 v4, s6, s12, v57
	s_delay_alu instid0(VALU_DEP_3) | instskip(SKIP_1) | instid1(VALU_DEP_3)
	v_add_co_u32 v0, vcc_lo, v0, v49
	s_wait_alu 0xfffd
	v_add_co_ci_u32_e64 v1, null, v1, v50, vcc_lo
	s_wait_alu 0xf1ff
	v_sub_co_ci_u32_e64 v5, null, 0, 0, s6
	v_mov_b32_e32 v53, v41
	s_delay_alu instid0(VALU_DEP_3)
	v_cmp_gt_i64_e32 vcc_lo, v[0:1], v[43:44]
	v_mov_b32_e32 v48, 0
	s_mov_b32 s6, exec_lo
	v_mov_b32_e32 v51, v45
	s_wait_alu 0xfffd
	v_dual_cndmask_b32 v1, v44, v1 :: v_dual_cndmask_b32 v0, v43, v0
	v_mov_b32_e32 v59, v48
	v_add_co_u32 v3, vcc_lo, v4, v3
	s_wait_alu 0xfffd
	v_add_co_ci_u32_e64 v2, null, v5, v2, vcc_lo
	v_dual_mov_b32 v60, v48 :: v_dual_mov_b32 v61, v48
	s_delay_alu instid0(VALU_DEP_3)
	v_add_co_u32 v0, vcc_lo, v3, v0
	v_mov_b32_e32 v64, v48
	v_dual_mov_b32 v62, v48 :: v_dual_mov_b32 v63, v48
	s_wait_alu 0xfffd
	v_add_co_ci_u32_e64 v1, null, v2, v1, vcc_lo
	v_dual_mov_b32 v58, v48 :: v_dual_and_b32 v47, 12, v0
	s_delay_alu instid0(VALU_DEP_1)
	v_cmpx_ne_u64_e32 12, v[47:48]
	s_cbranch_execz .LBB30_17
; %bb.14:
	v_lshrrev_b32_e32 v2, 2, v0
	v_dual_mov_b32 v52, v46 :: v_dual_mov_b32 v61, 0
	v_dual_mov_b32 v54, v42 :: v_dual_mov_b32 v63, 0
	s_delay_alu instid0(VALU_DEP_3) | instskip(SKIP_2) | instid1(VALU_DEP_3)
	v_dual_mov_b32 v51, v45 :: v_dual_add_nc_u32 v4, 1, v2
	v_lshlrev_b64_e32 v[2:3], 2, v[41:42]
	v_dual_mov_b32 v58, 0 :: v_dual_mov_b32 v53, v41
	v_dual_mov_b32 v59, 0 :: v_dual_and_b32 v4, 3, v4
	v_mov_b32_e32 v62, 0
	s_delay_alu instid0(VALU_DEP_4) | instskip(NEXT) | instid1(VALU_DEP_3)
	v_add_co_u32 v2, vcc_lo, s8, v2
	v_sub_co_u32 v4, s7, 0, v4
	s_wait_alu 0xfffd
	v_add_co_ci_u32_e64 v3, null, s9, v3, vcc_lo
	s_wait_alu 0xf1ff
	v_sub_co_ci_u32_e64 v5, null, 0, 0, s7
	v_mov_b32_e32 v60, 0
	v_mov_b32_e32 v64, 0
	;; [unrolled: 1-line block ×3, first 2 shown]
	s_mov_b32 s7, 0
.LBB30_15:                              ; =>This Inner Loop Header: Depth=1
	global_load_b32 v34, v[2:3], off
	s_clause 0x7
	global_load_b128 v[6:9], v[51:52], off offset:48
	global_load_b128 v[10:13], v[51:52], off offset:32
	global_load_b128 v[14:17], v[51:52], off offset:16
	global_load_b128 v[18:21], v[51:52], off
	global_load_b128 v[22:25], v[51:52], off offset:112
	global_load_b128 v[26:29], v[51:52], off offset:96
	;; [unrolled: 1-line block ×4, first 2 shown]
	s_wait_loadcnt 0x8
	v_subrev_nc_u32_e32 v34, s12, v34
	s_delay_alu instid0(VALU_DEP_1) | instskip(NEXT) | instid1(VALU_DEP_1)
	v_lshlrev_b32_e32 v34, 2, v34
	v_ashrrev_i32_e32 v35, 31, v34
	s_delay_alu instid0(VALU_DEP_1) | instskip(SKIP_1) | instid1(VALU_DEP_1)
	v_lshlrev_b64_e32 v[34:35], 3, v[34:35]
	s_wait_kmcnt 0x0
	v_add_co_u32 v34, vcc_lo, s4, v34
	s_wait_alu 0xfffd
	s_delay_alu instid0(VALU_DEP_2)
	v_add_co_ci_u32_e64 v35, null, s5, v35, vcc_lo
	v_add_co_u32 v51, vcc_lo, 0x200, v51
	s_wait_alu 0xfffd
	v_add_co_ci_u32_e64 v52, null, 0, v52, vcc_lo
	s_clause 0x1
	global_load_b128 v[69:72], v[34:35], off
	global_load_b128 v[73:76], v[34:35], off offset:16
	v_add_co_u32 v53, vcc_lo, v53, 4
	s_wait_alu 0xfffd
	v_add_co_ci_u32_e64 v54, null, 0, v54, vcc_lo
	v_add_co_u32 v4, vcc_lo, v4, 1
	s_wait_alu 0xfffd
	v_add_co_ci_u32_e64 v5, null, 0, v5, vcc_lo
	;; [unrolled: 3-line block ×3, first 2 shown]
	s_delay_alu instid0(VALU_DEP_3)
	v_cmp_eq_u64_e32 vcc_lo, 0, v[4:5]
	s_wait_alu 0xfffe
	s_or_b32 s7, vcc_lo, s7
	s_wait_loadcnt 0x1
	v_fmac_f32_e32 v63, v18, v69
	v_fmac_f32_e32 v59, v27, v69
	;; [unrolled: 1-line block ×4, first 2 shown]
	s_delay_alu instid0(VALU_DEP_4) | instskip(SKIP_3) | instid1(VALU_DEP_4)
	v_fma_f32 v19, -v19, v70, v63
	v_fmac_f32_e32 v64, v10, v69
	v_fmac_f32_e32 v59, v26, v70
	;; [unrolled: 1-line block ×3, first 2 shown]
	v_dual_fmac_f32 v58, v18, v70 :: v_dual_fmac_f32 v19, v20, v71
	s_delay_alu instid0(VALU_DEP_4) | instskip(NEXT) | instid1(VALU_DEP_4)
	v_fma_f32 v11, -v11, v70, v64
	v_fmac_f32_e32 v59, v29, v71
	v_fmac_f32_e32 v62, v65, v69
	v_dual_fmac_f32 v61, v26, v69 :: v_dual_fmac_f32 v60, v65, v70
	s_delay_alu instid0(VALU_DEP_4)
	v_fmac_f32_e32 v11, v12, v71
	v_fma_f32 v19, -v21, v72, v19
	v_dual_fmac_f32 v59, v28, v72 :: v_dual_fmac_f32 v48, v10, v70
	v_fma_f32 v10, -v66, v70, v62
	v_fma_f32 v18, -v27, v70, v61
	s_wait_loadcnt 0x0
	v_dual_fmac_f32 v58, v21, v71 :: v_dual_fmac_f32 v19, v14, v73
	v_fmac_f32_e32 v60, v68, v71
	v_fma_f32 v11, -v13, v72, v11
	v_dual_fmac_f32 v18, v28, v71 :: v_dual_fmac_f32 v59, v23, v73
	v_fmac_f32_e32 v48, v13, v71
	s_delay_alu instid0(VALU_DEP_3) | instskip(SKIP_2) | instid1(VALU_DEP_4)
	v_dual_fmac_f32 v10, v67, v71 :: v_dual_fmac_f32 v11, v6, v73
	v_fma_f32 v13, -v15, v74, v19
	v_fmac_f32_e32 v60, v67, v72
	v_fmac_f32_e32 v48, v12, v72
	v_fma_f32 v12, -v29, v72, v18
	v_dual_fmac_f32 v59, v22, v74 :: v_dual_fmac_f32 v58, v20, v72
	v_fma_f32 v10, -v68, v72, v10
	v_dual_fmac_f32 v13, v16, v75 :: v_dual_fmac_f32 v60, v31, v73
	s_delay_alu instid0(VALU_DEP_3) | instskip(SKIP_1) | instid1(VALU_DEP_4)
	v_dual_fmac_f32 v12, v22, v73 :: v_dual_fmac_f32 v59, v25, v75
	v_fmac_f32_e32 v48, v7, v73
	v_fmac_f32_e32 v10, v30, v73
	v_fma_f32 v7, -v7, v74, v11
	v_fmac_f32_e32 v58, v15, v73
	v_dual_fmac_f32 v60, v30, v74 :: v_dual_fmac_f32 v59, v24, v76
	v_fmac_f32_e32 v48, v6, v74
	v_fma_f32 v6, -v31, v74, v10
	v_fma_f32 v10, -v23, v74, v12
	v_dual_fmac_f32 v7, v8, v75 :: v_dual_fmac_f32 v58, v14, v74
	s_delay_alu instid0(VALU_DEP_4) | instskip(NEXT) | instid1(VALU_DEP_4)
	v_fmac_f32_e32 v48, v9, v75
	v_fmac_f32_e32 v6, v32, v75
	;; [unrolled: 1-line block ×5, first 2 shown]
	v_fma_f32 v63, -v17, v76, v13
	v_fma_f32 v64, -v9, v76, v7
	v_fmac_f32_e32 v48, v8, v76
	v_fma_f32 v62, -v33, v76, v6
	v_fmac_f32_e32 v58, v16, v76
	v_fmac_f32_e32 v60, v32, v76
	v_fma_f32 v61, -v25, v76, v10
	s_wait_alu 0xfffe
	s_and_not1_b32 exec_lo, exec_lo, s7
	s_cbranch_execnz .LBB30_15
; %bb.16:
	s_or_b32 exec_lo, exec_lo, s7
.LBB30_17:
	s_wait_alu 0xfffe
	s_or_b32 exec_lo, exec_lo, s6
	s_delay_alu instid0(SALU_CYCLE_1)
	s_mov_b32 s6, exec_lo
	v_cmpx_lt_u64_e32 11, v[0:1]
	s_cbranch_execz .LBB30_21
; %bb.18:
	v_lshlrev_b64_e32 v[0:1], 2, v[53:54]
	s_mov_b32 s7, 0
	s_delay_alu instid0(VALU_DEP_1) | instskip(SKIP_1) | instid1(VALU_DEP_2)
	v_add_co_u32 v0, vcc_lo, s8, v0
	s_wait_alu 0xfffd
	v_add_co_ci_u32_e64 v1, null, s9, v1, vcc_lo
	s_delay_alu instid0(VALU_DEP_2) | instskip(SKIP_1) | instid1(VALU_DEP_2)
	v_add_co_u32 v55, vcc_lo, v0, 32
	s_wait_alu 0xfffd
	v_add_co_ci_u32_e64 v56, null, 0, v1, vcc_lo
.LBB30_19:                              ; =>This Inner Loop Header: Depth=1
	s_clause 0x3
	global_load_b32 v47, v[55:56], off offset:-32
	global_load_b32 v157, v[55:56], off offset:-16
	global_load_b32 v158, v[55:56], off
	global_load_b32 v159, v[55:56], off offset:16
	s_clause 0x1f
	global_load_b128 v[65:68], v[51:52], off offset:48
	global_load_b128 v[69:72], v[51:52], off offset:32
	;; [unrolled: 1-line block ×3, first 2 shown]
	global_load_b128 v[77:80], v[51:52], off
	global_load_b128 v[81:84], v[51:52], off offset:112
	global_load_b128 v[85:88], v[51:52], off offset:96
	;; [unrolled: 1-line block ×28, first 2 shown]
	s_wait_loadcnt 0x23
	v_subrev_nc_u32_e32 v47, s12, v47
	s_wait_loadcnt 0x22
	v_subrev_nc_u32_e32 v160, s12, v157
	;; [unrolled: 2-line block ×4, first 2 shown]
	v_lshlrev_b32_e32 v157, 2, v47
	v_lshlrev_b32_e32 v159, 2, v160
	;; [unrolled: 1-line block ×3, first 2 shown]
	s_delay_alu instid0(VALU_DEP_4) | instskip(NEXT) | instid1(VALU_DEP_4)
	v_lshlrev_b32_e32 v163, 2, v162
	v_ashrrev_i32_e32 v158, 31, v157
	s_delay_alu instid0(VALU_DEP_4) | instskip(NEXT) | instid1(VALU_DEP_4)
	v_ashrrev_i32_e32 v160, 31, v159
	v_ashrrev_i32_e32 v162, 31, v161
	s_delay_alu instid0(VALU_DEP_4) | instskip(NEXT) | instid1(VALU_DEP_4)
	v_ashrrev_i32_e32 v164, 31, v163
	v_lshlrev_b64_e32 v[157:158], 3, v[157:158]
	s_delay_alu instid0(VALU_DEP_4) | instskip(NEXT) | instid1(VALU_DEP_4)
	v_lshlrev_b64_e32 v[159:160], 3, v[159:160]
	v_lshlrev_b64_e32 v[161:162], 3, v[161:162]
	s_delay_alu instid0(VALU_DEP_4) | instskip(SKIP_1) | instid1(VALU_DEP_4)
	v_lshlrev_b64_e32 v[163:164], 3, v[163:164]
	s_wait_kmcnt 0x0
	v_add_co_u32 v165, vcc_lo, s4, v157
	s_wait_alu 0xfffd
	v_add_co_ci_u32_e64 v166, null, s5, v158, vcc_lo
	v_add_co_u32 v169, vcc_lo, s4, v159
	s_wait_alu 0xfffd
	v_add_co_ci_u32_e64 v170, null, s5, v160, vcc_lo
	;; [unrolled: 3-line block ×4, first 2 shown]
	s_clause 0x2
	global_load_b128 v[157:160], v[165:166], off
	global_load_b128 v[161:164], v[165:166], off offset:16
	global_load_b128 v[165:168], v[169:170], off
	v_add_co_u32 v53, vcc_lo, v53, 16
	s_wait_alu 0xfffd
	v_add_co_ci_u32_e64 v54, null, 0, v54, vcc_lo
	v_add_co_u32 v51, vcc_lo, 0x800, v51
	s_wait_alu 0xfffd
	v_add_co_ci_u32_e64 v52, null, 0, v52, vcc_lo
	;; [unrolled: 3-line block ×3, first 2 shown]
	v_cmp_ge_i64_e32 vcc_lo, v[53:54], v[43:44]
	s_wait_alu 0xfffe
	s_or_b32 s7, vcc_lo, s7
	s_wait_loadcnt 0x2
	v_fmac_f32_e32 v48, v70, v157
	v_fmac_f32_e32 v58, v78, v157
	;; [unrolled: 1-line block ×9, first 2 shown]
	s_delay_alu instid0(VALU_DEP_4) | instskip(NEXT) | instid1(VALU_DEP_4)
	v_dual_fmac_f32 v59, v85, v158 :: v_dual_fmac_f32 v48, v72, v159
	v_fma_f32 v47, -v78, v158, v63
	s_delay_alu instid0(VALU_DEP_4)
	v_fmac_f32_e32 v58, v80, v159
	v_fma_f32 v63, -v70, v158, v64
	v_fma_f32 v61, -v86, v158, v61
	v_fmac_f32_e32 v48, v71, v160
	v_fmac_f32_e32 v47, v79, v159
	;; [unrolled: 1-line block ×3, first 2 shown]
	v_dual_fmac_f32 v63, v71, v159 :: v_dual_fmac_f32 v62, v93, v157
	v_fmac_f32_e32 v61, v87, v159
	s_delay_alu instid0(VALU_DEP_4)
	v_fma_f32 v47, -v80, v160, v47
	global_load_b128 v[77:80], v[169:170], off offset:16
	v_fma_f32 v63, -v72, v160, v63
	s_clause 0x1
	global_load_b128 v[69:72], v[171:172], off
	global_load_b128 v[169:172], v[171:172], off offset:16
	v_fma_f32 v62, -v94, v158, v62
	v_dual_fmac_f32 v60, v93, v158 :: v_dual_fmac_f32 v59, v88, v159
	s_wait_loadcnt 0x4
	v_fmac_f32_e32 v47, v73, v161
	v_fma_f32 v61, -v88, v160, v61
	v_fmac_f32_e32 v62, v95, v159
	v_dual_fmac_f32 v60, v96, v159 :: v_dual_fmac_f32 v59, v87, v160
	global_load_b128 v[85:88], v[173:174], off offset:16
	v_fma_f32 v47, -v74, v162, v47
	v_fma_f32 v62, -v96, v160, v62
	v_dual_fmac_f32 v60, v95, v160 :: v_dual_fmac_f32 v63, v65, v161
	global_load_b128 v[93:96], v[173:174], off
	v_fmac_f32_e32 v59, v82, v161
	v_fmac_f32_e32 v58, v74, v161
	v_dual_fmac_f32 v48, v66, v161 :: v_dual_fmac_f32 v47, v75, v163
	v_fma_f32 v63, -v66, v162, v63
	s_delay_alu instid0(VALU_DEP_4) | instskip(NEXT) | instid1(VALU_DEP_4)
	v_fmac_f32_e32 v59, v81, v162
	v_fmac_f32_e32 v58, v73, v162
	;; [unrolled: 1-line block ×4, first 2 shown]
	v_fma_f32 v47, -v76, v164, v47
	v_fmac_f32_e32 v59, v84, v163
	v_fmac_f32_e32 v58, v76, v163
	v_fma_f32 v61, -v82, v162, v61
	v_fmac_f32_e32 v60, v90, v161
	v_dual_fmac_f32 v62, v89, v161 :: v_dual_fmac_f32 v63, v67, v163
	v_fmac_f32_e32 v59, v83, v164
	s_delay_alu instid0(VALU_DEP_3) | instskip(SKIP_2) | instid1(VALU_DEP_3)
	v_dual_fmac_f32 v61, v83, v163 :: v_dual_fmac_f32 v60, v89, v162
	s_wait_loadcnt 0x5
	v_dual_fmac_f32 v48, v68, v163 :: v_dual_fmac_f32 v47, v109, v165
	v_dual_fmac_f32 v58, v75, v164 :: v_dual_fmac_f32 v59, v118, v165
	v_fma_f32 v62, -v90, v162, v62
	v_fma_f32 v63, -v68, v164, v63
	s_delay_alu instid0(VALU_DEP_4)
	v_fmac_f32_e32 v48, v67, v164
	v_fma_f32 v61, -v84, v164, v61
	v_fmac_f32_e32 v60, v92, v163
	v_fma_f32 v47, -v110, v166, v47
	v_dual_fmac_f32 v59, v117, v166 :: v_dual_fmac_f32 v62, v91, v163
	v_fmac_f32_e32 v63, v101, v165
	s_delay_alu instid0(VALU_DEP_3) | instskip(SKIP_1) | instid1(VALU_DEP_4)
	v_dual_fmac_f32 v58, v110, v165 :: v_dual_fmac_f32 v47, v111, v167
	v_dual_fmac_f32 v61, v117, v165 :: v_dual_fmac_f32 v60, v91, v164
	v_fmac_f32_e32 v59, v120, v167
	s_delay_alu instid0(VALU_DEP_4) | instskip(NEXT) | instid1(VALU_DEP_4)
	v_fma_f32 v63, -v102, v166, v63
	v_fma_f32 v47, -v112, v168, v47
	;; [unrolled: 1-line block ×3, first 2 shown]
	s_delay_alu instid0(VALU_DEP_4) | instskip(SKIP_4) | instid1(VALU_DEP_3)
	v_dual_fmac_f32 v60, v126, v165 :: v_dual_fmac_f32 v59, v119, v168
	v_fmac_f32_e32 v58, v109, v166
	v_dual_fmac_f32 v48, v102, v165 :: v_dual_fmac_f32 v63, v103, v167
	v_fma_f32 v61, -v118, v166, v61
	v_fmac_f32_e32 v62, v125, v165
	v_fma_f32 v63, -v104, v168, v63
	s_delay_alu instid0(VALU_DEP_3) | instskip(NEXT) | instid1(VALU_DEP_3)
	v_fmac_f32_e32 v61, v119, v167
	v_fma_f32 v62, -v126, v166, v62
	s_delay_alu instid0(VALU_DEP_2) | instskip(SKIP_1) | instid1(VALU_DEP_1)
	v_fma_f32 v61, -v120, v168, v61
	s_wait_loadcnt 0x4
	v_dual_fmac_f32 v62, v127, v167 :: v_dual_fmac_f32 v61, v113, v77
	v_fmac_f32_e32 v47, v105, v77
	v_dual_fmac_f32 v59, v114, v77 :: v_dual_fmac_f32 v58, v112, v167
	v_fmac_f32_e32 v63, v97, v77
	s_delay_alu instid0(VALU_DEP_4) | instskip(NEXT) | instid1(VALU_DEP_4)
	v_fma_f32 v61, -v114, v78, v61
	v_fma_f32 v47, -v106, v78, v47
	v_fmac_f32_e32 v48, v101, v166
	v_fma_f32 v62, -v128, v168, v62
	v_fma_f32 v63, -v98, v78, v63
	s_delay_alu instid0(VALU_DEP_4) | instskip(NEXT) | instid1(VALU_DEP_4)
	v_dual_fmac_f32 v60, v125, v166 :: v_dual_fmac_f32 v47, v107, v79
	v_dual_fmac_f32 v48, v104, v167 :: v_dual_fmac_f32 v59, v113, v78
	v_fmac_f32_e32 v58, v111, v168
	s_delay_alu instid0(VALU_DEP_4) | instskip(NEXT) | instid1(VALU_DEP_4)
	v_fmac_f32_e32 v63, v99, v79
	v_fmac_f32_e32 v60, v128, v167
	;; [unrolled: 1-line block ×3, first 2 shown]
	s_delay_alu instid0(VALU_DEP_4) | instskip(SKIP_2) | instid1(VALU_DEP_4)
	v_dual_fmac_f32 v59, v116, v79 :: v_dual_fmac_f32 v58, v106, v77
	v_fma_f32 v47, -v108, v80, v47
	v_fmac_f32_e32 v48, v103, v168
	v_fma_f32 v61, -v116, v80, v61
	s_delay_alu instid0(VALU_DEP_4)
	v_dual_fmac_f32 v59, v115, v80 :: v_dual_fmac_f32 v58, v105, v78
	s_wait_loadcnt 0x3
	v_fmac_f32_e32 v47, v129, v69
	v_fmac_f32_e32 v48, v98, v77
	;; [unrolled: 1-line block ×3, first 2 shown]
	v_dual_fmac_f32 v59, v33, v69 :: v_dual_fmac_f32 v58, v108, v79
	v_fmac_f32_e32 v62, v121, v77
	v_fma_f32 v63, -v100, v80, v63
	s_delay_alu instid0(VALU_DEP_3) | instskip(SKIP_2) | instid1(VALU_DEP_4)
	v_dual_fmac_f32 v60, v127, v168 :: v_dual_fmac_f32 v59, v32, v70
	v_fmac_f32_e32 v48, v97, v78
	v_fma_f32 v47, -v130, v70, v47
	v_fmac_f32_e32 v63, v28, v69
	s_delay_alu instid0(VALU_DEP_4) | instskip(NEXT) | instid1(VALU_DEP_4)
	v_dual_fmac_f32 v60, v122, v77 :: v_dual_fmac_f32 v59, v35, v71
	v_fmac_f32_e32 v48, v100, v79
	v_fma_f32 v33, -v33, v70, v61
	s_delay_alu instid0(VALU_DEP_3) | instskip(NEXT) | instid1(VALU_DEP_4)
	v_dual_fmac_f32 v47, v131, v71 :: v_dual_fmac_f32 v60, v121, v78
	v_fmac_f32_e32 v59, v34, v72
	v_fma_f32 v62, -v122, v78, v62
	s_delay_alu instid0(VALU_DEP_4) | instskip(NEXT) | instid1(VALU_DEP_4)
	v_fmac_f32_e32 v33, v34, v71
	v_fma_f32 v32, -v132, v72, v47
	s_wait_loadcnt 0x2
	v_dual_fmac_f32 v60, v124, v79 :: v_dual_fmac_f32 v59, v13, v169
	v_fmac_f32_e32 v58, v107, v80
	s_delay_alu instid0(VALU_DEP_3) | instskip(NEXT) | instid1(VALU_DEP_2)
	v_fmac_f32_e32 v32, v16, v169
	v_dual_fmac_f32 v59, v12, v170 :: v_dual_fmac_f32 v58, v130, v69
	s_delay_alu instid0(VALU_DEP_1) | instskip(NEXT) | instid1(VALU_DEP_1)
	v_dual_fmac_f32 v59, v15, v171 :: v_dual_fmac_f32 v58, v129, v70
	v_dual_fmac_f32 v59, v14, v172 :: v_dual_fmac_f32 v58, v132, v71
	s_wait_loadcnt 0x0
	s_delay_alu instid0(VALU_DEP_1) | instskip(NEXT) | instid1(VALU_DEP_1)
	v_dual_fmac_f32 v59, v146, v93 :: v_dual_fmac_f32 v58, v131, v72
	v_fmac_f32_e32 v59, v145, v94
	s_delay_alu instid0(VALU_DEP_2) | instskip(SKIP_1) | instid1(VALU_DEP_3)
	v_fmac_f32_e32 v58, v17, v169
	v_fma_f32 v17, -v17, v170, v32
	v_dual_fmac_f32 v48, v99, v80 :: v_dual_fmac_f32 v59, v148, v95
	s_delay_alu instid0(VALU_DEP_2) | instskip(NEXT) | instid1(VALU_DEP_2)
	v_dual_fmac_f32 v58, v16, v170 :: v_dual_fmac_f32 v17, v18, v171
	v_fmac_f32_e32 v48, v29, v69
	v_fma_f32 v29, -v29, v70, v63
	s_delay_alu instid0(VALU_DEP_4) | instskip(NEXT) | instid1(VALU_DEP_4)
	v_fmac_f32_e32 v59, v147, v96
	v_fmac_f32_e32 v58, v19, v171
	s_delay_alu instid0(VALU_DEP_3) | instskip(NEXT) | instid1(VALU_DEP_3)
	v_dual_fmac_f32 v48, v28, v70 :: v_dual_fmac_f32 v29, v30, v71
	v_fmac_f32_e32 v59, v142, v85
	s_delay_alu instid0(VALU_DEP_3) | instskip(NEXT) | instid1(VALU_DEP_3)
	v_fmac_f32_e32 v58, v18, v172
	v_fmac_f32_e32 v48, v31, v71
	s_delay_alu instid0(VALU_DEP_4) | instskip(NEXT) | instid1(VALU_DEP_4)
	v_fma_f32 v29, -v31, v72, v29
	v_dual_fmac_f32 v62, v123, v79 :: v_dual_fmac_f32 v59, v141, v86
	s_delay_alu instid0(VALU_DEP_4) | instskip(NEXT) | instid1(VALU_DEP_3)
	v_fmac_f32_e32 v58, v138, v93
	v_dual_fmac_f32 v48, v30, v72 :: v_dual_fmac_f32 v29, v8, v169
	s_delay_alu instid0(VALU_DEP_3) | instskip(SKIP_1) | instid1(VALU_DEP_3)
	v_fma_f32 v62, -v124, v80, v62
	v_fma_f32 v30, -v35, v72, v33
	v_dual_fmac_f32 v59, v144, v87 :: v_dual_fmac_f32 v48, v9, v169
	s_delay_alu instid0(VALU_DEP_4) | instskip(NEXT) | instid1(VALU_DEP_4)
	v_fma_f32 v9, -v9, v170, v29
	v_fmac_f32_e32 v62, v133, v69
	v_fmac_f32_e32 v60, v123, v80
	;; [unrolled: 1-line block ×3, first 2 shown]
	v_fma_f32 v12, -v19, v172, v17
	v_dual_fmac_f32 v9, v10, v171 :: v_dual_fmac_f32 v48, v8, v170
	s_delay_alu instid0(VALU_DEP_4) | instskip(SKIP_1) | instid1(VALU_DEP_4)
	v_fmac_f32_e32 v60, v134, v69
	v_fma_f32 v28, -v134, v70, v62
	v_fmac_f32_e32 v12, v137, v93
	s_delay_alu instid0(VALU_DEP_4)
	v_fma_f32 v9, -v11, v172, v9
	v_fmac_f32_e32 v48, v11, v171
	v_fma_f32 v13, -v13, v170, v30
	v_fmac_f32_e32 v58, v137, v94
	v_fma_f32 v11, -v138, v94, v12
	v_dual_fmac_f32 v9, v20, v93 :: v_dual_fmac_f32 v60, v133, v70
	s_delay_alu instid0(VALU_DEP_4) | instskip(NEXT) | instid1(VALU_DEP_3)
	v_fmac_f32_e32 v13, v14, v171
	v_dual_fmac_f32 v48, v10, v172 :: v_dual_fmac_f32 v11, v139, v95
	s_delay_alu instid0(VALU_DEP_3) | instskip(NEXT) | instid1(VALU_DEP_4)
	v_fma_f32 v9, -v21, v94, v9
	v_fmac_f32_e32 v60, v136, v71
	s_delay_alu instid0(VALU_DEP_4) | instskip(NEXT) | instid1(VALU_DEP_4)
	v_fma_f32 v10, -v15, v172, v13
	v_fmac_f32_e32 v48, v21, v93
	v_fma_f32 v11, -v140, v96, v11
	s_delay_alu instid0(VALU_DEP_4) | instskip(NEXT) | instid1(VALU_DEP_4)
	v_dual_fmac_f32 v9, v22, v95 :: v_dual_fmac_f32 v60, v135, v72
	v_fmac_f32_e32 v10, v145, v93
	s_delay_alu instid0(VALU_DEP_4) | instskip(NEXT) | instid1(VALU_DEP_4)
	v_fmac_f32_e32 v48, v20, v94
	v_fmac_f32_e32 v11, v4, v85
	s_delay_alu instid0(VALU_DEP_4) | instskip(SKIP_3) | instid1(VALU_DEP_4)
	v_fma_f32 v9, -v23, v96, v9
	v_fmac_f32_e32 v28, v135, v71
	v_fmac_f32_e32 v60, v25, v169
	v_fma_f32 v10, -v146, v94, v10
	v_dual_fmac_f32 v48, v23, v95 :: v_dual_fmac_f32 v9, v0, v85
	s_delay_alu instid0(VALU_DEP_4) | instskip(NEXT) | instid1(VALU_DEP_4)
	v_fma_f32 v28, -v136, v72, v28
	v_fmac_f32_e32 v60, v24, v170
	v_fmac_f32_e32 v58, v140, v95
	;; [unrolled: 1-line block ×4, first 2 shown]
	v_dual_fmac_f32 v28, v24, v169 :: v_dual_fmac_f32 v59, v143, v88
	v_fmac_f32_e32 v60, v27, v171
	v_fmac_f32_e32 v58, v139, v96
	v_fma_f32 v10, -v148, v96, v10
	v_fmac_f32_e32 v48, v1, v85
	v_fma_f32 v1, -v1, v86, v9
	v_fmac_f32_e32 v60, v26, v172
	v_fma_f32 v8, -v25, v170, v28
	v_fmac_f32_e32 v58, v5, v85
	v_fmac_f32_e32 v10, v141, v85
	v_fma_f32 v5, -v5, v86, v11
	v_fmac_f32_e32 v60, v150, v93
	v_dual_fmac_f32 v48, v0, v86 :: v_dual_fmac_f32 v1, v2, v87
	v_fmac_f32_e32 v8, v26, v171
	v_fmac_f32_e32 v58, v4, v86
	s_delay_alu instid0(VALU_DEP_4)
	v_fmac_f32_e32 v60, v149, v94
	v_fma_f32 v4, -v142, v86, v10
	v_fmac_f32_e32 v5, v6, v87
	v_fmac_f32_e32 v48, v3, v87
	v_fma_f32 v64, -v3, v88, v1
	v_fma_f32 v8, -v27, v172, v8
	v_fmac_f32_e32 v60, v152, v95
	v_fmac_f32_e32 v58, v7, v87
	;; [unrolled: 1-line block ×3, first 2 shown]
	v_fma_f32 v63, -v7, v88, v5
	v_fmac_f32_e32 v8, v149, v93
	v_fmac_f32_e32 v60, v151, v96
	;; [unrolled: 1-line block ×4, first 2 shown]
	v_fma_f32 v61, -v144, v88, v4
	v_fma_f32 v8, -v150, v94, v8
	v_fmac_f32_e32 v60, v154, v85
	s_delay_alu instid0(VALU_DEP_2) | instskip(NEXT) | instid1(VALU_DEP_2)
	v_fmac_f32_e32 v8, v151, v95
	v_fmac_f32_e32 v60, v153, v86
	s_delay_alu instid0(VALU_DEP_2) | instskip(NEXT) | instid1(VALU_DEP_2)
	v_fma_f32 v8, -v152, v96, v8
	v_fmac_f32_e32 v60, v156, v87
	s_delay_alu instid0(VALU_DEP_2) | instskip(NEXT) | instid1(VALU_DEP_2)
	v_fmac_f32_e32 v8, v153, v85
	v_fmac_f32_e32 v60, v155, v88
	s_delay_alu instid0(VALU_DEP_2) | instskip(NEXT) | instid1(VALU_DEP_1)
	v_fma_f32 v0, -v154, v86, v8
	v_fmac_f32_e32 v0, v155, v87
	s_delay_alu instid0(VALU_DEP_1)
	v_fma_f32 v62, -v156, v88, v0
	s_wait_alu 0xfffe
	s_and_not1_b32 exec_lo, exec_lo, s7
	s_cbranch_execnz .LBB30_19
; %bb.20:
	s_or_b32 exec_lo, exec_lo, s7
.LBB30_21:
	s_wait_alu 0xfffe
	s_or_b32 exec_lo, exec_lo, s6
.LBB30_22:
	s_wait_alu 0xfffe
	s_or_b32 exec_lo, exec_lo, s3
	s_cbranch_execz .LBB30_24
	s_branch .LBB30_35
.LBB30_23:
                                        ; implicit-def: $vgpr58
                                        ; implicit-def: $vgpr63
                                        ; implicit-def: $vgpr61
                                        ; implicit-def: $vgpr59
                                        ; implicit-def: $vgpr62
                                        ; implicit-def: $vgpr60
                                        ; implicit-def: $vgpr64
                                        ; implicit-def: $vgpr48
.LBB30_24:
	v_dual_mov_b32 v58, 0 :: v_dual_mov_b32 v63, 0
	v_dual_mov_b32 v61, 0 :: v_dual_mov_b32 v62, 0
	;; [unrolled: 1-line block ×3, first 2 shown]
	v_mov_b32_e32 v64, 0
	v_mov_b32_e32 v48, 0
	s_and_saveexec_b32 s3, s2
	s_cbranch_execz .LBB30_34
; %bb.25:
	v_or_b32_e32 v0, 4, v57
	v_not_b32_e32 v3, v49
	v_not_b32_e32 v2, v50
	s_delay_alu instid0(VALU_DEP_3) | instskip(SKIP_3) | instid1(VALU_DEP_3)
	v_sub_co_u32 v0, s2, v0, s12
	s_wait_alu 0xf1ff
	v_sub_co_ci_u32_e64 v1, null, 0, 0, s2
	v_sub_co_u32 v4, s2, s12, v57
	v_add_co_u32 v0, vcc_lo, v0, v49
	s_wait_alu 0xfffd
	s_delay_alu instid0(VALU_DEP_3) | instskip(SKIP_3) | instid1(VALU_DEP_3)
	v_add_co_ci_u32_e64 v1, null, v1, v50, vcc_lo
	s_wait_alu 0xf1ff
	v_sub_co_ci_u32_e64 v5, null, 0, 0, s2
	v_add_co_u32 v3, s2, v4, v3
	v_cmp_gt_i64_e32 vcc_lo, v[0:1], v[43:44]
	s_wait_alu 0xf1ff
	s_delay_alu instid0(VALU_DEP_3) | instskip(SKIP_3) | instid1(VALU_DEP_1)
	v_add_co_ci_u32_e64 v2, null, v5, v2, s2
	s_mov_b32 s2, exec_lo
	s_wait_alu 0xfffd
	v_dual_cndmask_b32 v1, v44, v1 :: v_dual_cndmask_b32 v0, v43, v0
	v_add_co_u32 v0, vcc_lo, v3, v0
	v_mov_b32_e32 v48, 0
	s_wait_alu 0xfffd
	s_delay_alu instid0(VALU_DEP_3) | instskip(NEXT) | instid1(VALU_DEP_2)
	v_add_co_ci_u32_e64 v1, null, v2, v1, vcc_lo
	v_dual_mov_b32 v64, v48 :: v_dual_and_b32 v47, 12, v0
	v_dual_mov_b32 v59, v48 :: v_dual_mov_b32 v60, v48
	v_dual_mov_b32 v61, v48 :: v_dual_mov_b32 v62, v48
	v_dual_mov_b32 v63, v48 :: v_dual_mov_b32 v58, v48
	s_delay_alu instid0(VALU_DEP_4)
	v_cmpx_ne_u64_e32 12, v[47:48]
	s_cbranch_execz .LBB30_29
; %bb.26:
	v_lshrrev_b32_e32 v2, 2, v0
	v_dual_mov_b32 v58, 0 :: v_dual_mov_b32 v63, 0
	v_mov_b32_e32 v62, 0
	v_mov_b32_e32 v60, 0
	s_delay_alu instid0(VALU_DEP_4) | instskip(SKIP_2) | instid1(VALU_DEP_3)
	v_dual_mov_b32 v61, 0 :: v_dual_add_nc_u32 v4, 1, v2
	v_lshlrev_b64_e32 v[2:3], 2, v[41:42]
	v_dual_mov_b32 v59, 0 :: v_dual_mov_b32 v64, 0
	v_and_b32_e32 v4, 3, v4
	v_mov_b32_e32 v48, 0
	s_delay_alu instid0(VALU_DEP_4) | instskip(NEXT) | instid1(VALU_DEP_3)
	v_add_co_u32 v2, vcc_lo, s8, v2
	v_sub_co_u32 v4, s6, 0, v4
	s_wait_alu 0xfffd
	v_add_co_ci_u32_e64 v3, null, s9, v3, vcc_lo
	s_wait_alu 0xf1ff
	v_sub_co_ci_u32_e64 v5, null, 0, 0, s6
	s_mov_b32 s6, 0
.LBB30_27:                              ; =>This Inner Loop Header: Depth=1
	global_load_b32 v18, v[2:3], off
	s_clause 0x2
	global_load_b128 v[6:9], v[45:46], off offset:32
	global_load_b128 v[10:13], v[45:46], off offset:16
	global_load_b128 v[14:17], v[45:46], off
	s_wait_loadcnt 0x3
	v_subrev_nc_u32_e32 v18, s12, v18
	s_delay_alu instid0(VALU_DEP_1) | instskip(NEXT) | instid1(VALU_DEP_1)
	v_lshlrev_b32_e32 v18, 2, v18
	v_ashrrev_i32_e32 v19, 31, v18
	s_delay_alu instid0(VALU_DEP_1) | instskip(SKIP_1) | instid1(VALU_DEP_1)
	v_lshlrev_b64_e32 v[18:19], 3, v[18:19]
	s_wait_kmcnt 0x0
	v_add_co_u32 v22, vcc_lo, s4, v18
	s_wait_alu 0xfffd
	s_delay_alu instid0(VALU_DEP_2)
	v_add_co_ci_u32_e64 v23, null, s5, v19, vcc_lo
	s_clause 0x1
	global_load_b128 v[18:21], v[22:23], off
	global_load_b128 v[22:25], v[22:23], off offset:16
	s_clause 0x4
	global_load_b128 v[26:29], v[45:46], off offset:48
	global_load_b128 v[30:33], v[45:46], off offset:64
	;; [unrolled: 1-line block ×5, first 2 shown]
	v_add_co_u32 v45, vcc_lo, 0x200, v45
	s_wait_alu 0xfffd
	v_add_co_ci_u32_e64 v46, null, 0, v46, vcc_lo
	v_add_co_u32 v41, vcc_lo, v41, 4
	s_wait_alu 0xfffd
	v_add_co_ci_u32_e64 v42, null, 0, v42, vcc_lo
	;; [unrolled: 3-line block ×4, first 2 shown]
	s_delay_alu instid0(VALU_DEP_3) | instskip(SKIP_4) | instid1(VALU_DEP_1)
	v_cmp_eq_u64_e32 vcc_lo, 0, v[4:5]
	s_wait_alu 0xfffe
	s_or_b32 s6, vcc_lo, s6
	s_wait_loadcnt 0x6
	v_fmac_f32_e32 v59, v13, v18
	v_dual_fmac_f32 v58, v15, v18 :: v_dual_fmac_f32 v59, v12, v19
	s_wait_loadcnt 0x4
	s_delay_alu instid0(VALU_DEP_1) | instskip(NEXT) | instid1(VALU_DEP_1)
	v_dual_fmac_f32 v62, v10, v18 :: v_dual_fmac_f32 v59, v29, v20
	v_dual_fmac_f32 v48, v17, v18 :: v_dual_fmac_f32 v59, v28, v21
	s_delay_alu instid0(VALU_DEP_1) | instskip(SKIP_1) | instid1(VALU_DEP_2)
	v_dual_fmac_f32 v63, v14, v18 :: v_dual_fmac_f32 v48, v16, v19
	s_wait_loadcnt 0x2
	v_fmac_f32_e32 v59, v52, v22
	s_delay_alu instid0(VALU_DEP_2) | instskip(NEXT) | instid1(VALU_DEP_2)
	v_fma_f32 v15, -v15, v19, v63
	v_dual_fmac_f32 v48, v9, v20 :: v_dual_fmac_f32 v59, v51, v23
	s_delay_alu instid0(VALU_DEP_2) | instskip(SKIP_1) | instid1(VALU_DEP_3)
	v_fmac_f32_e32 v15, v6, v20
	v_dual_fmac_f32 v61, v12, v18 :: v_dual_fmac_f32 v58, v14, v19
	v_fmac_f32_e32 v48, v8, v21
	s_wait_loadcnt 0x0
	v_fmac_f32_e32 v59, v68, v24
	s_delay_alu instid0(VALU_DEP_3) | instskip(SKIP_1) | instid1(VALU_DEP_3)
	v_fmac_f32_e32 v58, v7, v20
	v_fma_f32 v7, -v7, v21, v15
	v_dual_fmac_f32 v48, v33, v22 :: v_dual_fmac_f32 v59, v67, v25
	s_delay_alu instid0(VALU_DEP_2) | instskip(NEXT) | instid1(VALU_DEP_4)
	v_fmac_f32_e32 v7, v30, v22
	v_fmac_f32_e32 v58, v6, v21
	s_delay_alu instid0(VALU_DEP_3) | instskip(NEXT) | instid1(VALU_DEP_3)
	v_fmac_f32_e32 v48, v32, v23
	v_fma_f32 v7, -v31, v23, v7
	v_fmac_f32_e32 v60, v11, v18
	v_fma_f32 v11, -v11, v19, v62
	v_fmac_f32_e32 v64, v16, v18
	v_fmac_f32_e32 v48, v56, v24
	s_delay_alu instid0(VALU_DEP_4) | instskip(SKIP_3) | instid1(VALU_DEP_4)
	v_dual_fmac_f32 v7, v53, v24 :: v_dual_fmac_f32 v60, v10, v19
	v_fma_f32 v10, -v13, v19, v61
	v_fmac_f32_e32 v11, v26, v20
	v_fma_f32 v14, -v17, v19, v64
	v_fma_f32 v63, -v54, v25, v7
	v_fmac_f32_e32 v60, v27, v20
	v_fmac_f32_e32 v10, v28, v20
	;; [unrolled: 1-line block ×4, first 2 shown]
	v_fma_f32 v8, -v27, v21, v11
	v_fmac_f32_e32 v60, v26, v21
	s_delay_alu instid0(VALU_DEP_3) | instskip(SKIP_1) | instid1(VALU_DEP_4)
	v_fma_f32 v6, -v9, v21, v14
	v_fma_f32 v9, -v29, v21, v10
	v_fmac_f32_e32 v8, v49, v22
	s_delay_alu instid0(VALU_DEP_4) | instskip(NEXT) | instid1(VALU_DEP_4)
	v_fmac_f32_e32 v60, v50, v22
	v_fmac_f32_e32 v6, v32, v22
	s_delay_alu instid0(VALU_DEP_4) | instskip(NEXT) | instid1(VALU_DEP_4)
	v_fmac_f32_e32 v9, v51, v22
	v_fma_f32 v8, -v50, v23, v8
	s_delay_alu instid0(VALU_DEP_4) | instskip(NEXT) | instid1(VALU_DEP_4)
	v_fmac_f32_e32 v60, v49, v23
	v_fma_f32 v6, -v33, v23, v6
	s_delay_alu instid0(VALU_DEP_4) | instskip(NEXT) | instid1(VALU_DEP_4)
	v_fma_f32 v9, -v52, v23, v9
	v_fmac_f32_e32 v8, v65, v24
	s_delay_alu instid0(VALU_DEP_4) | instskip(NEXT) | instid1(VALU_DEP_4)
	v_fmac_f32_e32 v60, v66, v24
	v_fmac_f32_e32 v6, v55, v24
	s_delay_alu instid0(VALU_DEP_4)
	v_fmac_f32_e32 v9, v67, v24
	v_fmac_f32_e32 v58, v31, v22
	v_fma_f32 v62, -v66, v25, v8
	v_fmac_f32_e32 v60, v65, v25
	v_fma_f32 v64, -v56, v25, v6
	v_fma_f32 v61, -v68, v25, v9
	v_fmac_f32_e32 v58, v30, v23
	s_delay_alu instid0(VALU_DEP_1) | instskip(NEXT) | instid1(VALU_DEP_1)
	v_fmac_f32_e32 v58, v54, v24
	v_fmac_f32_e32 v58, v53, v25
	s_wait_alu 0xfffe
	s_and_not1_b32 exec_lo, exec_lo, s6
	s_cbranch_execnz .LBB30_27
; %bb.28:
	s_or_b32 exec_lo, exec_lo, s6
.LBB30_29:
	s_wait_alu 0xfffe
	s_or_b32 exec_lo, exec_lo, s2
	s_delay_alu instid0(SALU_CYCLE_1)
	s_mov_b32 s2, exec_lo
	v_cmpx_lt_u64_e32 11, v[0:1]
	s_cbranch_execz .LBB30_33
; %bb.30:
	v_lshlrev_b64_e32 v[0:1], 2, v[41:42]
	s_mov_b32 s6, 0
	s_delay_alu instid0(VALU_DEP_1) | instskip(SKIP_1) | instid1(VALU_DEP_2)
	v_add_co_u32 v0, vcc_lo, s8, v0
	s_wait_alu 0xfffd
	v_add_co_ci_u32_e64 v1, null, s9, v1, vcc_lo
	s_delay_alu instid0(VALU_DEP_2) | instskip(SKIP_1) | instid1(VALU_DEP_2)
	v_add_co_u32 v4, vcc_lo, v0, 32
	s_wait_alu 0xfffd
	v_add_co_ci_u32_e64 v5, null, 0, v1, vcc_lo
.LBB30_31:                              ; =>This Inner Loop Header: Depth=1
	s_clause 0x3
	global_load_b32 v6, v[4:5], off offset:-32
	global_load_b32 v35, v[4:5], off offset:-16
	global_load_b32 v47, v[4:5], off
	global_load_b32 v133, v[4:5], off offset:16
	s_clause 0x1a
	global_load_b128 v[7:10], v[45:46], off offset:48
	global_load_b128 v[11:14], v[45:46], off offset:32
	global_load_b128 v[15:18], v[45:46], off offset:16
	global_load_b128 v[19:22], v[45:46], off
	global_load_b128 v[23:26], v[45:46], off offset:112
	global_load_b128 v[27:30], v[45:46], off offset:96
	;; [unrolled: 1-line block ×23, first 2 shown]
	s_wait_loadcnt 0x1e
	v_subrev_nc_u32_e32 v6, s12, v6
	s_wait_loadcnt 0x1d
	v_subrev_nc_u32_e32 v35, s12, v35
	;; [unrolled: 2-line block ×4, first 2 shown]
	v_lshlrev_b32_e32 v133, 2, v6
	v_lshlrev_b32_e32 v135, 2, v35
	v_lshlrev_b32_e32 v137, 2, v47
	s_delay_alu instid0(VALU_DEP_4) | instskip(NEXT) | instid1(VALU_DEP_4)
	v_lshlrev_b32_e32 v139, 2, v134
	v_ashrrev_i32_e32 v134, 31, v133
	s_delay_alu instid0(VALU_DEP_4) | instskip(NEXT) | instid1(VALU_DEP_4)
	v_ashrrev_i32_e32 v136, 31, v135
	v_ashrrev_i32_e32 v138, 31, v137
	s_delay_alu instid0(VALU_DEP_4) | instskip(NEXT) | instid1(VALU_DEP_4)
	v_ashrrev_i32_e32 v140, 31, v139
	v_lshlrev_b64_e32 v[133:134], 3, v[133:134]
	s_delay_alu instid0(VALU_DEP_4) | instskip(NEXT) | instid1(VALU_DEP_4)
	v_lshlrev_b64_e32 v[135:136], 3, v[135:136]
	v_lshlrev_b64_e32 v[137:138], 3, v[137:138]
	s_delay_alu instid0(VALU_DEP_4) | instskip(SKIP_1) | instid1(VALU_DEP_4)
	v_lshlrev_b64_e32 v[139:140], 3, v[139:140]
	s_wait_kmcnt 0x0
	v_add_co_u32 v141, vcc_lo, s4, v133
	s_wait_alu 0xfffd
	v_add_co_ci_u32_e64 v142, null, s5, v134, vcc_lo
	v_add_co_u32 v143, vcc_lo, s4, v135
	s_wait_alu 0xfffd
	v_add_co_ci_u32_e64 v144, null, s5, v136, vcc_lo
	;; [unrolled: 3-line block ×4, first 2 shown]
	s_clause 0x1
	global_load_b128 v[133:136], v[141:142], off
	global_load_b128 v[137:140], v[141:142], off offset:16
	s_wait_loadcnt 0x1
	v_fmac_f32_e32 v64, v21, v133
	v_fmac_f32_e32 v48, v22, v133
	;; [unrolled: 1-line block ×5, first 2 shown]
	v_fma_f32 v35, -v22, v134, v64
	v_fmac_f32_e32 v60, v16, v133
	v_fmac_f32_e32 v48, v21, v134
	v_fma_f32 v6, -v20, v134, v63
	s_delay_alu instid0(VALU_DEP_4) | instskip(NEXT) | instid1(VALU_DEP_4)
	v_dual_fmac_f32 v58, v19, v134 :: v_dual_fmac_f32 v35, v13, v135
	v_dual_fmac_f32 v59, v18, v133 :: v_dual_fmac_f32 v60, v15, v134
	v_fmac_f32_e32 v62, v15, v133
	s_delay_alu instid0(VALU_DEP_4) | instskip(NEXT) | instid1(VALU_DEP_4)
	v_fmac_f32_e32 v6, v11, v135
	v_fma_f32 v35, -v14, v136, v35
	s_delay_alu instid0(VALU_DEP_4) | instskip(NEXT) | instid1(VALU_DEP_4)
	v_dual_fmac_f32 v59, v17, v134 :: v_dual_fmac_f32 v60, v8, v135
	v_fma_f32 v47, -v16, v134, v62
	v_fma_f32 v61, -v18, v134, v61
	v_fma_f32 v133, -v12, v136, v6
	s_wait_loadcnt 0x0
	v_dual_fmac_f32 v48, v14, v135 :: v_dual_fmac_f32 v35, v51, v137
	v_dual_fmac_f32 v59, v10, v135 :: v_dual_fmac_f32 v60, v7, v136
	v_fmac_f32_e32 v58, v12, v135
	v_fmac_f32_e32 v47, v7, v135
	;; [unrolled: 1-line block ×3, first 2 shown]
	s_delay_alu instid0(VALU_DEP_4) | instskip(NEXT) | instid1(VALU_DEP_4)
	v_fmac_f32_e32 v59, v9, v136
	v_dual_fmac_f32 v133, v49, v137 :: v_dual_fmac_f32 v58, v11, v136
	v_fmac_f32_e32 v48, v13, v136
	s_clause 0x2
	global_load_b128 v[19:22], v[45:46], off offset:1536
	global_load_b128 v[11:14], v[45:46], off offset:1600
	;; [unrolled: 1-line block ×3, first 2 shown]
	v_fma_f32 v47, -v8, v136, v47
	v_fma_f32 v10, -v10, v136, v61
	s_clause 0x1
	global_load_b128 v[6:9], v[143:144], off
	global_load_b128 v[61:64], v[143:144], off offset:16
	v_fma_f32 v141, -v50, v138, v133
	v_fmac_f32_e32 v48, v52, v137
	v_fmac_f32_e32 v59, v34, v137
	;; [unrolled: 1-line block ×3, first 2 shown]
	v_fma_f32 v35, -v52, v138, v35
	v_fmac_f32_e32 v141, v27, v139
	v_fmac_f32_e32 v48, v51, v138
	v_fmac_f32_e32 v59, v33, v138
	v_dual_fmac_f32 v58, v49, v138 :: v_dual_fmac_f32 v47, v31, v137
	s_clause 0x1
	global_load_b128 v[49:52], v[145:146], off
	global_load_b128 v[133:136], v[145:146], off offset:16
	v_dual_fmac_f32 v60, v32, v137 :: v_dual_fmac_f32 v35, v29, v139
	v_fmac_f32_e32 v59, v26, v139
	v_fma_f32 v47, -v32, v138, v47
	v_fmac_f32_e32 v10, v33, v137
	s_delay_alu instid0(VALU_DEP_4) | instskip(NEXT) | instid1(VALU_DEP_4)
	v_fmac_f32_e32 v60, v31, v138
	v_dual_fmac_f32 v58, v28, v139 :: v_dual_fmac_f32 v59, v25, v140
	s_delay_alu instid0(VALU_DEP_4) | instskip(NEXT) | instid1(VALU_DEP_4)
	v_fmac_f32_e32 v47, v23, v139
	v_fma_f32 v10, -v34, v138, v10
	global_load_b128 v[31:34], v[147:148], off
	v_fma_f32 v141, -v28, v140, v141
	v_fmac_f32_e32 v48, v30, v139
	v_fma_f32 v35, -v30, v140, v35
	v_fmac_f32_e32 v10, v25, v139
	v_fma_f32 v47, -v24, v140, v47
	s_wait_loadcnt 0x4
	s_delay_alu instid0(VALU_DEP_1)
	v_dual_fmac_f32 v58, v27, v140 :: v_dual_fmac_f32 v47, v69, v6
	v_fmac_f32_e32 v59, v72, v6
	v_fma_f32 v10, -v26, v140, v10
	v_fmac_f32_e32 v141, v73, v6
	v_dual_fmac_f32 v48, v29, v140 :: v_dual_fmac_f32 v35, v75, v6
	global_load_b128 v[27:30], v[147:148], off offset:16
	v_dual_fmac_f32 v58, v74, v6 :: v_dual_fmac_f32 v59, v71, v7
	v_fmac_f32_e32 v10, v71, v6
	v_fma_f32 v35, -v76, v7, v35
	v_fmac_f32_e32 v60, v24, v139
	v_fma_f32 v47, -v70, v7, v47
	v_dual_fmac_f32 v59, v56, v8 :: v_dual_fmac_f32 v58, v73, v7
	s_delay_alu instid0(VALU_DEP_4) | instskip(NEXT) | instid1(VALU_DEP_3)
	v_dual_fmac_f32 v35, v67, v8 :: v_dual_fmac_f32 v48, v76, v6
	v_fmac_f32_e32 v47, v53, v8
	s_delay_alu instid0(VALU_DEP_3)
	v_fmac_f32_e32 v59, v55, v9
	v_fmac_f32_e32 v60, v23, v140
	s_clause 0x1
	global_load_b128 v[23:26], v[45:46], off offset:1632
	global_load_b128 v[137:140], v[45:46], off offset:1648
	v_fmac_f32_e32 v58, v66, v8
	v_fma_f32 v10, -v72, v7, v10
	s_wait_loadcnt 0x6
	v_dual_fmac_f32 v59, v88, v61 :: v_dual_fmac_f32 v60, v70, v6
	v_fma_f32 v6, -v74, v7, v141
	v_add_co_u32 v45, vcc_lo, 0x800, v45
	s_delay_alu instid0(VALU_DEP_3) | instskip(SKIP_3) | instid1(VALU_DEP_3)
	v_dual_fmac_f32 v59, v87, v62 :: v_dual_fmac_f32 v60, v69, v7
	s_wait_alu 0xfffd
	v_add_co_ci_u32_e64 v46, null, 0, v46, vcc_lo
	v_add_co_u32 v41, vcc_lo, v41, 16
	v_dual_fmac_f32 v60, v54, v8 :: v_dual_fmac_f32 v59, v80, v63
	v_fmac_f32_e32 v58, v65, v9
	s_wait_alu 0xfffd
	v_add_co_ci_u32_e64 v42, null, 0, v42, vcc_lo
	v_add_co_u32 v4, vcc_lo, v4, 64
	v_fmac_f32_e32 v59, v79, v64
	v_fmac_f32_e32 v48, v75, v7
	v_fma_f32 v7, -v68, v9, v35
	s_wait_alu 0xfffd
	v_add_co_ci_u32_e64 v5, null, 0, v5, vcc_lo
	s_wait_loadcnt 0x5
	v_fmac_f32_e32 v59, v104, v49
	v_fmac_f32_e32 v60, v53, v9
	;; [unrolled: 1-line block ×3, first 2 shown]
	v_cmp_ge_i64_e32 vcc_lo, v[41:42], v[43:44]
	s_delay_alu instid0(VALU_DEP_4) | instskip(SKIP_1) | instid1(VALU_DEP_4)
	v_fmac_f32_e32 v59, v103, v50
	v_fmac_f32_e32 v10, v55, v8
	v_fma_f32 v7, -v92, v62, v7
	v_fmac_f32_e32 v6, v65, v8
	s_wait_alu 0xfffe
	s_or_b32 s6, vcc_lo, s6
	v_fmac_f32_e32 v59, v96, v51
	v_fma_f32 v10, -v56, v9, v10
	v_fmac_f32_e32 v7, v83, v63
	v_fma_f32 v6, -v66, v9, v6
	s_delay_alu instid0(VALU_DEP_4) | instskip(NEXT) | instid1(VALU_DEP_4)
	v_fmac_f32_e32 v59, v95, v52
	v_fmac_f32_e32 v10, v87, v61
	s_delay_alu instid0(VALU_DEP_4)
	v_fma_f32 v7, -v84, v64, v7
	v_fmac_f32_e32 v48, v68, v8
	v_fma_f32 v8, -v54, v9, v47
	s_wait_loadcnt 0x4
	v_fmac_f32_e32 v59, v116, v133
	v_fmac_f32_e32 v7, v107, v49
	;; [unrolled: 1-line block ×3, first 2 shown]
	v_fma_f32 v9, -v88, v62, v10
	s_delay_alu instid0(VALU_DEP_4) | instskip(NEXT) | instid1(VALU_DEP_4)
	v_dual_fmac_f32 v8, v85, v61 :: v_dual_fmac_f32 v59, v115, v134
	v_fma_f32 v7, -v108, v50, v7
	s_delay_alu instid0(VALU_DEP_3) | instskip(NEXT) | instid1(VALU_DEP_3)
	v_dual_fmac_f32 v6, v89, v61 :: v_dual_fmac_f32 v9, v79, v63
	v_fma_f32 v8, -v86, v62, v8
	s_delay_alu instid0(VALU_DEP_4) | instskip(NEXT) | instid1(VALU_DEP_4)
	v_fmac_f32_e32 v59, v3, v135
	v_fmac_f32_e32 v7, v99, v51
	s_delay_alu instid0(VALU_DEP_4) | instskip(SKIP_1) | instid1(VALU_DEP_4)
	v_fma_f32 v6, -v90, v62, v6
	v_fma_f32 v9, -v80, v64, v9
	v_fmac_f32_e32 v59, v2, v136
	s_delay_alu instid0(VALU_DEP_4) | instskip(NEXT) | instid1(VALU_DEP_3)
	v_fma_f32 v7, -v100, v52, v7
	v_dual_fmac_f32 v6, v81, v63 :: v_dual_fmac_f32 v9, v103, v49
	s_wait_loadcnt 0x3
	s_delay_alu instid0(VALU_DEP_3) | instskip(NEXT) | instid1(VALU_DEP_3)
	v_fmac_f32_e32 v59, v132, v31
	v_fmac_f32_e32 v7, v119, v133
	s_delay_alu instid0(VALU_DEP_3) | instskip(SKIP_1) | instid1(VALU_DEP_4)
	v_fma_f32 v6, -v82, v64, v6
	v_fma_f32 v9, -v104, v50, v9
	v_dual_fmac_f32 v58, v90, v61 :: v_dual_fmac_f32 v59, v131, v32
	s_delay_alu instid0(VALU_DEP_4) | instskip(NEXT) | instid1(VALU_DEP_3)
	v_fma_f32 v7, -v120, v134, v7
	v_dual_fmac_f32 v60, v86, v61 :: v_dual_fmac_f32 v9, v95, v51
	s_delay_alu instid0(VALU_DEP_3) | instskip(NEXT) | instid1(VALU_DEP_3)
	v_fmac_f32_e32 v58, v89, v62
	v_dual_fmac_f32 v6, v105, v49 :: v_dual_fmac_f32 v7, v111, v135
	v_dual_fmac_f32 v8, v77, v63 :: v_dual_fmac_f32 v59, v124, v33
	s_delay_alu instid0(VALU_DEP_4) | instskip(SKIP_2) | instid1(VALU_DEP_4)
	v_fma_f32 v9, -v96, v52, v9
	v_fmac_f32_e32 v60, v85, v62
	v_fmac_f32_e32 v58, v82, v63
	v_fma_f32 v8, -v78, v64, v8
	v_fma_f32 v7, -v112, v136, v7
	s_delay_alu instid0(VALU_DEP_4) | instskip(NEXT) | instid1(VALU_DEP_4)
	v_dual_fmac_f32 v9, v115, v133 :: v_dual_fmac_f32 v60, v78, v63
	v_dual_fmac_f32 v58, v81, v64 :: v_dual_fmac_f32 v59, v123, v34
	s_delay_alu instid0(VALU_DEP_4) | instskip(NEXT) | instid1(VALU_DEP_3)
	v_fmac_f32_e32 v8, v101, v49
	v_fma_f32 v9, -v116, v134, v9
	s_delay_alu instid0(VALU_DEP_4) | instskip(NEXT) | instid1(VALU_DEP_4)
	v_fmac_f32_e32 v60, v77, v64
	v_dual_fmac_f32 v58, v106, v49 :: v_dual_fmac_f32 v7, v21, v31
	v_fma_f32 v6, -v106, v50, v6
	s_delay_alu instid0(VALU_DEP_4) | instskip(NEXT) | instid1(VALU_DEP_3)
	v_dual_fmac_f32 v9, v2, v135 :: v_dual_fmac_f32 v48, v92, v61
	v_fmac_f32_e32 v58, v105, v50
	v_fma_f32 v8, -v102, v50, v8
	s_delay_alu instid0(VALU_DEP_3) | instskip(NEXT) | instid1(VALU_DEP_2)
	v_fmac_f32_e32 v48, v91, v62
	v_fmac_f32_e32 v8, v93, v51
	s_delay_alu instid0(VALU_DEP_1) | instskip(NEXT) | instid1(VALU_DEP_1)
	v_fma_f32 v8, -v94, v52, v8
	v_fmac_f32_e32 v8, v113, v133
	s_delay_alu instid0(VALU_DEP_1) | instskip(NEXT) | instid1(VALU_DEP_1)
	v_fma_f32 v8, -v114, v134, v8
	v_fmac_f32_e32 v8, v0, v135
	s_wait_loadcnt 0x2
	v_fmac_f32_e32 v59, v18, v27
	s_delay_alu instid0(VALU_DEP_1) | instskip(SKIP_1) | instid1(VALU_DEP_1)
	v_dual_fmac_f32 v60, v102, v49 :: v_dual_fmac_f32 v59, v17, v28
	s_wait_loadcnt 0x0
	v_dual_fmac_f32 v60, v101, v50 :: v_dual_fmac_f32 v59, v140, v29
	s_delay_alu instid0(VALU_DEP_1) | instskip(NEXT) | instid1(VALU_DEP_2)
	v_fmac_f32_e32 v60, v94, v51
	v_dual_fmac_f32 v6, v97, v51 :: v_dual_fmac_f32 v59, v139, v30
	s_delay_alu instid0(VALU_DEP_2) | instskip(NEXT) | instid1(VALU_DEP_2)
	v_fmac_f32_e32 v60, v93, v52
	v_fma_f32 v6, -v98, v52, v6
	s_delay_alu instid0(VALU_DEP_2) | instskip(NEXT) | instid1(VALU_DEP_2)
	v_fmac_f32_e32 v60, v114, v133
	v_fmac_f32_e32 v6, v117, v133
	s_delay_alu instid0(VALU_DEP_2) | instskip(NEXT) | instid1(VALU_DEP_2)
	v_fmac_f32_e32 v60, v113, v134
	v_fma_f32 v6, -v118, v134, v6
	s_delay_alu instid0(VALU_DEP_2) | instskip(SKIP_1) | instid1(VALU_DEP_3)
	v_fmac_f32_e32 v60, v1, v135
	v_fma_f32 v1, -v1, v136, v8
	v_fmac_f32_e32 v6, v109, v135
	s_delay_alu instid0(VALU_DEP_3)
	v_fmac_f32_e32 v60, v0, v136
	v_fma_f32 v0, -v3, v136, v9
	v_fma_f32 v3, -v22, v32, v7
	v_fmac_f32_e32 v48, v84, v63
	v_fmac_f32_e32 v1, v129, v31
	v_fma_f32 v6, -v110, v136, v6
	s_delay_alu instid0(VALU_DEP_4) | instskip(NEXT) | instid1(VALU_DEP_4)
	v_dual_fmac_f32 v60, v130, v31 :: v_dual_fmac_f32 v3, v127, v33
	v_fmac_f32_e32 v48, v83, v64
	s_delay_alu instid0(VALU_DEP_4) | instskip(NEXT) | instid1(VALU_DEP_4)
	v_fma_f32 v1, -v130, v32, v1
	v_fmac_f32_e32 v6, v19, v31
	v_fmac_f32_e32 v0, v131, v31
	v_fma_f32 v3, -v128, v34, v3
	v_fmac_f32_e32 v48, v108, v49
	v_fmac_f32_e32 v1, v121, v33
	;; [unrolled: 3-line block ×3, first 2 shown]
	v_fma_f32 v0, -v132, v32, v0
	v_fma_f32 v1, -v122, v34, v1
	v_fmac_f32_e32 v2, v125, v33
	v_fmac_f32_e32 v60, v122, v33
	v_fma_f32 v3, -v14, v28, v3
	v_fmac_f32_e32 v48, v107, v50
	v_fmac_f32_e32 v1, v15, v27
	;; [unrolled: 1-line block ×3, first 2 shown]
	v_fma_f32 v2, -v126, v34, v2
	s_delay_alu instid0(VALU_DEP_4) | instskip(NEXT) | instid1(VALU_DEP_4)
	v_dual_fmac_f32 v3, v25, v29 :: v_dual_fmac_f32 v48, v100, v51
	v_fma_f32 v1, -v16, v28, v1
	v_fmac_f32_e32 v58, v98, v51
	v_fmac_f32_e32 v60, v121, v34
	v_fma_f32 v0, -v124, v34, v0
	s_delay_alu instid0(VALU_DEP_4) | instskip(NEXT) | instid1(VALU_DEP_4)
	v_dual_fmac_f32 v48, v99, v52 :: v_dual_fmac_f32 v1, v137, v29
	v_fmac_f32_e32 v58, v97, v52
	v_fmac_f32_e32 v2, v11, v27
	v_fmac_f32_e32 v60, v16, v27
	s_delay_alu instid0(VALU_DEP_4)
	v_fmac_f32_e32 v48, v120, v133
	v_fmac_f32_e32 v0, v17, v27
	;; [unrolled: 1-line block ×3, first 2 shown]
	v_fma_f32 v2, -v12, v28, v2
	v_fmac_f32_e32 v60, v15, v28
	v_fmac_f32_e32 v48, v119, v134
	v_fma_f32 v0, -v18, v28, v0
	v_fmac_f32_e32 v58, v117, v134
	v_fmac_f32_e32 v2, v23, v29
	;; [unrolled: 1-line block ×6, first 2 shown]
	v_fma_f32 v63, -v24, v30, v2
	v_fma_f32 v64, -v26, v30, v3
	v_fmac_f32_e32 v48, v111, v136
	v_fma_f32 v62, -v138, v30, v1
	v_fmac_f32_e32 v58, v109, v136
	v_fmac_f32_e32 v60, v137, v30
	v_fma_f32 v61, -v140, v30, v0
	v_fmac_f32_e32 v48, v22, v31
	s_delay_alu instid0(VALU_DEP_4) | instskip(NEXT) | instid1(VALU_DEP_2)
	v_fmac_f32_e32 v58, v20, v31
	v_fmac_f32_e32 v48, v21, v32
	s_delay_alu instid0(VALU_DEP_2) | instskip(NEXT) | instid1(VALU_DEP_2)
	v_fmac_f32_e32 v58, v19, v32
	v_fmac_f32_e32 v48, v128, v33
	s_delay_alu instid0(VALU_DEP_2) | instskip(NEXT) | instid1(VALU_DEP_2)
	;; [unrolled: 3-line block ×6, first 2 shown]
	v_fmac_f32_e32 v58, v24, v29
	v_fmac_f32_e32 v48, v25, v30
	s_delay_alu instid0(VALU_DEP_2)
	v_fmac_f32_e32 v58, v23, v30
	s_wait_alu 0xfffe
	s_and_not1_b32 exec_lo, exec_lo, s6
	s_cbranch_execnz .LBB30_31
; %bb.32:
	s_or_b32 exec_lo, exec_lo, s6
.LBB30_33:
	s_wait_alu 0xfffe
	s_or_b32 exec_lo, exec_lo, s2
.LBB30_34:
	s_wait_alu 0xfffe
	s_or_b32 exec_lo, exec_lo, s3
.LBB30_35:
	v_mbcnt_lo_u32_b32 v0, -1, 0
	s_delay_alu instid0(VALU_DEP_1) | instskip(NEXT) | instid1(VALU_DEP_1)
	v_xor_b32_e32 v1, 2, v0
	v_cmp_gt_i32_e32 vcc_lo, 32, v1
	s_wait_alu 0xfffd
	v_cndmask_b32_e32 v1, v0, v1, vcc_lo
	s_delay_alu instid0(VALU_DEP_1)
	v_lshlrev_b32_e32 v1, 2, v1
	ds_bpermute_b32 v2, v1, v63
	ds_bpermute_b32 v3, v1, v58
	;; [unrolled: 1-line block ×8, first 2 shown]
	v_xor_b32_e32 v1, 1, v0
	s_delay_alu instid0(VALU_DEP_1)
	v_cmp_gt_i32_e32 vcc_lo, 32, v1
	s_wait_alu 0xfffd
	v_cndmask_b32_e32 v0, v0, v1, vcc_lo
	v_cmp_eq_u32_e32 vcc_lo, 3, v57
	s_wait_dscnt 0x6
	v_add_f32_e32 v1, v58, v3
	s_delay_alu instid0(VALU_DEP_3)
	v_dual_add_f32 v0, v63, v2 :: v_dual_lshlrev_b32 v15, 2, v0
	s_wait_dscnt 0x5
	v_add_f32_e32 v2, v64, v4
	s_wait_dscnt 0x3
	v_dual_add_f32 v3, v48, v5 :: v_dual_add_f32 v4, v62, v6
	s_wait_dscnt 0x1
	v_dual_add_f32 v5, v60, v7 :: v_dual_add_f32 v6, v61, v8
	s_wait_dscnt 0x0
	v_add_f32_e32 v7, v59, v9
	ds_bpermute_b32 v8, v15, v0
	ds_bpermute_b32 v9, v15, v1
	;; [unrolled: 1-line block ×8, first 2 shown]
	s_and_b32 exec_lo, exec_lo, vcc_lo
	s_cbranch_execz .LBB30_8
; %bb.36:
	s_load_b64 s[2:3], s[0:1], 0x50
	s_wait_dscnt 0x7
	v_add_f32_e32 v8, v0, v8
	s_wait_dscnt 0x4
	v_dual_add_f32 v0, v1, v9 :: v_dual_add_f32 v1, v3, v11
	s_wait_dscnt 0x2
	v_dual_add_f32 v9, v2, v10 :: v_dual_add_f32 v2, v5, v13
	s_wait_dscnt 0x0
	v_dual_add_f32 v3, v7, v15 :: v_dual_add_f32 v10, v4, v12
	v_add_f32_e32 v11, v6, v14
	v_mul_f32_e64 v4, v0, -v39
	v_mul_f32_e32 v5, v38, v0
	v_mul_f32_e64 v6, v1, -v39
	v_mul_f32_e32 v7, v38, v1
	;; [unrolled: 2-line block ×4, first 2 shown]
	v_cmp_eq_f32_e32 vcc_lo, 0, v36
	v_cmp_eq_f32_e64 s0, 0, v37
	v_fmac_f32_e32 v4, v38, v8
	v_dual_fmac_f32 v5, v39, v8 :: v_dual_fmac_f32 v6, v38, v9
	v_dual_fmac_f32 v7, v39, v9 :: v_dual_lshlrev_b32 v8, 2, v40
	v_dual_fmac_f32 v0, v38, v10 :: v_dual_fmac_f32 v3, v39, v11
	v_dual_fmac_f32 v1, v39, v10 :: v_dual_fmac_f32 v2, v38, v11
	s_and_b32 s0, vcc_lo, s0
	s_wait_alu 0xfffe
	s_and_saveexec_b32 s1, s0
	s_wait_alu 0xfffe
	s_xor_b32 s0, exec_lo, s1
	s_cbranch_execz .LBB30_38
; %bb.37:
	v_ashrrev_i32_e32 v9, 31, v8
                                        ; implicit-def: $vgpr36_vgpr37
	s_delay_alu instid0(VALU_DEP_1) | instskip(SKIP_1) | instid1(VALU_DEP_1)
	v_lshlrev_b64_e32 v[8:9], 3, v[8:9]
	s_wait_kmcnt 0x0
	v_add_co_u32 v8, vcc_lo, s2, v8
	s_wait_alu 0xfffd
	s_delay_alu instid0(VALU_DEP_2)
	v_add_co_ci_u32_e64 v9, null, s3, v9, vcc_lo
	s_clause 0x1
	global_store_b128 v[8:9], v[4:7], off
	global_store_b128 v[8:9], v[0:3], off offset:16
                                        ; implicit-def: $vgpr4
                                        ; implicit-def: $vgpr8
                                        ; implicit-def: $vgpr0
.LBB30_38:
	s_wait_alu 0xfffe
	s_and_not1_saveexec_b32 s0, s0
	s_cbranch_execz .LBB30_8
; %bb.39:
	v_ashrrev_i32_e32 v9, 31, v8
	s_delay_alu instid0(VALU_DEP_1) | instskip(SKIP_1) | instid1(VALU_DEP_1)
	v_lshlrev_b64_e32 v[8:9], 3, v[8:9]
	s_wait_kmcnt 0x0
	v_add_co_u32 v16, vcc_lo, s2, v8
	s_wait_alu 0xfffd
	s_delay_alu instid0(VALU_DEP_2)
	v_add_co_ci_u32_e64 v17, null, s3, v9, vcc_lo
	s_clause 0x1
	global_load_b128 v[8:11], v[16:17], off
	global_load_b128 v[12:15], v[16:17], off offset:16
	s_wait_loadcnt 0x1
	v_dual_fmac_f32 v4, v36, v8 :: v_dual_fmac_f32 v7, v37, v10
	v_dual_fmac_f32 v5, v37, v8 :: v_dual_fmac_f32 v6, v36, v10
	s_wait_loadcnt 0x0
	v_dual_fmac_f32 v0, v36, v12 :: v_dual_fmac_f32 v3, v37, v14
	v_dual_fmac_f32 v1, v37, v12 :: v_dual_fmac_f32 v2, v36, v14
	v_fma_f32 v4, -v37, v9, v4
	v_fmac_f32_e32 v5, v36, v9
	v_fma_f32 v6, -v37, v11, v6
	v_fmac_f32_e32 v7, v36, v11
	;; [unrolled: 2-line block ×4, first 2 shown]
	s_clause 0x1
	global_store_b128 v[16:17], v[4:7], off
	global_store_b128 v[16:17], v[0:3], off offset:16
	s_nop 0
	s_sendmsg sendmsg(MSG_DEALLOC_VGPRS)
	s_endpgm
	.section	.rodata,"a",@progbits
	.p2align	6, 0x0
	.amdhsa_kernel _ZN9rocsparseL18bsrxmvn_4x4_kernelILj128ELj4E21rocsparse_complex_numIfEliS2_S2_S2_EEvT3_20rocsparse_direction_NS_24const_host_device_scalarIT1_EES3_PKS3_PKT2_SC_S9_PKT4_PKT5_S7_PT6_21rocsparse_index_base_b
		.amdhsa_group_segment_fixed_size 0
		.amdhsa_private_segment_fixed_size 0
		.amdhsa_kernarg_size 96
		.amdhsa_user_sgpr_count 2
		.amdhsa_user_sgpr_dispatch_ptr 0
		.amdhsa_user_sgpr_queue_ptr 0
		.amdhsa_user_sgpr_kernarg_segment_ptr 1
		.amdhsa_user_sgpr_dispatch_id 0
		.amdhsa_user_sgpr_private_segment_size 0
		.amdhsa_wavefront_size32 1
		.amdhsa_uses_dynamic_stack 0
		.amdhsa_enable_private_segment 0
		.amdhsa_system_sgpr_workgroup_id_x 1
		.amdhsa_system_sgpr_workgroup_id_y 0
		.amdhsa_system_sgpr_workgroup_id_z 0
		.amdhsa_system_sgpr_workgroup_info 0
		.amdhsa_system_vgpr_workitem_id 0
		.amdhsa_next_free_vgpr 175
		.amdhsa_next_free_sgpr 14
		.amdhsa_reserve_vcc 1
		.amdhsa_float_round_mode_32 0
		.amdhsa_float_round_mode_16_64 0
		.amdhsa_float_denorm_mode_32 3
		.amdhsa_float_denorm_mode_16_64 3
		.amdhsa_fp16_overflow 0
		.amdhsa_workgroup_processor_mode 1
		.amdhsa_memory_ordered 1
		.amdhsa_forward_progress 1
		.amdhsa_inst_pref_size 66
		.amdhsa_round_robin_scheduling 0
		.amdhsa_exception_fp_ieee_invalid_op 0
		.amdhsa_exception_fp_denorm_src 0
		.amdhsa_exception_fp_ieee_div_zero 0
		.amdhsa_exception_fp_ieee_overflow 0
		.amdhsa_exception_fp_ieee_underflow 0
		.amdhsa_exception_fp_ieee_inexact 0
		.amdhsa_exception_int_div_zero 0
	.end_amdhsa_kernel
	.section	.text._ZN9rocsparseL18bsrxmvn_4x4_kernelILj128ELj4E21rocsparse_complex_numIfEliS2_S2_S2_EEvT3_20rocsparse_direction_NS_24const_host_device_scalarIT1_EES3_PKS3_PKT2_SC_S9_PKT4_PKT5_S7_PT6_21rocsparse_index_base_b,"axG",@progbits,_ZN9rocsparseL18bsrxmvn_4x4_kernelILj128ELj4E21rocsparse_complex_numIfEliS2_S2_S2_EEvT3_20rocsparse_direction_NS_24const_host_device_scalarIT1_EES3_PKS3_PKT2_SC_S9_PKT4_PKT5_S7_PT6_21rocsparse_index_base_b,comdat
.Lfunc_end30:
	.size	_ZN9rocsparseL18bsrxmvn_4x4_kernelILj128ELj4E21rocsparse_complex_numIfEliS2_S2_S2_EEvT3_20rocsparse_direction_NS_24const_host_device_scalarIT1_EES3_PKS3_PKT2_SC_S9_PKT4_PKT5_S7_PT6_21rocsparse_index_base_b, .Lfunc_end30-_ZN9rocsparseL18bsrxmvn_4x4_kernelILj128ELj4E21rocsparse_complex_numIfEliS2_S2_S2_EEvT3_20rocsparse_direction_NS_24const_host_device_scalarIT1_EES3_PKS3_PKT2_SC_S9_PKT4_PKT5_S7_PT6_21rocsparse_index_base_b
                                        ; -- End function
	.set _ZN9rocsparseL18bsrxmvn_4x4_kernelILj128ELj4E21rocsparse_complex_numIfEliS2_S2_S2_EEvT3_20rocsparse_direction_NS_24const_host_device_scalarIT1_EES3_PKS3_PKT2_SC_S9_PKT4_PKT5_S7_PT6_21rocsparse_index_base_b.num_vgpr, 175
	.set _ZN9rocsparseL18bsrxmvn_4x4_kernelILj128ELj4E21rocsparse_complex_numIfEliS2_S2_S2_EEvT3_20rocsparse_direction_NS_24const_host_device_scalarIT1_EES3_PKS3_PKT2_SC_S9_PKT4_PKT5_S7_PT6_21rocsparse_index_base_b.num_agpr, 0
	.set _ZN9rocsparseL18bsrxmvn_4x4_kernelILj128ELj4E21rocsparse_complex_numIfEliS2_S2_S2_EEvT3_20rocsparse_direction_NS_24const_host_device_scalarIT1_EES3_PKS3_PKT2_SC_S9_PKT4_PKT5_S7_PT6_21rocsparse_index_base_b.numbered_sgpr, 14
	.set _ZN9rocsparseL18bsrxmvn_4x4_kernelILj128ELj4E21rocsparse_complex_numIfEliS2_S2_S2_EEvT3_20rocsparse_direction_NS_24const_host_device_scalarIT1_EES3_PKS3_PKT2_SC_S9_PKT4_PKT5_S7_PT6_21rocsparse_index_base_b.num_named_barrier, 0
	.set _ZN9rocsparseL18bsrxmvn_4x4_kernelILj128ELj4E21rocsparse_complex_numIfEliS2_S2_S2_EEvT3_20rocsparse_direction_NS_24const_host_device_scalarIT1_EES3_PKS3_PKT2_SC_S9_PKT4_PKT5_S7_PT6_21rocsparse_index_base_b.private_seg_size, 0
	.set _ZN9rocsparseL18bsrxmvn_4x4_kernelILj128ELj4E21rocsparse_complex_numIfEliS2_S2_S2_EEvT3_20rocsparse_direction_NS_24const_host_device_scalarIT1_EES3_PKS3_PKT2_SC_S9_PKT4_PKT5_S7_PT6_21rocsparse_index_base_b.uses_vcc, 1
	.set _ZN9rocsparseL18bsrxmvn_4x4_kernelILj128ELj4E21rocsparse_complex_numIfEliS2_S2_S2_EEvT3_20rocsparse_direction_NS_24const_host_device_scalarIT1_EES3_PKS3_PKT2_SC_S9_PKT4_PKT5_S7_PT6_21rocsparse_index_base_b.uses_flat_scratch, 0
	.set _ZN9rocsparseL18bsrxmvn_4x4_kernelILj128ELj4E21rocsparse_complex_numIfEliS2_S2_S2_EEvT3_20rocsparse_direction_NS_24const_host_device_scalarIT1_EES3_PKS3_PKT2_SC_S9_PKT4_PKT5_S7_PT6_21rocsparse_index_base_b.has_dyn_sized_stack, 0
	.set _ZN9rocsparseL18bsrxmvn_4x4_kernelILj128ELj4E21rocsparse_complex_numIfEliS2_S2_S2_EEvT3_20rocsparse_direction_NS_24const_host_device_scalarIT1_EES3_PKS3_PKT2_SC_S9_PKT4_PKT5_S7_PT6_21rocsparse_index_base_b.has_recursion, 0
	.set _ZN9rocsparseL18bsrxmvn_4x4_kernelILj128ELj4E21rocsparse_complex_numIfEliS2_S2_S2_EEvT3_20rocsparse_direction_NS_24const_host_device_scalarIT1_EES3_PKS3_PKT2_SC_S9_PKT4_PKT5_S7_PT6_21rocsparse_index_base_b.has_indirect_call, 0
	.section	.AMDGPU.csdata,"",@progbits
; Kernel info:
; codeLenInByte = 8340
; TotalNumSgprs: 16
; NumVgprs: 175
; ScratchSize: 0
; MemoryBound: 0
; FloatMode: 240
; IeeeMode: 1
; LDSByteSize: 0 bytes/workgroup (compile time only)
; SGPRBlocks: 0
; VGPRBlocks: 21
; NumSGPRsForWavesPerEU: 16
; NumVGPRsForWavesPerEU: 175
; Occupancy: 8
; WaveLimiterHint : 1
; COMPUTE_PGM_RSRC2:SCRATCH_EN: 0
; COMPUTE_PGM_RSRC2:USER_SGPR: 2
; COMPUTE_PGM_RSRC2:TRAP_HANDLER: 0
; COMPUTE_PGM_RSRC2:TGID_X_EN: 1
; COMPUTE_PGM_RSRC2:TGID_Y_EN: 0
; COMPUTE_PGM_RSRC2:TGID_Z_EN: 0
; COMPUTE_PGM_RSRC2:TIDIG_COMP_CNT: 0
	.section	.text._ZN9rocsparseL18bsrxmvn_4x4_kernelILj128ELj8E21rocsparse_complex_numIfEliS2_S2_S2_EEvT3_20rocsparse_direction_NS_24const_host_device_scalarIT1_EES3_PKS3_PKT2_SC_S9_PKT4_PKT5_S7_PT6_21rocsparse_index_base_b,"axG",@progbits,_ZN9rocsparseL18bsrxmvn_4x4_kernelILj128ELj8E21rocsparse_complex_numIfEliS2_S2_S2_EEvT3_20rocsparse_direction_NS_24const_host_device_scalarIT1_EES3_PKS3_PKT2_SC_S9_PKT4_PKT5_S7_PT6_21rocsparse_index_base_b,comdat
	.globl	_ZN9rocsparseL18bsrxmvn_4x4_kernelILj128ELj8E21rocsparse_complex_numIfEliS2_S2_S2_EEvT3_20rocsparse_direction_NS_24const_host_device_scalarIT1_EES3_PKS3_PKT2_SC_S9_PKT4_PKT5_S7_PT6_21rocsparse_index_base_b ; -- Begin function _ZN9rocsparseL18bsrxmvn_4x4_kernelILj128ELj8E21rocsparse_complex_numIfEliS2_S2_S2_EEvT3_20rocsparse_direction_NS_24const_host_device_scalarIT1_EES3_PKS3_PKT2_SC_S9_PKT4_PKT5_S7_PT6_21rocsparse_index_base_b
	.p2align	8
	.type	_ZN9rocsparseL18bsrxmvn_4x4_kernelILj128ELj8E21rocsparse_complex_numIfEliS2_S2_S2_EEvT3_20rocsparse_direction_NS_24const_host_device_scalarIT1_EES3_PKS3_PKT2_SC_S9_PKT4_PKT5_S7_PT6_21rocsparse_index_base_b,@function
_ZN9rocsparseL18bsrxmvn_4x4_kernelILj128ELj8E21rocsparse_complex_numIfEliS2_S2_S2_EEvT3_20rocsparse_direction_NS_24const_host_device_scalarIT1_EES3_PKS3_PKT2_SC_S9_PKT4_PKT5_S7_PT6_21rocsparse_index_base_b: ; @_ZN9rocsparseL18bsrxmvn_4x4_kernelILj128ELj8E21rocsparse_complex_numIfEliS2_S2_S2_EEvT3_20rocsparse_direction_NS_24const_host_device_scalarIT1_EES3_PKS3_PKT2_SC_S9_PKT4_PKT5_S7_PT6_21rocsparse_index_base_b
; %bb.0:
	s_clause 0x2
	s_load_b64 s[12:13], s[0:1], 0x58
	s_load_b64 s[2:3], s[0:1], 0x8
	;; [unrolled: 1-line block ×3, first 2 shown]
	s_add_nc_u64 s[6:7], s[0:1], 8
	s_wait_kmcnt 0x0
	s_bitcmp1_b32 s13, 0
	s_cselect_b32 s2, s6, s2
	s_cselect_b32 s3, s7, s3
	s_delay_alu instid0(SALU_CYCLE_1)
	v_dual_mov_b32 v1, s2 :: v_dual_mov_b32 v2, s3
	s_add_nc_u64 s[2:3], s[0:1], 0x48
	s_wait_alu 0xfffe
	s_cselect_b32 s2, s2, s4
	s_cselect_b32 s3, s3, s5
	flat_load_b64 v[38:39], v[1:2]
	s_wait_alu 0xfffe
	v_dual_mov_b32 v1, s2 :: v_dual_mov_b32 v2, s3
	flat_load_b64 v[36:37], v[1:2]
	s_wait_loadcnt_dscnt 0x101
	v_cmp_eq_f32_e32 vcc_lo, 0, v38
	v_cmp_eq_f32_e64 s2, 0, v39
	s_and_b32 s4, vcc_lo, s2
	s_mov_b32 s2, -1
	s_and_saveexec_b32 s3, s4
	s_cbranch_execz .LBB31_2
; %bb.1:
	s_wait_loadcnt_dscnt 0x0
	v_cmp_neq_f32_e32 vcc_lo, 1.0, v36
	v_cmp_neq_f32_e64 s2, 0, v37
	s_wait_alu 0xfffe
	s_or_b32 s2, vcc_lo, s2
	s_wait_alu 0xfffe
	s_or_not1_b32 s2, s2, exec_lo
.LBB31_2:
	s_wait_alu 0xfffe
	s_or_b32 exec_lo, exec_lo, s3
	s_and_saveexec_b32 s3, s2
	s_cbranch_execz .LBB31_8
; %bb.3:
	s_clause 0x1
	s_load_b64 s[4:5], s[0:1], 0x18
	s_load_b64 s[2:3], s[0:1], 0x0
	v_lshrrev_b32_e32 v1, 3, v0
	s_delay_alu instid0(VALU_DEP_1)
	v_lshl_or_b32 v40, ttmp9, 4, v1
	s_wait_kmcnt 0x0
	s_cmp_lg_u64 s[4:5], 0
	s_cbranch_scc0 .LBB31_9
; %bb.4:
	s_load_b32 s6, s[0:1], 0x10
	s_mov_b32 s7, 0
                                        ; implicit-def: $vgpr1
	s_wait_kmcnt 0x0
	v_cmp_gt_i32_e32 vcc_lo, s6, v40
	s_mov_b32 s6, 0
	s_and_saveexec_b32 s8, vcc_lo
	s_delay_alu instid0(SALU_CYCLE_1)
	s_xor_b32 s8, exec_lo, s8
	s_cbranch_execz .LBB31_6
; %bb.5:
	v_ashrrev_i32_e32 v41, 31, v40
	s_mov_b32 s6, exec_lo
	s_delay_alu instid0(VALU_DEP_1) | instskip(NEXT) | instid1(VALU_DEP_1)
	v_lshlrev_b64_e32 v[1:2], 2, v[40:41]
	v_add_co_u32 v1, vcc_lo, s4, v1
	s_delay_alu instid0(VALU_DEP_1)
	v_add_co_ci_u32_e64 v2, null, s5, v2, vcc_lo
	global_load_b32 v1, v[1:2], off
	s_wait_loadcnt 0x0
	v_subrev_nc_u32_e32 v1, s12, v1
.LBB31_6:
	s_or_b32 exec_lo, exec_lo, s8
	s_delay_alu instid0(SALU_CYCLE_1)
	s_and_b32 vcc_lo, exec_lo, s7
	s_wait_alu 0xfffe
	s_cbranch_vccz .LBB31_10
.LBB31_7:
	v_cmp_gt_i32_e32 vcc_lo, s2, v40
	s_and_not1_b32 s2, s6, exec_lo
	s_and_b32 s4, vcc_lo, exec_lo
	s_wait_alu 0xfffe
	s_or_b32 s6, s2, s4
	s_wait_alu 0xfffe
	s_and_b32 exec_lo, exec_lo, s6
	s_cbranch_execnz .LBB31_11
.LBB31_8:
	s_nop 0
	s_sendmsg sendmsg(MSG_DEALLOC_VGPRS)
	s_endpgm
.LBB31_9:
	s_mov_b32 s6, 0
                                        ; implicit-def: $vgpr1
	s_cbranch_execnz .LBB31_7
.LBB31_10:
	v_mov_b32_e32 v40, v1
	s_and_b32 exec_lo, exec_lo, s6
	s_cbranch_execz .LBB31_8
.LBB31_11:
	s_load_b256 s[4:11], s[0:1], 0x20
	s_delay_alu instid0(VALU_DEP_1) | instskip(SKIP_1) | instid1(VALU_DEP_2)
	v_ashrrev_i32_e32 v41, 31, v40
	v_dual_mov_b32 v58, 0 :: v_dual_and_b32 v57, 7, v0
	v_lshlrev_b64_e32 v[1:2], 3, v[40:41]
	s_wait_kmcnt 0x0
	s_delay_alu instid0(VALU_DEP_1) | instskip(SKIP_1) | instid1(VALU_DEP_2)
	v_add_co_u32 v3, vcc_lo, s4, v1
	s_wait_alu 0xfffd
	v_add_co_ci_u32_e64 v4, null, s5, v2, vcc_lo
	v_add_co_u32 v1, vcc_lo, s6, v1
	s_wait_alu 0xfffd
	v_add_co_ci_u32_e64 v2, null, s7, v2, vcc_lo
	v_add_co_u32 v5, vcc_lo, v3, 8
	global_load_b64 v[49:50], v[3:4], off
	s_wait_alu 0xfffd
	v_add_co_ci_u32_e64 v6, null, 0, v4, vcc_lo
	s_cmp_eq_u64 s[6:7], 0
	s_load_b64 s[4:5], s[0:1], 0x40
	s_cselect_b32 vcc_lo, -1, 0
	s_cmp_eq_u32 s3, 1
	s_wait_alu 0xfffe
	v_dual_cndmask_b32 v2, v2, v6 :: v_dual_cndmask_b32 v1, v1, v5
	global_load_b64 v[1:2], v[1:2], off
	s_wait_loadcnt 0x1
	v_sub_co_u32 v0, vcc_lo, v49, s12
	s_wait_alu 0xfffd
	v_subrev_co_ci_u32_e64 v3, null, 0, v50, vcc_lo
	s_delay_alu instid0(VALU_DEP_2) | instskip(SKIP_1) | instid1(VALU_DEP_2)
	v_add_co_u32 v41, vcc_lo, v0, v57
	s_wait_alu 0xfffd
	v_add_co_ci_u32_e64 v42, null, 0, v3, vcc_lo
	s_wait_loadcnt 0x0
	v_sub_co_u32 v43, vcc_lo, v1, s12
	s_delay_alu instid0(VALU_DEP_2) | instskip(SKIP_2) | instid1(VALU_DEP_2)
	v_lshlrev_b64_e32 v[0:1], 7, v[41:42]
	s_wait_alu 0xfffd
	v_subrev_co_ci_u32_e64 v44, null, 0, v2, vcc_lo
	v_add_co_u32 v45, vcc_lo, s10, v0
	s_delay_alu instid0(VALU_DEP_2)
	v_cmp_lt_i64_e64 s2, v[41:42], v[43:44]
	s_wait_alu 0xfffd
	v_add_co_ci_u32_e64 v46, null, s11, v1, vcc_lo
	s_cbranch_scc1 .LBB31_23
; %bb.12:
	v_dual_mov_b32 v63, 0 :: v_dual_mov_b32 v62, 0
	v_dual_mov_b32 v61, 0 :: v_dual_mov_b32 v60, 0
	;; [unrolled: 1-line block ×3, first 2 shown]
	v_mov_b32_e32 v48, 0
	s_and_saveexec_b32 s3, s2
	s_cbranch_execz .LBB31_22
; %bb.13:
	v_or_b32_e32 v0, 8, v57
	v_not_b32_e32 v3, v49
	v_not_b32_e32 v2, v50
	v_mov_b32_e32 v52, v46
	v_mov_b32_e32 v54, v42
	v_sub_co_u32 v0, s6, v0, s12
	s_wait_alu 0xf1ff
	v_sub_co_ci_u32_e64 v1, null, 0, 0, s6
	v_sub_co_u32 v4, s6, s12, v57
	s_delay_alu instid0(VALU_DEP_3) | instskip(SKIP_1) | instid1(VALU_DEP_3)
	v_add_co_u32 v0, vcc_lo, v0, v49
	s_wait_alu 0xfffd
	v_add_co_ci_u32_e64 v1, null, v1, v50, vcc_lo
	s_wait_alu 0xf1ff
	v_sub_co_ci_u32_e64 v5, null, 0, 0, s6
	v_mov_b32_e32 v53, v41
	s_delay_alu instid0(VALU_DEP_3)
	v_cmp_gt_i64_e32 vcc_lo, v[0:1], v[43:44]
	v_mov_b32_e32 v48, 0
	s_mov_b32 s6, exec_lo
	v_mov_b32_e32 v51, v45
	s_wait_alu 0xfffd
	v_dual_cndmask_b32 v1, v44, v1 :: v_dual_cndmask_b32 v0, v43, v0
	v_mov_b32_e32 v59, v48
	v_add_co_u32 v3, vcc_lo, v4, v3
	s_wait_alu 0xfffd
	v_add_co_ci_u32_e64 v2, null, v5, v2, vcc_lo
	v_dual_mov_b32 v60, v48 :: v_dual_mov_b32 v61, v48
	s_delay_alu instid0(VALU_DEP_3)
	v_add_co_u32 v0, vcc_lo, v3, v0
	v_mov_b32_e32 v64, v48
	v_dual_mov_b32 v62, v48 :: v_dual_mov_b32 v63, v48
	s_wait_alu 0xfffd
	v_add_co_ci_u32_e64 v1, null, v2, v1, vcc_lo
	v_dual_mov_b32 v58, v48 :: v_dual_and_b32 v47, 24, v0
	s_delay_alu instid0(VALU_DEP_1)
	v_cmpx_ne_u64_e32 24, v[47:48]
	s_cbranch_execz .LBB31_17
; %bb.14:
	v_lshrrev_b32_e32 v2, 3, v0
	v_dual_mov_b32 v52, v46 :: v_dual_mov_b32 v61, 0
	v_dual_mov_b32 v54, v42 :: v_dual_mov_b32 v63, 0
	s_delay_alu instid0(VALU_DEP_3) | instskip(SKIP_2) | instid1(VALU_DEP_3)
	v_dual_mov_b32 v51, v45 :: v_dual_add_nc_u32 v4, 1, v2
	v_lshlrev_b64_e32 v[2:3], 2, v[41:42]
	v_dual_mov_b32 v58, 0 :: v_dual_mov_b32 v53, v41
	v_dual_mov_b32 v59, 0 :: v_dual_and_b32 v4, 3, v4
	v_mov_b32_e32 v62, 0
	s_delay_alu instid0(VALU_DEP_4) | instskip(NEXT) | instid1(VALU_DEP_3)
	v_add_co_u32 v2, vcc_lo, s8, v2
	v_sub_co_u32 v4, s7, 0, v4
	s_wait_alu 0xfffd
	v_add_co_ci_u32_e64 v3, null, s9, v3, vcc_lo
	s_wait_alu 0xf1ff
	v_sub_co_ci_u32_e64 v5, null, 0, 0, s7
	v_mov_b32_e32 v60, 0
	v_mov_b32_e32 v64, 0
	;; [unrolled: 1-line block ×3, first 2 shown]
	s_mov_b32 s7, 0
.LBB31_15:                              ; =>This Inner Loop Header: Depth=1
	global_load_b32 v34, v[2:3], off
	s_clause 0x7
	global_load_b128 v[6:9], v[51:52], off offset:48
	global_load_b128 v[10:13], v[51:52], off offset:32
	;; [unrolled: 1-line block ×3, first 2 shown]
	global_load_b128 v[18:21], v[51:52], off
	global_load_b128 v[22:25], v[51:52], off offset:112
	global_load_b128 v[26:29], v[51:52], off offset:96
	;; [unrolled: 1-line block ×4, first 2 shown]
	s_wait_loadcnt 0x8
	v_subrev_nc_u32_e32 v34, s12, v34
	s_delay_alu instid0(VALU_DEP_1) | instskip(NEXT) | instid1(VALU_DEP_1)
	v_lshlrev_b32_e32 v34, 2, v34
	v_ashrrev_i32_e32 v35, 31, v34
	s_delay_alu instid0(VALU_DEP_1) | instskip(SKIP_1) | instid1(VALU_DEP_1)
	v_lshlrev_b64_e32 v[34:35], 3, v[34:35]
	s_wait_kmcnt 0x0
	v_add_co_u32 v34, vcc_lo, s4, v34
	s_wait_alu 0xfffd
	s_delay_alu instid0(VALU_DEP_2)
	v_add_co_ci_u32_e64 v35, null, s5, v35, vcc_lo
	v_add_co_u32 v51, vcc_lo, 0x400, v51
	s_wait_alu 0xfffd
	v_add_co_ci_u32_e64 v52, null, 0, v52, vcc_lo
	s_clause 0x1
	global_load_b128 v[69:72], v[34:35], off
	global_load_b128 v[73:76], v[34:35], off offset:16
	v_add_co_u32 v53, vcc_lo, v53, 8
	s_wait_alu 0xfffd
	v_add_co_ci_u32_e64 v54, null, 0, v54, vcc_lo
	v_add_co_u32 v4, vcc_lo, v4, 1
	s_wait_alu 0xfffd
	v_add_co_ci_u32_e64 v5, null, 0, v5, vcc_lo
	;; [unrolled: 3-line block ×3, first 2 shown]
	s_delay_alu instid0(VALU_DEP_3)
	v_cmp_eq_u64_e32 vcc_lo, 0, v[4:5]
	s_wait_alu 0xfffe
	s_or_b32 s7, vcc_lo, s7
	s_wait_loadcnt 0x1
	v_fmac_f32_e32 v63, v18, v69
	v_fmac_f32_e32 v59, v27, v69
	;; [unrolled: 1-line block ×4, first 2 shown]
	s_delay_alu instid0(VALU_DEP_4) | instskip(SKIP_3) | instid1(VALU_DEP_4)
	v_fma_f32 v19, -v19, v70, v63
	v_fmac_f32_e32 v64, v10, v69
	v_fmac_f32_e32 v59, v26, v70
	;; [unrolled: 1-line block ×3, first 2 shown]
	v_dual_fmac_f32 v58, v18, v70 :: v_dual_fmac_f32 v19, v20, v71
	s_delay_alu instid0(VALU_DEP_4) | instskip(NEXT) | instid1(VALU_DEP_4)
	v_fma_f32 v11, -v11, v70, v64
	v_fmac_f32_e32 v59, v29, v71
	v_fmac_f32_e32 v62, v65, v69
	v_dual_fmac_f32 v61, v26, v69 :: v_dual_fmac_f32 v60, v65, v70
	s_delay_alu instid0(VALU_DEP_4)
	v_fmac_f32_e32 v11, v12, v71
	v_fma_f32 v19, -v21, v72, v19
	v_dual_fmac_f32 v59, v28, v72 :: v_dual_fmac_f32 v48, v10, v70
	v_fma_f32 v10, -v66, v70, v62
	v_fma_f32 v18, -v27, v70, v61
	s_wait_loadcnt 0x0
	v_dual_fmac_f32 v58, v21, v71 :: v_dual_fmac_f32 v19, v14, v73
	v_fmac_f32_e32 v60, v68, v71
	v_fma_f32 v11, -v13, v72, v11
	v_dual_fmac_f32 v18, v28, v71 :: v_dual_fmac_f32 v59, v23, v73
	v_fmac_f32_e32 v48, v13, v71
	s_delay_alu instid0(VALU_DEP_3) | instskip(SKIP_2) | instid1(VALU_DEP_4)
	v_dual_fmac_f32 v10, v67, v71 :: v_dual_fmac_f32 v11, v6, v73
	v_fma_f32 v13, -v15, v74, v19
	v_fmac_f32_e32 v60, v67, v72
	v_fmac_f32_e32 v48, v12, v72
	v_fma_f32 v12, -v29, v72, v18
	v_dual_fmac_f32 v59, v22, v74 :: v_dual_fmac_f32 v58, v20, v72
	v_fma_f32 v10, -v68, v72, v10
	v_dual_fmac_f32 v13, v16, v75 :: v_dual_fmac_f32 v60, v31, v73
	s_delay_alu instid0(VALU_DEP_3) | instskip(SKIP_1) | instid1(VALU_DEP_4)
	v_dual_fmac_f32 v12, v22, v73 :: v_dual_fmac_f32 v59, v25, v75
	v_fmac_f32_e32 v48, v7, v73
	v_fmac_f32_e32 v10, v30, v73
	v_fma_f32 v7, -v7, v74, v11
	v_fmac_f32_e32 v58, v15, v73
	v_dual_fmac_f32 v60, v30, v74 :: v_dual_fmac_f32 v59, v24, v76
	v_fmac_f32_e32 v48, v6, v74
	v_fma_f32 v6, -v31, v74, v10
	v_fma_f32 v10, -v23, v74, v12
	v_dual_fmac_f32 v7, v8, v75 :: v_dual_fmac_f32 v58, v14, v74
	s_delay_alu instid0(VALU_DEP_4) | instskip(NEXT) | instid1(VALU_DEP_4)
	v_fmac_f32_e32 v48, v9, v75
	v_fmac_f32_e32 v6, v32, v75
	;; [unrolled: 1-line block ×5, first 2 shown]
	v_fma_f32 v63, -v17, v76, v13
	v_fma_f32 v64, -v9, v76, v7
	v_fmac_f32_e32 v48, v8, v76
	v_fma_f32 v62, -v33, v76, v6
	v_fmac_f32_e32 v58, v16, v76
	v_fmac_f32_e32 v60, v32, v76
	v_fma_f32 v61, -v25, v76, v10
	s_wait_alu 0xfffe
	s_and_not1_b32 exec_lo, exec_lo, s7
	s_cbranch_execnz .LBB31_15
; %bb.16:
	s_or_b32 exec_lo, exec_lo, s7
.LBB31_17:
	s_wait_alu 0xfffe
	s_or_b32 exec_lo, exec_lo, s6
	s_delay_alu instid0(SALU_CYCLE_1)
	s_mov_b32 s6, exec_lo
	v_cmpx_lt_u64_e32 23, v[0:1]
	s_cbranch_execz .LBB31_21
; %bb.18:
	v_lshlrev_b64_e32 v[0:1], 2, v[53:54]
	s_mov_b32 s7, 0
	s_delay_alu instid0(VALU_DEP_1) | instskip(SKIP_1) | instid1(VALU_DEP_2)
	v_add_co_u32 v0, vcc_lo, s8, v0
	s_wait_alu 0xfffd
	v_add_co_ci_u32_e64 v1, null, s9, v1, vcc_lo
	s_delay_alu instid0(VALU_DEP_2) | instskip(SKIP_1) | instid1(VALU_DEP_2)
	v_add_co_u32 v55, vcc_lo, v0, 64
	s_wait_alu 0xfffd
	v_add_co_ci_u32_e64 v56, null, 0, v1, vcc_lo
.LBB31_19:                              ; =>This Inner Loop Header: Depth=1
	s_clause 0x3
	global_load_b32 v47, v[55:56], off offset:-64
	global_load_b32 v157, v[55:56], off offset:-32
	global_load_b32 v158, v[55:56], off
	global_load_b32 v159, v[55:56], off offset:32
	s_clause 0x1f
	global_load_b128 v[65:68], v[51:52], off offset:48
	global_load_b128 v[69:72], v[51:52], off offset:32
	;; [unrolled: 1-line block ×3, first 2 shown]
	global_load_b128 v[77:80], v[51:52], off
	global_load_b128 v[81:84], v[51:52], off offset:112
	global_load_b128 v[85:88], v[51:52], off offset:96
	;; [unrolled: 1-line block ×28, first 2 shown]
	s_wait_loadcnt 0x23
	v_subrev_nc_u32_e32 v47, s12, v47
	s_wait_loadcnt 0x22
	v_subrev_nc_u32_e32 v160, s12, v157
	;; [unrolled: 2-line block ×4, first 2 shown]
	v_lshlrev_b32_e32 v157, 2, v47
	v_lshlrev_b32_e32 v159, 2, v160
	;; [unrolled: 1-line block ×3, first 2 shown]
	s_delay_alu instid0(VALU_DEP_4) | instskip(NEXT) | instid1(VALU_DEP_4)
	v_lshlrev_b32_e32 v163, 2, v162
	v_ashrrev_i32_e32 v158, 31, v157
	s_delay_alu instid0(VALU_DEP_4) | instskip(NEXT) | instid1(VALU_DEP_4)
	v_ashrrev_i32_e32 v160, 31, v159
	v_ashrrev_i32_e32 v162, 31, v161
	s_delay_alu instid0(VALU_DEP_4) | instskip(NEXT) | instid1(VALU_DEP_4)
	v_ashrrev_i32_e32 v164, 31, v163
	v_lshlrev_b64_e32 v[157:158], 3, v[157:158]
	s_delay_alu instid0(VALU_DEP_4) | instskip(NEXT) | instid1(VALU_DEP_4)
	v_lshlrev_b64_e32 v[159:160], 3, v[159:160]
	v_lshlrev_b64_e32 v[161:162], 3, v[161:162]
	s_delay_alu instid0(VALU_DEP_4) | instskip(SKIP_1) | instid1(VALU_DEP_4)
	v_lshlrev_b64_e32 v[163:164], 3, v[163:164]
	s_wait_kmcnt 0x0
	v_add_co_u32 v165, vcc_lo, s4, v157
	s_wait_alu 0xfffd
	v_add_co_ci_u32_e64 v166, null, s5, v158, vcc_lo
	v_add_co_u32 v169, vcc_lo, s4, v159
	s_wait_alu 0xfffd
	v_add_co_ci_u32_e64 v170, null, s5, v160, vcc_lo
	;; [unrolled: 3-line block ×4, first 2 shown]
	s_clause 0x2
	global_load_b128 v[157:160], v[165:166], off
	global_load_b128 v[161:164], v[165:166], off offset:16
	global_load_b128 v[165:168], v[169:170], off
	v_add_co_u32 v53, vcc_lo, v53, 32
	s_wait_alu 0xfffd
	v_add_co_ci_u32_e64 v54, null, 0, v54, vcc_lo
	v_add_co_u32 v51, vcc_lo, 0x1000, v51
	s_wait_alu 0xfffd
	v_add_co_ci_u32_e64 v52, null, 0, v52, vcc_lo
	;; [unrolled: 3-line block ×3, first 2 shown]
	v_cmp_ge_i64_e32 vcc_lo, v[53:54], v[43:44]
	s_wait_alu 0xfffe
	s_or_b32 s7, vcc_lo, s7
	s_wait_loadcnt 0x2
	v_fmac_f32_e32 v48, v70, v157
	v_fmac_f32_e32 v58, v78, v157
	v_fmac_f32_e32 v59, v86, v157
	v_fmac_f32_e32 v60, v94, v157
	v_fmac_f32_e32 v64, v69, v157
	v_fmac_f32_e32 v48, v69, v158
	v_fmac_f32_e32 v63, v77, v157
	v_fmac_f32_e32 v58, v77, v158
	v_fmac_f32_e32 v61, v85, v157
	s_delay_alu instid0(VALU_DEP_4) | instskip(NEXT) | instid1(VALU_DEP_4)
	v_dual_fmac_f32 v59, v85, v158 :: v_dual_fmac_f32 v48, v72, v159
	v_fma_f32 v47, -v78, v158, v63
	s_delay_alu instid0(VALU_DEP_4)
	v_fmac_f32_e32 v58, v80, v159
	v_fma_f32 v63, -v70, v158, v64
	v_fma_f32 v61, -v86, v158, v61
	v_fmac_f32_e32 v48, v71, v160
	v_fmac_f32_e32 v47, v79, v159
	;; [unrolled: 1-line block ×3, first 2 shown]
	v_dual_fmac_f32 v63, v71, v159 :: v_dual_fmac_f32 v62, v93, v157
	v_fmac_f32_e32 v61, v87, v159
	s_delay_alu instid0(VALU_DEP_4)
	v_fma_f32 v47, -v80, v160, v47
	global_load_b128 v[77:80], v[169:170], off offset:16
	v_fma_f32 v63, -v72, v160, v63
	s_clause 0x1
	global_load_b128 v[69:72], v[171:172], off
	global_load_b128 v[169:172], v[171:172], off offset:16
	v_fma_f32 v62, -v94, v158, v62
	v_dual_fmac_f32 v60, v93, v158 :: v_dual_fmac_f32 v59, v88, v159
	s_wait_loadcnt 0x4
	v_fmac_f32_e32 v47, v73, v161
	v_fma_f32 v61, -v88, v160, v61
	v_fmac_f32_e32 v62, v95, v159
	v_dual_fmac_f32 v60, v96, v159 :: v_dual_fmac_f32 v59, v87, v160
	global_load_b128 v[85:88], v[173:174], off offset:16
	v_fma_f32 v47, -v74, v162, v47
	v_fma_f32 v62, -v96, v160, v62
	v_dual_fmac_f32 v60, v95, v160 :: v_dual_fmac_f32 v63, v65, v161
	global_load_b128 v[93:96], v[173:174], off
	v_fmac_f32_e32 v59, v82, v161
	v_fmac_f32_e32 v58, v74, v161
	v_dual_fmac_f32 v48, v66, v161 :: v_dual_fmac_f32 v47, v75, v163
	v_fma_f32 v63, -v66, v162, v63
	s_delay_alu instid0(VALU_DEP_4) | instskip(NEXT) | instid1(VALU_DEP_4)
	v_fmac_f32_e32 v59, v81, v162
	v_fmac_f32_e32 v58, v73, v162
	;; [unrolled: 1-line block ×4, first 2 shown]
	v_fma_f32 v47, -v76, v164, v47
	v_fmac_f32_e32 v59, v84, v163
	v_fmac_f32_e32 v58, v76, v163
	v_fma_f32 v61, -v82, v162, v61
	v_fmac_f32_e32 v60, v90, v161
	v_dual_fmac_f32 v62, v89, v161 :: v_dual_fmac_f32 v63, v67, v163
	v_fmac_f32_e32 v59, v83, v164
	s_delay_alu instid0(VALU_DEP_3) | instskip(SKIP_2) | instid1(VALU_DEP_3)
	v_dual_fmac_f32 v61, v83, v163 :: v_dual_fmac_f32 v60, v89, v162
	s_wait_loadcnt 0x5
	v_dual_fmac_f32 v48, v68, v163 :: v_dual_fmac_f32 v47, v109, v165
	v_dual_fmac_f32 v58, v75, v164 :: v_dual_fmac_f32 v59, v118, v165
	v_fma_f32 v62, -v90, v162, v62
	v_fma_f32 v63, -v68, v164, v63
	s_delay_alu instid0(VALU_DEP_4)
	v_fmac_f32_e32 v48, v67, v164
	v_fma_f32 v61, -v84, v164, v61
	v_fmac_f32_e32 v60, v92, v163
	v_fma_f32 v47, -v110, v166, v47
	v_dual_fmac_f32 v59, v117, v166 :: v_dual_fmac_f32 v62, v91, v163
	v_fmac_f32_e32 v63, v101, v165
	s_delay_alu instid0(VALU_DEP_3) | instskip(SKIP_1) | instid1(VALU_DEP_4)
	v_dual_fmac_f32 v58, v110, v165 :: v_dual_fmac_f32 v47, v111, v167
	v_dual_fmac_f32 v61, v117, v165 :: v_dual_fmac_f32 v60, v91, v164
	v_fmac_f32_e32 v59, v120, v167
	s_delay_alu instid0(VALU_DEP_4) | instskip(NEXT) | instid1(VALU_DEP_4)
	v_fma_f32 v63, -v102, v166, v63
	v_fma_f32 v47, -v112, v168, v47
	;; [unrolled: 1-line block ×3, first 2 shown]
	s_delay_alu instid0(VALU_DEP_4) | instskip(SKIP_4) | instid1(VALU_DEP_3)
	v_dual_fmac_f32 v60, v126, v165 :: v_dual_fmac_f32 v59, v119, v168
	v_fmac_f32_e32 v58, v109, v166
	v_dual_fmac_f32 v48, v102, v165 :: v_dual_fmac_f32 v63, v103, v167
	v_fma_f32 v61, -v118, v166, v61
	v_fmac_f32_e32 v62, v125, v165
	v_fma_f32 v63, -v104, v168, v63
	s_delay_alu instid0(VALU_DEP_3) | instskip(NEXT) | instid1(VALU_DEP_3)
	v_fmac_f32_e32 v61, v119, v167
	v_fma_f32 v62, -v126, v166, v62
	s_delay_alu instid0(VALU_DEP_2) | instskip(SKIP_1) | instid1(VALU_DEP_1)
	v_fma_f32 v61, -v120, v168, v61
	s_wait_loadcnt 0x4
	v_dual_fmac_f32 v62, v127, v167 :: v_dual_fmac_f32 v61, v113, v77
	v_fmac_f32_e32 v47, v105, v77
	v_dual_fmac_f32 v59, v114, v77 :: v_dual_fmac_f32 v58, v112, v167
	v_fmac_f32_e32 v63, v97, v77
	s_delay_alu instid0(VALU_DEP_4) | instskip(NEXT) | instid1(VALU_DEP_4)
	v_fma_f32 v61, -v114, v78, v61
	v_fma_f32 v47, -v106, v78, v47
	v_fmac_f32_e32 v48, v101, v166
	v_fma_f32 v62, -v128, v168, v62
	v_fma_f32 v63, -v98, v78, v63
	s_delay_alu instid0(VALU_DEP_4) | instskip(NEXT) | instid1(VALU_DEP_4)
	v_dual_fmac_f32 v60, v125, v166 :: v_dual_fmac_f32 v47, v107, v79
	v_dual_fmac_f32 v48, v104, v167 :: v_dual_fmac_f32 v59, v113, v78
	v_fmac_f32_e32 v58, v111, v168
	s_delay_alu instid0(VALU_DEP_4) | instskip(NEXT) | instid1(VALU_DEP_4)
	v_fmac_f32_e32 v63, v99, v79
	v_fmac_f32_e32 v60, v128, v167
	;; [unrolled: 1-line block ×3, first 2 shown]
	s_delay_alu instid0(VALU_DEP_4) | instskip(SKIP_2) | instid1(VALU_DEP_4)
	v_dual_fmac_f32 v59, v116, v79 :: v_dual_fmac_f32 v58, v106, v77
	v_fma_f32 v47, -v108, v80, v47
	v_fmac_f32_e32 v48, v103, v168
	v_fma_f32 v61, -v116, v80, v61
	s_delay_alu instid0(VALU_DEP_4)
	v_dual_fmac_f32 v59, v115, v80 :: v_dual_fmac_f32 v58, v105, v78
	s_wait_loadcnt 0x3
	v_fmac_f32_e32 v47, v129, v69
	v_fmac_f32_e32 v48, v98, v77
	;; [unrolled: 1-line block ×3, first 2 shown]
	v_dual_fmac_f32 v59, v33, v69 :: v_dual_fmac_f32 v58, v108, v79
	v_fmac_f32_e32 v62, v121, v77
	v_fma_f32 v63, -v100, v80, v63
	s_delay_alu instid0(VALU_DEP_3) | instskip(SKIP_2) | instid1(VALU_DEP_4)
	v_dual_fmac_f32 v60, v127, v168 :: v_dual_fmac_f32 v59, v32, v70
	v_fmac_f32_e32 v48, v97, v78
	v_fma_f32 v47, -v130, v70, v47
	v_fmac_f32_e32 v63, v28, v69
	s_delay_alu instid0(VALU_DEP_4) | instskip(NEXT) | instid1(VALU_DEP_4)
	v_dual_fmac_f32 v60, v122, v77 :: v_dual_fmac_f32 v59, v35, v71
	v_fmac_f32_e32 v48, v100, v79
	v_fma_f32 v33, -v33, v70, v61
	s_delay_alu instid0(VALU_DEP_3) | instskip(NEXT) | instid1(VALU_DEP_4)
	v_dual_fmac_f32 v47, v131, v71 :: v_dual_fmac_f32 v60, v121, v78
	v_fmac_f32_e32 v59, v34, v72
	v_fma_f32 v62, -v122, v78, v62
	s_delay_alu instid0(VALU_DEP_4) | instskip(NEXT) | instid1(VALU_DEP_4)
	v_fmac_f32_e32 v33, v34, v71
	v_fma_f32 v32, -v132, v72, v47
	s_wait_loadcnt 0x2
	v_dual_fmac_f32 v60, v124, v79 :: v_dual_fmac_f32 v59, v13, v169
	v_fmac_f32_e32 v58, v107, v80
	s_delay_alu instid0(VALU_DEP_3) | instskip(NEXT) | instid1(VALU_DEP_2)
	v_fmac_f32_e32 v32, v16, v169
	v_dual_fmac_f32 v59, v12, v170 :: v_dual_fmac_f32 v58, v130, v69
	s_delay_alu instid0(VALU_DEP_1) | instskip(NEXT) | instid1(VALU_DEP_1)
	v_dual_fmac_f32 v59, v15, v171 :: v_dual_fmac_f32 v58, v129, v70
	v_dual_fmac_f32 v59, v14, v172 :: v_dual_fmac_f32 v58, v132, v71
	s_wait_loadcnt 0x0
	s_delay_alu instid0(VALU_DEP_1) | instskip(NEXT) | instid1(VALU_DEP_1)
	v_dual_fmac_f32 v59, v146, v93 :: v_dual_fmac_f32 v58, v131, v72
	v_fmac_f32_e32 v59, v145, v94
	s_delay_alu instid0(VALU_DEP_2) | instskip(SKIP_1) | instid1(VALU_DEP_3)
	v_fmac_f32_e32 v58, v17, v169
	v_fma_f32 v17, -v17, v170, v32
	v_dual_fmac_f32 v48, v99, v80 :: v_dual_fmac_f32 v59, v148, v95
	s_delay_alu instid0(VALU_DEP_2) | instskip(NEXT) | instid1(VALU_DEP_2)
	v_dual_fmac_f32 v58, v16, v170 :: v_dual_fmac_f32 v17, v18, v171
	v_fmac_f32_e32 v48, v29, v69
	v_fma_f32 v29, -v29, v70, v63
	s_delay_alu instid0(VALU_DEP_4) | instskip(NEXT) | instid1(VALU_DEP_4)
	v_fmac_f32_e32 v59, v147, v96
	v_fmac_f32_e32 v58, v19, v171
	s_delay_alu instid0(VALU_DEP_3) | instskip(NEXT) | instid1(VALU_DEP_3)
	v_dual_fmac_f32 v48, v28, v70 :: v_dual_fmac_f32 v29, v30, v71
	v_fmac_f32_e32 v59, v142, v85
	s_delay_alu instid0(VALU_DEP_3) | instskip(NEXT) | instid1(VALU_DEP_3)
	v_fmac_f32_e32 v58, v18, v172
	v_fmac_f32_e32 v48, v31, v71
	s_delay_alu instid0(VALU_DEP_4) | instskip(NEXT) | instid1(VALU_DEP_4)
	v_fma_f32 v29, -v31, v72, v29
	v_dual_fmac_f32 v62, v123, v79 :: v_dual_fmac_f32 v59, v141, v86
	s_delay_alu instid0(VALU_DEP_4) | instskip(NEXT) | instid1(VALU_DEP_3)
	v_fmac_f32_e32 v58, v138, v93
	v_dual_fmac_f32 v48, v30, v72 :: v_dual_fmac_f32 v29, v8, v169
	s_delay_alu instid0(VALU_DEP_3) | instskip(SKIP_1) | instid1(VALU_DEP_3)
	v_fma_f32 v62, -v124, v80, v62
	v_fma_f32 v30, -v35, v72, v33
	v_dual_fmac_f32 v59, v144, v87 :: v_dual_fmac_f32 v48, v9, v169
	s_delay_alu instid0(VALU_DEP_4) | instskip(NEXT) | instid1(VALU_DEP_4)
	v_fma_f32 v9, -v9, v170, v29
	v_fmac_f32_e32 v62, v133, v69
	v_fmac_f32_e32 v60, v123, v80
	;; [unrolled: 1-line block ×3, first 2 shown]
	v_fma_f32 v12, -v19, v172, v17
	v_dual_fmac_f32 v9, v10, v171 :: v_dual_fmac_f32 v48, v8, v170
	s_delay_alu instid0(VALU_DEP_4) | instskip(SKIP_1) | instid1(VALU_DEP_4)
	v_fmac_f32_e32 v60, v134, v69
	v_fma_f32 v28, -v134, v70, v62
	v_fmac_f32_e32 v12, v137, v93
	s_delay_alu instid0(VALU_DEP_4)
	v_fma_f32 v9, -v11, v172, v9
	v_fmac_f32_e32 v48, v11, v171
	v_fma_f32 v13, -v13, v170, v30
	v_fmac_f32_e32 v58, v137, v94
	v_fma_f32 v11, -v138, v94, v12
	v_dual_fmac_f32 v9, v20, v93 :: v_dual_fmac_f32 v60, v133, v70
	s_delay_alu instid0(VALU_DEP_4) | instskip(NEXT) | instid1(VALU_DEP_3)
	v_fmac_f32_e32 v13, v14, v171
	v_dual_fmac_f32 v48, v10, v172 :: v_dual_fmac_f32 v11, v139, v95
	s_delay_alu instid0(VALU_DEP_3) | instskip(NEXT) | instid1(VALU_DEP_4)
	v_fma_f32 v9, -v21, v94, v9
	v_fmac_f32_e32 v60, v136, v71
	s_delay_alu instid0(VALU_DEP_4) | instskip(NEXT) | instid1(VALU_DEP_4)
	v_fma_f32 v10, -v15, v172, v13
	v_fmac_f32_e32 v48, v21, v93
	v_fma_f32 v11, -v140, v96, v11
	s_delay_alu instid0(VALU_DEP_4) | instskip(NEXT) | instid1(VALU_DEP_4)
	v_dual_fmac_f32 v9, v22, v95 :: v_dual_fmac_f32 v60, v135, v72
	v_fmac_f32_e32 v10, v145, v93
	s_delay_alu instid0(VALU_DEP_4) | instskip(NEXT) | instid1(VALU_DEP_4)
	v_fmac_f32_e32 v48, v20, v94
	v_fmac_f32_e32 v11, v4, v85
	s_delay_alu instid0(VALU_DEP_4) | instskip(SKIP_3) | instid1(VALU_DEP_4)
	v_fma_f32 v9, -v23, v96, v9
	v_fmac_f32_e32 v28, v135, v71
	v_fmac_f32_e32 v60, v25, v169
	v_fma_f32 v10, -v146, v94, v10
	v_dual_fmac_f32 v48, v23, v95 :: v_dual_fmac_f32 v9, v0, v85
	s_delay_alu instid0(VALU_DEP_4) | instskip(NEXT) | instid1(VALU_DEP_4)
	v_fma_f32 v28, -v136, v72, v28
	v_fmac_f32_e32 v60, v24, v170
	v_fmac_f32_e32 v58, v140, v95
	;; [unrolled: 1-line block ×4, first 2 shown]
	v_dual_fmac_f32 v28, v24, v169 :: v_dual_fmac_f32 v59, v143, v88
	v_fmac_f32_e32 v60, v27, v171
	v_fmac_f32_e32 v58, v139, v96
	v_fma_f32 v10, -v148, v96, v10
	v_fmac_f32_e32 v48, v1, v85
	v_fma_f32 v1, -v1, v86, v9
	v_fmac_f32_e32 v60, v26, v172
	v_fma_f32 v8, -v25, v170, v28
	v_fmac_f32_e32 v58, v5, v85
	v_fmac_f32_e32 v10, v141, v85
	v_fma_f32 v5, -v5, v86, v11
	v_fmac_f32_e32 v60, v150, v93
	v_dual_fmac_f32 v48, v0, v86 :: v_dual_fmac_f32 v1, v2, v87
	v_fmac_f32_e32 v8, v26, v171
	v_fmac_f32_e32 v58, v4, v86
	s_delay_alu instid0(VALU_DEP_4)
	v_fmac_f32_e32 v60, v149, v94
	v_fma_f32 v4, -v142, v86, v10
	v_fmac_f32_e32 v5, v6, v87
	v_fmac_f32_e32 v48, v3, v87
	v_fma_f32 v64, -v3, v88, v1
	v_fma_f32 v8, -v27, v172, v8
	v_fmac_f32_e32 v60, v152, v95
	v_fmac_f32_e32 v58, v7, v87
	;; [unrolled: 1-line block ×3, first 2 shown]
	v_fma_f32 v63, -v7, v88, v5
	v_fmac_f32_e32 v8, v149, v93
	v_fmac_f32_e32 v60, v151, v96
	;; [unrolled: 1-line block ×4, first 2 shown]
	v_fma_f32 v61, -v144, v88, v4
	v_fma_f32 v8, -v150, v94, v8
	v_fmac_f32_e32 v60, v154, v85
	s_delay_alu instid0(VALU_DEP_2) | instskip(NEXT) | instid1(VALU_DEP_2)
	v_fmac_f32_e32 v8, v151, v95
	v_fmac_f32_e32 v60, v153, v86
	s_delay_alu instid0(VALU_DEP_2) | instskip(NEXT) | instid1(VALU_DEP_2)
	v_fma_f32 v8, -v152, v96, v8
	v_fmac_f32_e32 v60, v156, v87
	s_delay_alu instid0(VALU_DEP_2) | instskip(NEXT) | instid1(VALU_DEP_2)
	v_fmac_f32_e32 v8, v153, v85
	v_fmac_f32_e32 v60, v155, v88
	s_delay_alu instid0(VALU_DEP_2) | instskip(NEXT) | instid1(VALU_DEP_1)
	v_fma_f32 v0, -v154, v86, v8
	v_fmac_f32_e32 v0, v155, v87
	s_delay_alu instid0(VALU_DEP_1)
	v_fma_f32 v62, -v156, v88, v0
	s_wait_alu 0xfffe
	s_and_not1_b32 exec_lo, exec_lo, s7
	s_cbranch_execnz .LBB31_19
; %bb.20:
	s_or_b32 exec_lo, exec_lo, s7
.LBB31_21:
	s_wait_alu 0xfffe
	s_or_b32 exec_lo, exec_lo, s6
.LBB31_22:
	s_wait_alu 0xfffe
	s_or_b32 exec_lo, exec_lo, s3
	s_cbranch_execz .LBB31_24
	s_branch .LBB31_35
.LBB31_23:
                                        ; implicit-def: $vgpr58
                                        ; implicit-def: $vgpr63
                                        ; implicit-def: $vgpr61
                                        ; implicit-def: $vgpr59
                                        ; implicit-def: $vgpr62
                                        ; implicit-def: $vgpr60
                                        ; implicit-def: $vgpr64
                                        ; implicit-def: $vgpr48
.LBB31_24:
	v_dual_mov_b32 v58, 0 :: v_dual_mov_b32 v63, 0
	v_dual_mov_b32 v61, 0 :: v_dual_mov_b32 v62, 0
	;; [unrolled: 1-line block ×3, first 2 shown]
	v_mov_b32_e32 v64, 0
	v_mov_b32_e32 v48, 0
	s_and_saveexec_b32 s3, s2
	s_cbranch_execz .LBB31_34
; %bb.25:
	v_or_b32_e32 v0, 8, v57
	v_not_b32_e32 v3, v49
	v_not_b32_e32 v2, v50
	s_delay_alu instid0(VALU_DEP_3) | instskip(SKIP_3) | instid1(VALU_DEP_3)
	v_sub_co_u32 v0, s2, v0, s12
	s_wait_alu 0xf1ff
	v_sub_co_ci_u32_e64 v1, null, 0, 0, s2
	v_sub_co_u32 v4, s2, s12, v57
	v_add_co_u32 v0, vcc_lo, v0, v49
	s_wait_alu 0xfffd
	s_delay_alu instid0(VALU_DEP_3) | instskip(SKIP_3) | instid1(VALU_DEP_3)
	v_add_co_ci_u32_e64 v1, null, v1, v50, vcc_lo
	s_wait_alu 0xf1ff
	v_sub_co_ci_u32_e64 v5, null, 0, 0, s2
	v_add_co_u32 v3, s2, v4, v3
	v_cmp_gt_i64_e32 vcc_lo, v[0:1], v[43:44]
	s_wait_alu 0xf1ff
	s_delay_alu instid0(VALU_DEP_3) | instskip(SKIP_3) | instid1(VALU_DEP_1)
	v_add_co_ci_u32_e64 v2, null, v5, v2, s2
	s_mov_b32 s2, exec_lo
	s_wait_alu 0xfffd
	v_dual_cndmask_b32 v1, v44, v1 :: v_dual_cndmask_b32 v0, v43, v0
	v_add_co_u32 v0, vcc_lo, v3, v0
	v_mov_b32_e32 v48, 0
	s_wait_alu 0xfffd
	s_delay_alu instid0(VALU_DEP_3) | instskip(NEXT) | instid1(VALU_DEP_2)
	v_add_co_ci_u32_e64 v1, null, v2, v1, vcc_lo
	v_dual_mov_b32 v64, v48 :: v_dual_and_b32 v47, 24, v0
	v_dual_mov_b32 v59, v48 :: v_dual_mov_b32 v60, v48
	v_dual_mov_b32 v61, v48 :: v_dual_mov_b32 v62, v48
	;; [unrolled: 1-line block ×3, first 2 shown]
	s_delay_alu instid0(VALU_DEP_4)
	v_cmpx_ne_u64_e32 24, v[47:48]
	s_cbranch_execz .LBB31_29
; %bb.26:
	v_lshrrev_b32_e32 v2, 3, v0
	v_dual_mov_b32 v58, 0 :: v_dual_mov_b32 v63, 0
	v_mov_b32_e32 v62, 0
	v_mov_b32_e32 v60, 0
	s_delay_alu instid0(VALU_DEP_4) | instskip(SKIP_2) | instid1(VALU_DEP_3)
	v_dual_mov_b32 v61, 0 :: v_dual_add_nc_u32 v4, 1, v2
	v_lshlrev_b64_e32 v[2:3], 2, v[41:42]
	v_dual_mov_b32 v59, 0 :: v_dual_mov_b32 v64, 0
	v_and_b32_e32 v4, 3, v4
	v_mov_b32_e32 v48, 0
	s_delay_alu instid0(VALU_DEP_4) | instskip(NEXT) | instid1(VALU_DEP_3)
	v_add_co_u32 v2, vcc_lo, s8, v2
	v_sub_co_u32 v4, s6, 0, v4
	s_wait_alu 0xfffd
	v_add_co_ci_u32_e64 v3, null, s9, v3, vcc_lo
	s_wait_alu 0xf1ff
	v_sub_co_ci_u32_e64 v5, null, 0, 0, s6
	s_mov_b32 s6, 0
.LBB31_27:                              ; =>This Inner Loop Header: Depth=1
	global_load_b32 v18, v[2:3], off
	s_clause 0x2
	global_load_b128 v[6:9], v[45:46], off offset:32
	global_load_b128 v[10:13], v[45:46], off offset:16
	global_load_b128 v[14:17], v[45:46], off
	s_wait_loadcnt 0x3
	v_subrev_nc_u32_e32 v18, s12, v18
	s_delay_alu instid0(VALU_DEP_1) | instskip(NEXT) | instid1(VALU_DEP_1)
	v_lshlrev_b32_e32 v18, 2, v18
	v_ashrrev_i32_e32 v19, 31, v18
	s_delay_alu instid0(VALU_DEP_1) | instskip(SKIP_1) | instid1(VALU_DEP_1)
	v_lshlrev_b64_e32 v[18:19], 3, v[18:19]
	s_wait_kmcnt 0x0
	v_add_co_u32 v22, vcc_lo, s4, v18
	s_wait_alu 0xfffd
	s_delay_alu instid0(VALU_DEP_2)
	v_add_co_ci_u32_e64 v23, null, s5, v19, vcc_lo
	s_clause 0x1
	global_load_b128 v[18:21], v[22:23], off
	global_load_b128 v[22:25], v[22:23], off offset:16
	s_clause 0x4
	global_load_b128 v[26:29], v[45:46], off offset:48
	global_load_b128 v[30:33], v[45:46], off offset:64
	global_load_b128 v[49:52], v[45:46], off offset:80
	global_load_b128 v[53:56], v[45:46], off offset:96
	global_load_b128 v[65:68], v[45:46], off offset:112
	v_add_co_u32 v45, vcc_lo, 0x400, v45
	s_wait_alu 0xfffd
	v_add_co_ci_u32_e64 v46, null, 0, v46, vcc_lo
	v_add_co_u32 v41, vcc_lo, v41, 8
	s_wait_alu 0xfffd
	v_add_co_ci_u32_e64 v42, null, 0, v42, vcc_lo
	;; [unrolled: 3-line block ×4, first 2 shown]
	s_delay_alu instid0(VALU_DEP_3) | instskip(SKIP_4) | instid1(VALU_DEP_1)
	v_cmp_eq_u64_e32 vcc_lo, 0, v[4:5]
	s_wait_alu 0xfffe
	s_or_b32 s6, vcc_lo, s6
	s_wait_loadcnt 0x6
	v_fmac_f32_e32 v59, v13, v18
	v_dual_fmac_f32 v58, v15, v18 :: v_dual_fmac_f32 v59, v12, v19
	s_wait_loadcnt 0x4
	s_delay_alu instid0(VALU_DEP_1) | instskip(NEXT) | instid1(VALU_DEP_1)
	v_dual_fmac_f32 v62, v10, v18 :: v_dual_fmac_f32 v59, v29, v20
	v_dual_fmac_f32 v48, v17, v18 :: v_dual_fmac_f32 v59, v28, v21
	s_delay_alu instid0(VALU_DEP_1) | instskip(SKIP_1) | instid1(VALU_DEP_2)
	v_dual_fmac_f32 v63, v14, v18 :: v_dual_fmac_f32 v48, v16, v19
	s_wait_loadcnt 0x2
	v_fmac_f32_e32 v59, v52, v22
	s_delay_alu instid0(VALU_DEP_2) | instskip(NEXT) | instid1(VALU_DEP_2)
	v_fma_f32 v15, -v15, v19, v63
	v_dual_fmac_f32 v48, v9, v20 :: v_dual_fmac_f32 v59, v51, v23
	s_delay_alu instid0(VALU_DEP_2) | instskip(SKIP_1) | instid1(VALU_DEP_3)
	v_fmac_f32_e32 v15, v6, v20
	v_dual_fmac_f32 v61, v12, v18 :: v_dual_fmac_f32 v58, v14, v19
	v_fmac_f32_e32 v48, v8, v21
	s_wait_loadcnt 0x0
	v_fmac_f32_e32 v59, v68, v24
	s_delay_alu instid0(VALU_DEP_3) | instskip(SKIP_1) | instid1(VALU_DEP_3)
	v_fmac_f32_e32 v58, v7, v20
	v_fma_f32 v7, -v7, v21, v15
	v_dual_fmac_f32 v48, v33, v22 :: v_dual_fmac_f32 v59, v67, v25
	s_delay_alu instid0(VALU_DEP_2) | instskip(NEXT) | instid1(VALU_DEP_4)
	v_fmac_f32_e32 v7, v30, v22
	v_fmac_f32_e32 v58, v6, v21
	s_delay_alu instid0(VALU_DEP_3) | instskip(NEXT) | instid1(VALU_DEP_3)
	v_fmac_f32_e32 v48, v32, v23
	v_fma_f32 v7, -v31, v23, v7
	v_fmac_f32_e32 v60, v11, v18
	v_fma_f32 v11, -v11, v19, v62
	v_fmac_f32_e32 v64, v16, v18
	v_fmac_f32_e32 v48, v56, v24
	s_delay_alu instid0(VALU_DEP_4) | instskip(SKIP_3) | instid1(VALU_DEP_4)
	v_dual_fmac_f32 v7, v53, v24 :: v_dual_fmac_f32 v60, v10, v19
	v_fma_f32 v10, -v13, v19, v61
	v_fmac_f32_e32 v11, v26, v20
	v_fma_f32 v14, -v17, v19, v64
	v_fma_f32 v63, -v54, v25, v7
	v_fmac_f32_e32 v60, v27, v20
	v_fmac_f32_e32 v10, v28, v20
	;; [unrolled: 1-line block ×4, first 2 shown]
	v_fma_f32 v8, -v27, v21, v11
	v_fmac_f32_e32 v60, v26, v21
	s_delay_alu instid0(VALU_DEP_3) | instskip(SKIP_1) | instid1(VALU_DEP_4)
	v_fma_f32 v6, -v9, v21, v14
	v_fma_f32 v9, -v29, v21, v10
	v_fmac_f32_e32 v8, v49, v22
	s_delay_alu instid0(VALU_DEP_4) | instskip(NEXT) | instid1(VALU_DEP_4)
	v_fmac_f32_e32 v60, v50, v22
	v_fmac_f32_e32 v6, v32, v22
	s_delay_alu instid0(VALU_DEP_4) | instskip(NEXT) | instid1(VALU_DEP_4)
	v_fmac_f32_e32 v9, v51, v22
	v_fma_f32 v8, -v50, v23, v8
	s_delay_alu instid0(VALU_DEP_4) | instskip(NEXT) | instid1(VALU_DEP_4)
	v_fmac_f32_e32 v60, v49, v23
	v_fma_f32 v6, -v33, v23, v6
	s_delay_alu instid0(VALU_DEP_4) | instskip(NEXT) | instid1(VALU_DEP_4)
	v_fma_f32 v9, -v52, v23, v9
	v_fmac_f32_e32 v8, v65, v24
	s_delay_alu instid0(VALU_DEP_4) | instskip(NEXT) | instid1(VALU_DEP_4)
	v_fmac_f32_e32 v60, v66, v24
	v_fmac_f32_e32 v6, v55, v24
	s_delay_alu instid0(VALU_DEP_4)
	v_fmac_f32_e32 v9, v67, v24
	v_fmac_f32_e32 v58, v31, v22
	v_fma_f32 v62, -v66, v25, v8
	v_fmac_f32_e32 v60, v65, v25
	v_fma_f32 v64, -v56, v25, v6
	v_fma_f32 v61, -v68, v25, v9
	v_fmac_f32_e32 v58, v30, v23
	s_delay_alu instid0(VALU_DEP_1) | instskip(NEXT) | instid1(VALU_DEP_1)
	v_fmac_f32_e32 v58, v54, v24
	v_fmac_f32_e32 v58, v53, v25
	s_wait_alu 0xfffe
	s_and_not1_b32 exec_lo, exec_lo, s6
	s_cbranch_execnz .LBB31_27
; %bb.28:
	s_or_b32 exec_lo, exec_lo, s6
.LBB31_29:
	s_wait_alu 0xfffe
	s_or_b32 exec_lo, exec_lo, s2
	s_delay_alu instid0(SALU_CYCLE_1)
	s_mov_b32 s2, exec_lo
	v_cmpx_lt_u64_e32 23, v[0:1]
	s_cbranch_execz .LBB31_33
; %bb.30:
	v_lshlrev_b64_e32 v[0:1], 2, v[41:42]
	s_mov_b32 s6, 0
	s_delay_alu instid0(VALU_DEP_1) | instskip(SKIP_1) | instid1(VALU_DEP_2)
	v_add_co_u32 v0, vcc_lo, s8, v0
	s_wait_alu 0xfffd
	v_add_co_ci_u32_e64 v1, null, s9, v1, vcc_lo
	s_delay_alu instid0(VALU_DEP_2) | instskip(SKIP_1) | instid1(VALU_DEP_2)
	v_add_co_u32 v4, vcc_lo, v0, 64
	s_wait_alu 0xfffd
	v_add_co_ci_u32_e64 v5, null, 0, v1, vcc_lo
.LBB31_31:                              ; =>This Inner Loop Header: Depth=1
	s_clause 0x3
	global_load_b32 v6, v[4:5], off offset:-64
	global_load_b32 v35, v[4:5], off offset:-32
	global_load_b32 v47, v[4:5], off
	global_load_b32 v133, v[4:5], off offset:32
	s_clause 0x1a
	global_load_b128 v[7:10], v[45:46], off offset:48
	global_load_b128 v[11:14], v[45:46], off offset:32
	;; [unrolled: 1-line block ×3, first 2 shown]
	global_load_b128 v[19:22], v[45:46], off
	global_load_b128 v[23:26], v[45:46], off offset:112
	global_load_b128 v[27:30], v[45:46], off offset:96
	;; [unrolled: 1-line block ×23, first 2 shown]
	s_wait_loadcnt 0x1e
	v_subrev_nc_u32_e32 v6, s12, v6
	s_wait_loadcnt 0x1d
	v_subrev_nc_u32_e32 v35, s12, v35
	;; [unrolled: 2-line block ×4, first 2 shown]
	v_lshlrev_b32_e32 v133, 2, v6
	v_lshlrev_b32_e32 v135, 2, v35
	;; [unrolled: 1-line block ×3, first 2 shown]
	s_delay_alu instid0(VALU_DEP_4) | instskip(NEXT) | instid1(VALU_DEP_4)
	v_lshlrev_b32_e32 v139, 2, v134
	v_ashrrev_i32_e32 v134, 31, v133
	s_delay_alu instid0(VALU_DEP_4) | instskip(NEXT) | instid1(VALU_DEP_4)
	v_ashrrev_i32_e32 v136, 31, v135
	v_ashrrev_i32_e32 v138, 31, v137
	s_delay_alu instid0(VALU_DEP_4) | instskip(NEXT) | instid1(VALU_DEP_4)
	v_ashrrev_i32_e32 v140, 31, v139
	v_lshlrev_b64_e32 v[133:134], 3, v[133:134]
	s_delay_alu instid0(VALU_DEP_4) | instskip(NEXT) | instid1(VALU_DEP_4)
	v_lshlrev_b64_e32 v[135:136], 3, v[135:136]
	v_lshlrev_b64_e32 v[137:138], 3, v[137:138]
	s_delay_alu instid0(VALU_DEP_4) | instskip(SKIP_1) | instid1(VALU_DEP_4)
	v_lshlrev_b64_e32 v[139:140], 3, v[139:140]
	s_wait_kmcnt 0x0
	v_add_co_u32 v141, vcc_lo, s4, v133
	s_wait_alu 0xfffd
	v_add_co_ci_u32_e64 v142, null, s5, v134, vcc_lo
	v_add_co_u32 v143, vcc_lo, s4, v135
	s_wait_alu 0xfffd
	v_add_co_ci_u32_e64 v144, null, s5, v136, vcc_lo
	;; [unrolled: 3-line block ×4, first 2 shown]
	s_clause 0x1
	global_load_b128 v[133:136], v[141:142], off
	global_load_b128 v[137:140], v[141:142], off offset:16
	s_wait_loadcnt 0x1
	v_fmac_f32_e32 v64, v21, v133
	v_fmac_f32_e32 v48, v22, v133
	;; [unrolled: 1-line block ×5, first 2 shown]
	v_fma_f32 v35, -v22, v134, v64
	v_fmac_f32_e32 v60, v16, v133
	v_fmac_f32_e32 v48, v21, v134
	v_fma_f32 v6, -v20, v134, v63
	s_delay_alu instid0(VALU_DEP_4) | instskip(NEXT) | instid1(VALU_DEP_4)
	v_dual_fmac_f32 v58, v19, v134 :: v_dual_fmac_f32 v35, v13, v135
	v_dual_fmac_f32 v59, v18, v133 :: v_dual_fmac_f32 v60, v15, v134
	v_fmac_f32_e32 v62, v15, v133
	s_delay_alu instid0(VALU_DEP_4) | instskip(NEXT) | instid1(VALU_DEP_4)
	v_fmac_f32_e32 v6, v11, v135
	v_fma_f32 v35, -v14, v136, v35
	s_delay_alu instid0(VALU_DEP_4) | instskip(NEXT) | instid1(VALU_DEP_4)
	v_dual_fmac_f32 v59, v17, v134 :: v_dual_fmac_f32 v60, v8, v135
	v_fma_f32 v47, -v16, v134, v62
	v_fma_f32 v61, -v18, v134, v61
	;; [unrolled: 1-line block ×3, first 2 shown]
	s_wait_loadcnt 0x0
	v_dual_fmac_f32 v48, v14, v135 :: v_dual_fmac_f32 v35, v51, v137
	v_dual_fmac_f32 v59, v10, v135 :: v_dual_fmac_f32 v60, v7, v136
	v_fmac_f32_e32 v58, v12, v135
	v_fmac_f32_e32 v47, v7, v135
	;; [unrolled: 1-line block ×3, first 2 shown]
	s_delay_alu instid0(VALU_DEP_4) | instskip(NEXT) | instid1(VALU_DEP_4)
	v_fmac_f32_e32 v59, v9, v136
	v_dual_fmac_f32 v133, v49, v137 :: v_dual_fmac_f32 v58, v11, v136
	v_fmac_f32_e32 v48, v13, v136
	s_clause 0x2
	global_load_b128 v[19:22], v[45:46], off offset:3072
	global_load_b128 v[11:14], v[45:46], off offset:3136
	;; [unrolled: 1-line block ×3, first 2 shown]
	v_fma_f32 v47, -v8, v136, v47
	v_fma_f32 v10, -v10, v136, v61
	s_clause 0x1
	global_load_b128 v[6:9], v[143:144], off
	global_load_b128 v[61:64], v[143:144], off offset:16
	v_fma_f32 v141, -v50, v138, v133
	v_fmac_f32_e32 v48, v52, v137
	v_fmac_f32_e32 v59, v34, v137
	;; [unrolled: 1-line block ×3, first 2 shown]
	v_fma_f32 v35, -v52, v138, v35
	v_fmac_f32_e32 v141, v27, v139
	v_fmac_f32_e32 v48, v51, v138
	;; [unrolled: 1-line block ×3, first 2 shown]
	v_dual_fmac_f32 v58, v49, v138 :: v_dual_fmac_f32 v47, v31, v137
	s_clause 0x1
	global_load_b128 v[49:52], v[145:146], off
	global_load_b128 v[133:136], v[145:146], off offset:16
	v_dual_fmac_f32 v60, v32, v137 :: v_dual_fmac_f32 v35, v29, v139
	v_fmac_f32_e32 v59, v26, v139
	v_fma_f32 v47, -v32, v138, v47
	v_fmac_f32_e32 v10, v33, v137
	s_delay_alu instid0(VALU_DEP_4) | instskip(NEXT) | instid1(VALU_DEP_4)
	v_fmac_f32_e32 v60, v31, v138
	v_dual_fmac_f32 v58, v28, v139 :: v_dual_fmac_f32 v59, v25, v140
	s_delay_alu instid0(VALU_DEP_4) | instskip(NEXT) | instid1(VALU_DEP_4)
	v_fmac_f32_e32 v47, v23, v139
	v_fma_f32 v10, -v34, v138, v10
	global_load_b128 v[31:34], v[147:148], off
	v_fma_f32 v141, -v28, v140, v141
	v_fmac_f32_e32 v48, v30, v139
	v_fma_f32 v35, -v30, v140, v35
	v_fmac_f32_e32 v10, v25, v139
	v_fma_f32 v47, -v24, v140, v47
	s_wait_loadcnt 0x4
	s_delay_alu instid0(VALU_DEP_1)
	v_dual_fmac_f32 v58, v27, v140 :: v_dual_fmac_f32 v47, v69, v6
	v_fmac_f32_e32 v59, v72, v6
	v_fma_f32 v10, -v26, v140, v10
	v_fmac_f32_e32 v141, v73, v6
	v_dual_fmac_f32 v48, v29, v140 :: v_dual_fmac_f32 v35, v75, v6
	global_load_b128 v[27:30], v[147:148], off offset:16
	v_dual_fmac_f32 v58, v74, v6 :: v_dual_fmac_f32 v59, v71, v7
	v_fmac_f32_e32 v10, v71, v6
	v_fma_f32 v35, -v76, v7, v35
	v_fmac_f32_e32 v60, v24, v139
	v_fma_f32 v47, -v70, v7, v47
	v_dual_fmac_f32 v59, v56, v8 :: v_dual_fmac_f32 v58, v73, v7
	s_delay_alu instid0(VALU_DEP_4) | instskip(NEXT) | instid1(VALU_DEP_3)
	v_dual_fmac_f32 v35, v67, v8 :: v_dual_fmac_f32 v48, v76, v6
	v_fmac_f32_e32 v47, v53, v8
	s_delay_alu instid0(VALU_DEP_3)
	v_fmac_f32_e32 v59, v55, v9
	v_fmac_f32_e32 v60, v23, v140
	s_clause 0x1
	global_load_b128 v[23:26], v[45:46], off offset:3168
	global_load_b128 v[137:140], v[45:46], off offset:3184
	v_fmac_f32_e32 v58, v66, v8
	v_fma_f32 v10, -v72, v7, v10
	s_wait_loadcnt 0x6
	v_dual_fmac_f32 v59, v88, v61 :: v_dual_fmac_f32 v60, v70, v6
	v_fma_f32 v6, -v74, v7, v141
	v_add_co_u32 v45, vcc_lo, 0x1000, v45
	s_delay_alu instid0(VALU_DEP_3) | instskip(SKIP_3) | instid1(VALU_DEP_3)
	v_dual_fmac_f32 v59, v87, v62 :: v_dual_fmac_f32 v60, v69, v7
	s_wait_alu 0xfffd
	v_add_co_ci_u32_e64 v46, null, 0, v46, vcc_lo
	v_add_co_u32 v41, vcc_lo, v41, 32
	v_dual_fmac_f32 v60, v54, v8 :: v_dual_fmac_f32 v59, v80, v63
	v_fmac_f32_e32 v58, v65, v9
	s_wait_alu 0xfffd
	v_add_co_ci_u32_e64 v42, null, 0, v42, vcc_lo
	v_add_co_u32 v4, vcc_lo, 0x80, v4
	v_fmac_f32_e32 v59, v79, v64
	v_fmac_f32_e32 v48, v75, v7
	v_fma_f32 v7, -v68, v9, v35
	s_wait_alu 0xfffd
	v_add_co_ci_u32_e64 v5, null, 0, v5, vcc_lo
	s_wait_loadcnt 0x5
	v_fmac_f32_e32 v59, v104, v49
	v_fmac_f32_e32 v60, v53, v9
	;; [unrolled: 1-line block ×3, first 2 shown]
	v_cmp_ge_i64_e32 vcc_lo, v[41:42], v[43:44]
	s_delay_alu instid0(VALU_DEP_4) | instskip(SKIP_1) | instid1(VALU_DEP_4)
	v_fmac_f32_e32 v59, v103, v50
	v_fmac_f32_e32 v10, v55, v8
	v_fma_f32 v7, -v92, v62, v7
	v_fmac_f32_e32 v6, v65, v8
	s_wait_alu 0xfffe
	s_or_b32 s6, vcc_lo, s6
	v_fmac_f32_e32 v59, v96, v51
	v_fma_f32 v10, -v56, v9, v10
	v_fmac_f32_e32 v7, v83, v63
	v_fma_f32 v6, -v66, v9, v6
	s_delay_alu instid0(VALU_DEP_4) | instskip(NEXT) | instid1(VALU_DEP_4)
	v_fmac_f32_e32 v59, v95, v52
	v_fmac_f32_e32 v10, v87, v61
	s_delay_alu instid0(VALU_DEP_4)
	v_fma_f32 v7, -v84, v64, v7
	v_fmac_f32_e32 v48, v68, v8
	v_fma_f32 v8, -v54, v9, v47
	s_wait_loadcnt 0x4
	v_fmac_f32_e32 v59, v116, v133
	v_fmac_f32_e32 v7, v107, v49
	;; [unrolled: 1-line block ×3, first 2 shown]
	v_fma_f32 v9, -v88, v62, v10
	s_delay_alu instid0(VALU_DEP_4) | instskip(NEXT) | instid1(VALU_DEP_4)
	v_dual_fmac_f32 v8, v85, v61 :: v_dual_fmac_f32 v59, v115, v134
	v_fma_f32 v7, -v108, v50, v7
	s_delay_alu instid0(VALU_DEP_3) | instskip(NEXT) | instid1(VALU_DEP_3)
	v_dual_fmac_f32 v6, v89, v61 :: v_dual_fmac_f32 v9, v79, v63
	v_fma_f32 v8, -v86, v62, v8
	s_delay_alu instid0(VALU_DEP_4) | instskip(NEXT) | instid1(VALU_DEP_4)
	v_fmac_f32_e32 v59, v3, v135
	v_fmac_f32_e32 v7, v99, v51
	s_delay_alu instid0(VALU_DEP_4) | instskip(SKIP_1) | instid1(VALU_DEP_4)
	v_fma_f32 v6, -v90, v62, v6
	v_fma_f32 v9, -v80, v64, v9
	v_fmac_f32_e32 v59, v2, v136
	s_delay_alu instid0(VALU_DEP_4) | instskip(NEXT) | instid1(VALU_DEP_3)
	v_fma_f32 v7, -v100, v52, v7
	v_dual_fmac_f32 v6, v81, v63 :: v_dual_fmac_f32 v9, v103, v49
	s_wait_loadcnt 0x3
	s_delay_alu instid0(VALU_DEP_3) | instskip(NEXT) | instid1(VALU_DEP_3)
	v_fmac_f32_e32 v59, v132, v31
	v_fmac_f32_e32 v7, v119, v133
	s_delay_alu instid0(VALU_DEP_3) | instskip(SKIP_1) | instid1(VALU_DEP_4)
	v_fma_f32 v6, -v82, v64, v6
	v_fma_f32 v9, -v104, v50, v9
	v_dual_fmac_f32 v58, v90, v61 :: v_dual_fmac_f32 v59, v131, v32
	s_delay_alu instid0(VALU_DEP_4) | instskip(NEXT) | instid1(VALU_DEP_3)
	v_fma_f32 v7, -v120, v134, v7
	v_dual_fmac_f32 v60, v86, v61 :: v_dual_fmac_f32 v9, v95, v51
	s_delay_alu instid0(VALU_DEP_3) | instskip(NEXT) | instid1(VALU_DEP_3)
	v_fmac_f32_e32 v58, v89, v62
	v_dual_fmac_f32 v6, v105, v49 :: v_dual_fmac_f32 v7, v111, v135
	v_dual_fmac_f32 v8, v77, v63 :: v_dual_fmac_f32 v59, v124, v33
	s_delay_alu instid0(VALU_DEP_4) | instskip(SKIP_2) | instid1(VALU_DEP_4)
	v_fma_f32 v9, -v96, v52, v9
	v_fmac_f32_e32 v60, v85, v62
	v_fmac_f32_e32 v58, v82, v63
	v_fma_f32 v8, -v78, v64, v8
	v_fma_f32 v7, -v112, v136, v7
	s_delay_alu instid0(VALU_DEP_4) | instskip(NEXT) | instid1(VALU_DEP_4)
	v_dual_fmac_f32 v9, v115, v133 :: v_dual_fmac_f32 v60, v78, v63
	v_dual_fmac_f32 v58, v81, v64 :: v_dual_fmac_f32 v59, v123, v34
	s_delay_alu instid0(VALU_DEP_4) | instskip(NEXT) | instid1(VALU_DEP_3)
	v_fmac_f32_e32 v8, v101, v49
	v_fma_f32 v9, -v116, v134, v9
	s_delay_alu instid0(VALU_DEP_4) | instskip(NEXT) | instid1(VALU_DEP_4)
	v_fmac_f32_e32 v60, v77, v64
	v_dual_fmac_f32 v58, v106, v49 :: v_dual_fmac_f32 v7, v21, v31
	v_fma_f32 v6, -v106, v50, v6
	s_delay_alu instid0(VALU_DEP_4) | instskip(NEXT) | instid1(VALU_DEP_3)
	v_dual_fmac_f32 v9, v2, v135 :: v_dual_fmac_f32 v48, v92, v61
	v_fmac_f32_e32 v58, v105, v50
	v_fma_f32 v8, -v102, v50, v8
	s_delay_alu instid0(VALU_DEP_3) | instskip(NEXT) | instid1(VALU_DEP_2)
	v_fmac_f32_e32 v48, v91, v62
	v_fmac_f32_e32 v8, v93, v51
	s_delay_alu instid0(VALU_DEP_1) | instskip(NEXT) | instid1(VALU_DEP_1)
	v_fma_f32 v8, -v94, v52, v8
	v_fmac_f32_e32 v8, v113, v133
	s_delay_alu instid0(VALU_DEP_1) | instskip(NEXT) | instid1(VALU_DEP_1)
	v_fma_f32 v8, -v114, v134, v8
	v_fmac_f32_e32 v8, v0, v135
	s_wait_loadcnt 0x2
	v_fmac_f32_e32 v59, v18, v27
	s_delay_alu instid0(VALU_DEP_1) | instskip(SKIP_1) | instid1(VALU_DEP_1)
	v_dual_fmac_f32 v60, v102, v49 :: v_dual_fmac_f32 v59, v17, v28
	s_wait_loadcnt 0x0
	v_dual_fmac_f32 v60, v101, v50 :: v_dual_fmac_f32 v59, v140, v29
	s_delay_alu instid0(VALU_DEP_1) | instskip(NEXT) | instid1(VALU_DEP_2)
	v_fmac_f32_e32 v60, v94, v51
	v_dual_fmac_f32 v6, v97, v51 :: v_dual_fmac_f32 v59, v139, v30
	s_delay_alu instid0(VALU_DEP_2) | instskip(NEXT) | instid1(VALU_DEP_2)
	v_fmac_f32_e32 v60, v93, v52
	v_fma_f32 v6, -v98, v52, v6
	s_delay_alu instid0(VALU_DEP_2) | instskip(NEXT) | instid1(VALU_DEP_2)
	v_fmac_f32_e32 v60, v114, v133
	v_fmac_f32_e32 v6, v117, v133
	s_delay_alu instid0(VALU_DEP_2) | instskip(NEXT) | instid1(VALU_DEP_2)
	v_fmac_f32_e32 v60, v113, v134
	v_fma_f32 v6, -v118, v134, v6
	s_delay_alu instid0(VALU_DEP_2) | instskip(SKIP_1) | instid1(VALU_DEP_3)
	v_fmac_f32_e32 v60, v1, v135
	v_fma_f32 v1, -v1, v136, v8
	v_fmac_f32_e32 v6, v109, v135
	s_delay_alu instid0(VALU_DEP_3)
	v_fmac_f32_e32 v60, v0, v136
	v_fma_f32 v0, -v3, v136, v9
	v_fma_f32 v3, -v22, v32, v7
	v_fmac_f32_e32 v48, v84, v63
	v_fmac_f32_e32 v1, v129, v31
	v_fma_f32 v6, -v110, v136, v6
	s_delay_alu instid0(VALU_DEP_4) | instskip(NEXT) | instid1(VALU_DEP_4)
	v_dual_fmac_f32 v60, v130, v31 :: v_dual_fmac_f32 v3, v127, v33
	v_fmac_f32_e32 v48, v83, v64
	s_delay_alu instid0(VALU_DEP_4) | instskip(NEXT) | instid1(VALU_DEP_4)
	v_fma_f32 v1, -v130, v32, v1
	v_fmac_f32_e32 v6, v19, v31
	v_fmac_f32_e32 v0, v131, v31
	v_fma_f32 v3, -v128, v34, v3
	v_fmac_f32_e32 v48, v108, v49
	v_fmac_f32_e32 v1, v121, v33
	;; [unrolled: 3-line block ×3, first 2 shown]
	v_fma_f32 v0, -v132, v32, v0
	v_fma_f32 v1, -v122, v34, v1
	v_fmac_f32_e32 v2, v125, v33
	v_fmac_f32_e32 v60, v122, v33
	v_fma_f32 v3, -v14, v28, v3
	v_fmac_f32_e32 v48, v107, v50
	v_fmac_f32_e32 v1, v15, v27
	;; [unrolled: 1-line block ×3, first 2 shown]
	v_fma_f32 v2, -v126, v34, v2
	s_delay_alu instid0(VALU_DEP_4) | instskip(NEXT) | instid1(VALU_DEP_4)
	v_dual_fmac_f32 v3, v25, v29 :: v_dual_fmac_f32 v48, v100, v51
	v_fma_f32 v1, -v16, v28, v1
	v_fmac_f32_e32 v58, v98, v51
	v_fmac_f32_e32 v60, v121, v34
	v_fma_f32 v0, -v124, v34, v0
	s_delay_alu instid0(VALU_DEP_4) | instskip(NEXT) | instid1(VALU_DEP_4)
	v_dual_fmac_f32 v48, v99, v52 :: v_dual_fmac_f32 v1, v137, v29
	v_fmac_f32_e32 v58, v97, v52
	v_fmac_f32_e32 v2, v11, v27
	v_fmac_f32_e32 v60, v16, v27
	s_delay_alu instid0(VALU_DEP_4)
	v_fmac_f32_e32 v48, v120, v133
	v_fmac_f32_e32 v0, v17, v27
	;; [unrolled: 1-line block ×3, first 2 shown]
	v_fma_f32 v2, -v12, v28, v2
	v_fmac_f32_e32 v60, v15, v28
	v_fmac_f32_e32 v48, v119, v134
	v_fma_f32 v0, -v18, v28, v0
	v_fmac_f32_e32 v58, v117, v134
	v_fmac_f32_e32 v2, v23, v29
	;; [unrolled: 1-line block ×6, first 2 shown]
	v_fma_f32 v63, -v24, v30, v2
	v_fma_f32 v64, -v26, v30, v3
	v_fmac_f32_e32 v48, v111, v136
	v_fma_f32 v62, -v138, v30, v1
	v_fmac_f32_e32 v58, v109, v136
	v_fmac_f32_e32 v60, v137, v30
	v_fma_f32 v61, -v140, v30, v0
	v_fmac_f32_e32 v48, v22, v31
	s_delay_alu instid0(VALU_DEP_4) | instskip(NEXT) | instid1(VALU_DEP_2)
	v_fmac_f32_e32 v58, v20, v31
	v_fmac_f32_e32 v48, v21, v32
	s_delay_alu instid0(VALU_DEP_2) | instskip(NEXT) | instid1(VALU_DEP_2)
	v_fmac_f32_e32 v58, v19, v32
	v_fmac_f32_e32 v48, v128, v33
	s_delay_alu instid0(VALU_DEP_2) | instskip(NEXT) | instid1(VALU_DEP_2)
	;; [unrolled: 3-line block ×6, first 2 shown]
	v_fmac_f32_e32 v58, v24, v29
	v_fmac_f32_e32 v48, v25, v30
	s_delay_alu instid0(VALU_DEP_2)
	v_fmac_f32_e32 v58, v23, v30
	s_wait_alu 0xfffe
	s_and_not1_b32 exec_lo, exec_lo, s6
	s_cbranch_execnz .LBB31_31
; %bb.32:
	s_or_b32 exec_lo, exec_lo, s6
.LBB31_33:
	s_wait_alu 0xfffe
	s_or_b32 exec_lo, exec_lo, s2
.LBB31_34:
	s_wait_alu 0xfffe
	s_or_b32 exec_lo, exec_lo, s3
.LBB31_35:
	v_mbcnt_lo_u32_b32 v0, -1, 0
	s_delay_alu instid0(VALU_DEP_1) | instskip(SKIP_2) | instid1(VALU_DEP_3)
	v_xor_b32_e32 v1, 4, v0
	v_xor_b32_e32 v9, 2, v0
	;; [unrolled: 1-line block ×3, first 2 shown]
	v_cmp_gt_i32_e32 vcc_lo, 32, v1
	s_wait_alu 0xfffd
	v_cndmask_b32_e32 v1, v0, v1, vcc_lo
	v_cmp_gt_i32_e32 vcc_lo, 32, v9
	s_delay_alu instid0(VALU_DEP_2)
	v_lshlrev_b32_e32 v1, 2, v1
	ds_bpermute_b32 v4, v1, v64
	s_wait_dscnt 0x0
	v_add_f32_e32 v4, v64, v4
	ds_bpermute_b32 v2, v1, v63
	ds_bpermute_b32 v6, v1, v62
	;; [unrolled: 1-line block ×7, first 2 shown]
	s_wait_alu 0xfffd
	v_cndmask_b32_e32 v9, v0, v9, vcc_lo
	v_cmp_gt_i32_e32 vcc_lo, 32, v17
	s_wait_dscnt 0x6
	v_add_f32_e32 v2, v63, v2
	s_wait_dscnt 0x5
	v_dual_add_f32 v6, v62, v6 :: v_dual_lshlrev_b32 v9, 2, v9
	s_wait_dscnt 0x1
	v_dual_add_f32 v3, v58, v3 :: v_dual_add_f32 v8, v61, v8
	s_wait_dscnt 0x0
	v_add_f32_e32 v10, v59, v1
	ds_bpermute_b32 v1, v9, v2
	ds_bpermute_b32 v12, v9, v4
	;; [unrolled: 1-line block ×3, first 2 shown]
	v_add_f32_e32 v5, v48, v5
	v_add_f32_e32 v7, v60, v7
	ds_bpermute_b32 v11, v9, v3
	s_wait_alu 0xfffd
	v_cndmask_b32_e32 v0, v0, v17, vcc_lo
	ds_bpermute_b32 v16, v9, v8
	v_cmp_eq_u32_e32 vcc_lo, 7, v57
	s_wait_dscnt 0x4
	v_dual_add_f32 v0, v2, v1 :: v_dual_lshlrev_b32 v17, 2, v0
	ds_bpermute_b32 v15, v9, v7
	s_wait_dscnt 0x4
	v_add_f32_e32 v2, v4, v12
	s_wait_dscnt 0x3
	v_add_f32_e32 v4, v6, v14
	ds_bpermute_b32 v13, v9, v5
	ds_bpermute_b32 v9, v9, v10
	s_wait_dscnt 0x3
	v_dual_add_f32 v1, v3, v11 :: v_dual_add_f32 v6, v8, v16
	ds_bpermute_b32 v8, v17, v0
	ds_bpermute_b32 v12, v17, v4
	;; [unrolled: 1-line block ×3, first 2 shown]
	s_wait_dscnt 0x4
	v_add_f32_e32 v3, v5, v13
	v_add_f32_e32 v5, v7, v15
	s_wait_dscnt 0x3
	v_add_f32_e32 v7, v10, v9
	ds_bpermute_b32 v9, v17, v1
	ds_bpermute_b32 v10, v17, v2
	;; [unrolled: 1-line block ×5, first 2 shown]
	s_and_b32 exec_lo, exec_lo, vcc_lo
	s_cbranch_execz .LBB31_8
; %bb.36:
	s_load_b64 s[2:3], s[0:1], 0x50
	s_wait_dscnt 0x7
	v_add_f32_e32 v8, v0, v8
	s_wait_dscnt 0x2
	v_dual_add_f32 v0, v1, v9 :: v_dual_add_f32 v1, v3, v11
	s_wait_dscnt 0x1
	v_dual_add_f32 v9, v2, v10 :: v_dual_add_f32 v2, v5, v13
	s_wait_dscnt 0x0
	v_dual_add_f32 v3, v7, v15 :: v_dual_add_f32 v10, v4, v12
	v_add_f32_e32 v11, v6, v14
	v_mul_f32_e64 v4, v0, -v39
	v_mul_f32_e32 v5, v38, v0
	v_mul_f32_e64 v6, v1, -v39
	v_mul_f32_e32 v7, v38, v1
	;; [unrolled: 2-line block ×4, first 2 shown]
	v_cmp_eq_f32_e32 vcc_lo, 0, v36
	v_cmp_eq_f32_e64 s0, 0, v37
	v_fmac_f32_e32 v4, v38, v8
	v_dual_fmac_f32 v5, v39, v8 :: v_dual_fmac_f32 v6, v38, v9
	v_dual_fmac_f32 v7, v39, v9 :: v_dual_lshlrev_b32 v8, 2, v40
	v_dual_fmac_f32 v0, v38, v10 :: v_dual_fmac_f32 v3, v39, v11
	v_dual_fmac_f32 v1, v39, v10 :: v_dual_fmac_f32 v2, v38, v11
	s_and_b32 s0, vcc_lo, s0
	s_wait_alu 0xfffe
	s_and_saveexec_b32 s1, s0
	s_wait_alu 0xfffe
	s_xor_b32 s0, exec_lo, s1
	s_cbranch_execz .LBB31_38
; %bb.37:
	v_ashrrev_i32_e32 v9, 31, v8
                                        ; implicit-def: $vgpr36_vgpr37
	s_delay_alu instid0(VALU_DEP_1) | instskip(SKIP_1) | instid1(VALU_DEP_1)
	v_lshlrev_b64_e32 v[8:9], 3, v[8:9]
	s_wait_kmcnt 0x0
	v_add_co_u32 v8, vcc_lo, s2, v8
	s_wait_alu 0xfffd
	s_delay_alu instid0(VALU_DEP_2)
	v_add_co_ci_u32_e64 v9, null, s3, v9, vcc_lo
	s_clause 0x1
	global_store_b128 v[8:9], v[4:7], off
	global_store_b128 v[8:9], v[0:3], off offset:16
                                        ; implicit-def: $vgpr4
                                        ; implicit-def: $vgpr8
                                        ; implicit-def: $vgpr0
.LBB31_38:
	s_wait_alu 0xfffe
	s_and_not1_saveexec_b32 s0, s0
	s_cbranch_execz .LBB31_8
; %bb.39:
	v_ashrrev_i32_e32 v9, 31, v8
	s_delay_alu instid0(VALU_DEP_1) | instskip(SKIP_1) | instid1(VALU_DEP_1)
	v_lshlrev_b64_e32 v[8:9], 3, v[8:9]
	s_wait_kmcnt 0x0
	v_add_co_u32 v16, vcc_lo, s2, v8
	s_wait_alu 0xfffd
	s_delay_alu instid0(VALU_DEP_2)
	v_add_co_ci_u32_e64 v17, null, s3, v9, vcc_lo
	s_clause 0x1
	global_load_b128 v[8:11], v[16:17], off
	global_load_b128 v[12:15], v[16:17], off offset:16
	s_wait_loadcnt 0x1
	v_dual_fmac_f32 v4, v36, v8 :: v_dual_fmac_f32 v7, v37, v10
	v_dual_fmac_f32 v5, v37, v8 :: v_dual_fmac_f32 v6, v36, v10
	s_wait_loadcnt 0x0
	v_dual_fmac_f32 v0, v36, v12 :: v_dual_fmac_f32 v3, v37, v14
	v_dual_fmac_f32 v1, v37, v12 :: v_dual_fmac_f32 v2, v36, v14
	v_fma_f32 v4, -v37, v9, v4
	v_fmac_f32_e32 v5, v36, v9
	v_fma_f32 v6, -v37, v11, v6
	v_fmac_f32_e32 v7, v36, v11
	;; [unrolled: 2-line block ×4, first 2 shown]
	s_clause 0x1
	global_store_b128 v[16:17], v[4:7], off
	global_store_b128 v[16:17], v[0:3], off offset:16
	s_nop 0
	s_sendmsg sendmsg(MSG_DEALLOC_VGPRS)
	s_endpgm
	.section	.rodata,"a",@progbits
	.p2align	6, 0x0
	.amdhsa_kernel _ZN9rocsparseL18bsrxmvn_4x4_kernelILj128ELj8E21rocsparse_complex_numIfEliS2_S2_S2_EEvT3_20rocsparse_direction_NS_24const_host_device_scalarIT1_EES3_PKS3_PKT2_SC_S9_PKT4_PKT5_S7_PT6_21rocsparse_index_base_b
		.amdhsa_group_segment_fixed_size 0
		.amdhsa_private_segment_fixed_size 0
		.amdhsa_kernarg_size 96
		.amdhsa_user_sgpr_count 2
		.amdhsa_user_sgpr_dispatch_ptr 0
		.amdhsa_user_sgpr_queue_ptr 0
		.amdhsa_user_sgpr_kernarg_segment_ptr 1
		.amdhsa_user_sgpr_dispatch_id 0
		.amdhsa_user_sgpr_private_segment_size 0
		.amdhsa_wavefront_size32 1
		.amdhsa_uses_dynamic_stack 0
		.amdhsa_enable_private_segment 0
		.amdhsa_system_sgpr_workgroup_id_x 1
		.amdhsa_system_sgpr_workgroup_id_y 0
		.amdhsa_system_sgpr_workgroup_id_z 0
		.amdhsa_system_sgpr_workgroup_info 0
		.amdhsa_system_vgpr_workitem_id 0
		.amdhsa_next_free_vgpr 175
		.amdhsa_next_free_sgpr 14
		.amdhsa_reserve_vcc 1
		.amdhsa_float_round_mode_32 0
		.amdhsa_float_round_mode_16_64 0
		.amdhsa_float_denorm_mode_32 3
		.amdhsa_float_denorm_mode_16_64 3
		.amdhsa_fp16_overflow 0
		.amdhsa_workgroup_processor_mode 1
		.amdhsa_memory_ordered 1
		.amdhsa_forward_progress 1
		.amdhsa_inst_pref_size 67
		.amdhsa_round_robin_scheduling 0
		.amdhsa_exception_fp_ieee_invalid_op 0
		.amdhsa_exception_fp_denorm_src 0
		.amdhsa_exception_fp_ieee_div_zero 0
		.amdhsa_exception_fp_ieee_overflow 0
		.amdhsa_exception_fp_ieee_underflow 0
		.amdhsa_exception_fp_ieee_inexact 0
		.amdhsa_exception_int_div_zero 0
	.end_amdhsa_kernel
	.section	.text._ZN9rocsparseL18bsrxmvn_4x4_kernelILj128ELj8E21rocsparse_complex_numIfEliS2_S2_S2_EEvT3_20rocsparse_direction_NS_24const_host_device_scalarIT1_EES3_PKS3_PKT2_SC_S9_PKT4_PKT5_S7_PT6_21rocsparse_index_base_b,"axG",@progbits,_ZN9rocsparseL18bsrxmvn_4x4_kernelILj128ELj8E21rocsparse_complex_numIfEliS2_S2_S2_EEvT3_20rocsparse_direction_NS_24const_host_device_scalarIT1_EES3_PKS3_PKT2_SC_S9_PKT4_PKT5_S7_PT6_21rocsparse_index_base_b,comdat
.Lfunc_end31:
	.size	_ZN9rocsparseL18bsrxmvn_4x4_kernelILj128ELj8E21rocsparse_complex_numIfEliS2_S2_S2_EEvT3_20rocsparse_direction_NS_24const_host_device_scalarIT1_EES3_PKS3_PKT2_SC_S9_PKT4_PKT5_S7_PT6_21rocsparse_index_base_b, .Lfunc_end31-_ZN9rocsparseL18bsrxmvn_4x4_kernelILj128ELj8E21rocsparse_complex_numIfEliS2_S2_S2_EEvT3_20rocsparse_direction_NS_24const_host_device_scalarIT1_EES3_PKS3_PKT2_SC_S9_PKT4_PKT5_S7_PT6_21rocsparse_index_base_b
                                        ; -- End function
	.set _ZN9rocsparseL18bsrxmvn_4x4_kernelILj128ELj8E21rocsparse_complex_numIfEliS2_S2_S2_EEvT3_20rocsparse_direction_NS_24const_host_device_scalarIT1_EES3_PKS3_PKT2_SC_S9_PKT4_PKT5_S7_PT6_21rocsparse_index_base_b.num_vgpr, 175
	.set _ZN9rocsparseL18bsrxmvn_4x4_kernelILj128ELj8E21rocsparse_complex_numIfEliS2_S2_S2_EEvT3_20rocsparse_direction_NS_24const_host_device_scalarIT1_EES3_PKS3_PKT2_SC_S9_PKT4_PKT5_S7_PT6_21rocsparse_index_base_b.num_agpr, 0
	.set _ZN9rocsparseL18bsrxmvn_4x4_kernelILj128ELj8E21rocsparse_complex_numIfEliS2_S2_S2_EEvT3_20rocsparse_direction_NS_24const_host_device_scalarIT1_EES3_PKS3_PKT2_SC_S9_PKT4_PKT5_S7_PT6_21rocsparse_index_base_b.numbered_sgpr, 14
	.set _ZN9rocsparseL18bsrxmvn_4x4_kernelILj128ELj8E21rocsparse_complex_numIfEliS2_S2_S2_EEvT3_20rocsparse_direction_NS_24const_host_device_scalarIT1_EES3_PKS3_PKT2_SC_S9_PKT4_PKT5_S7_PT6_21rocsparse_index_base_b.num_named_barrier, 0
	.set _ZN9rocsparseL18bsrxmvn_4x4_kernelILj128ELj8E21rocsparse_complex_numIfEliS2_S2_S2_EEvT3_20rocsparse_direction_NS_24const_host_device_scalarIT1_EES3_PKS3_PKT2_SC_S9_PKT4_PKT5_S7_PT6_21rocsparse_index_base_b.private_seg_size, 0
	.set _ZN9rocsparseL18bsrxmvn_4x4_kernelILj128ELj8E21rocsparse_complex_numIfEliS2_S2_S2_EEvT3_20rocsparse_direction_NS_24const_host_device_scalarIT1_EES3_PKS3_PKT2_SC_S9_PKT4_PKT5_S7_PT6_21rocsparse_index_base_b.uses_vcc, 1
	.set _ZN9rocsparseL18bsrxmvn_4x4_kernelILj128ELj8E21rocsparse_complex_numIfEliS2_S2_S2_EEvT3_20rocsparse_direction_NS_24const_host_device_scalarIT1_EES3_PKS3_PKT2_SC_S9_PKT4_PKT5_S7_PT6_21rocsparse_index_base_b.uses_flat_scratch, 0
	.set _ZN9rocsparseL18bsrxmvn_4x4_kernelILj128ELj8E21rocsparse_complex_numIfEliS2_S2_S2_EEvT3_20rocsparse_direction_NS_24const_host_device_scalarIT1_EES3_PKS3_PKT2_SC_S9_PKT4_PKT5_S7_PT6_21rocsparse_index_base_b.has_dyn_sized_stack, 0
	.set _ZN9rocsparseL18bsrxmvn_4x4_kernelILj128ELj8E21rocsparse_complex_numIfEliS2_S2_S2_EEvT3_20rocsparse_direction_NS_24const_host_device_scalarIT1_EES3_PKS3_PKT2_SC_S9_PKT4_PKT5_S7_PT6_21rocsparse_index_base_b.has_recursion, 0
	.set _ZN9rocsparseL18bsrxmvn_4x4_kernelILj128ELj8E21rocsparse_complex_numIfEliS2_S2_S2_EEvT3_20rocsparse_direction_NS_24const_host_device_scalarIT1_EES3_PKS3_PKT2_SC_S9_PKT4_PKT5_S7_PT6_21rocsparse_index_base_b.has_indirect_call, 0
	.section	.AMDGPU.csdata,"",@progbits
; Kernel info:
; codeLenInByte = 8480
; TotalNumSgprs: 16
; NumVgprs: 175
; ScratchSize: 0
; MemoryBound: 0
; FloatMode: 240
; IeeeMode: 1
; LDSByteSize: 0 bytes/workgroup (compile time only)
; SGPRBlocks: 0
; VGPRBlocks: 21
; NumSGPRsForWavesPerEU: 16
; NumVGPRsForWavesPerEU: 175
; Occupancy: 8
; WaveLimiterHint : 1
; COMPUTE_PGM_RSRC2:SCRATCH_EN: 0
; COMPUTE_PGM_RSRC2:USER_SGPR: 2
; COMPUTE_PGM_RSRC2:TRAP_HANDLER: 0
; COMPUTE_PGM_RSRC2:TGID_X_EN: 1
; COMPUTE_PGM_RSRC2:TGID_Y_EN: 0
; COMPUTE_PGM_RSRC2:TGID_Z_EN: 0
; COMPUTE_PGM_RSRC2:TIDIG_COMP_CNT: 0
	.section	.text._ZN9rocsparseL18bsrxmvn_4x4_kernelILj128ELj16E21rocsparse_complex_numIfEliS2_S2_S2_EEvT3_20rocsparse_direction_NS_24const_host_device_scalarIT1_EES3_PKS3_PKT2_SC_S9_PKT4_PKT5_S7_PT6_21rocsparse_index_base_b,"axG",@progbits,_ZN9rocsparseL18bsrxmvn_4x4_kernelILj128ELj16E21rocsparse_complex_numIfEliS2_S2_S2_EEvT3_20rocsparse_direction_NS_24const_host_device_scalarIT1_EES3_PKS3_PKT2_SC_S9_PKT4_PKT5_S7_PT6_21rocsparse_index_base_b,comdat
	.globl	_ZN9rocsparseL18bsrxmvn_4x4_kernelILj128ELj16E21rocsparse_complex_numIfEliS2_S2_S2_EEvT3_20rocsparse_direction_NS_24const_host_device_scalarIT1_EES3_PKS3_PKT2_SC_S9_PKT4_PKT5_S7_PT6_21rocsparse_index_base_b ; -- Begin function _ZN9rocsparseL18bsrxmvn_4x4_kernelILj128ELj16E21rocsparse_complex_numIfEliS2_S2_S2_EEvT3_20rocsparse_direction_NS_24const_host_device_scalarIT1_EES3_PKS3_PKT2_SC_S9_PKT4_PKT5_S7_PT6_21rocsparse_index_base_b
	.p2align	8
	.type	_ZN9rocsparseL18bsrxmvn_4x4_kernelILj128ELj16E21rocsparse_complex_numIfEliS2_S2_S2_EEvT3_20rocsparse_direction_NS_24const_host_device_scalarIT1_EES3_PKS3_PKT2_SC_S9_PKT4_PKT5_S7_PT6_21rocsparse_index_base_b,@function
_ZN9rocsparseL18bsrxmvn_4x4_kernelILj128ELj16E21rocsparse_complex_numIfEliS2_S2_S2_EEvT3_20rocsparse_direction_NS_24const_host_device_scalarIT1_EES3_PKS3_PKT2_SC_S9_PKT4_PKT5_S7_PT6_21rocsparse_index_base_b: ; @_ZN9rocsparseL18bsrxmvn_4x4_kernelILj128ELj16E21rocsparse_complex_numIfEliS2_S2_S2_EEvT3_20rocsparse_direction_NS_24const_host_device_scalarIT1_EES3_PKS3_PKT2_SC_S9_PKT4_PKT5_S7_PT6_21rocsparse_index_base_b
; %bb.0:
	s_clause 0x2
	s_load_b64 s[12:13], s[0:1], 0x58
	s_load_b64 s[2:3], s[0:1], 0x8
	;; [unrolled: 1-line block ×3, first 2 shown]
	s_add_nc_u64 s[6:7], s[0:1], 8
	s_wait_kmcnt 0x0
	s_bitcmp1_b32 s13, 0
	s_cselect_b32 s2, s6, s2
	s_cselect_b32 s3, s7, s3
	s_delay_alu instid0(SALU_CYCLE_1)
	v_dual_mov_b32 v1, s2 :: v_dual_mov_b32 v2, s3
	s_add_nc_u64 s[2:3], s[0:1], 0x48
	s_wait_alu 0xfffe
	s_cselect_b32 s2, s2, s4
	s_cselect_b32 s3, s3, s5
	flat_load_b64 v[38:39], v[1:2]
	s_wait_alu 0xfffe
	v_dual_mov_b32 v1, s2 :: v_dual_mov_b32 v2, s3
	flat_load_b64 v[36:37], v[1:2]
	s_wait_loadcnt_dscnt 0x101
	v_cmp_eq_f32_e32 vcc_lo, 0, v38
	v_cmp_eq_f32_e64 s2, 0, v39
	s_and_b32 s4, vcc_lo, s2
	s_mov_b32 s2, -1
	s_and_saveexec_b32 s3, s4
	s_cbranch_execz .LBB32_2
; %bb.1:
	s_wait_loadcnt_dscnt 0x0
	v_cmp_neq_f32_e32 vcc_lo, 1.0, v36
	v_cmp_neq_f32_e64 s2, 0, v37
	s_wait_alu 0xfffe
	s_or_b32 s2, vcc_lo, s2
	s_wait_alu 0xfffe
	s_or_not1_b32 s2, s2, exec_lo
.LBB32_2:
	s_wait_alu 0xfffe
	s_or_b32 exec_lo, exec_lo, s3
	s_and_saveexec_b32 s3, s2
	s_cbranch_execz .LBB32_8
; %bb.3:
	s_clause 0x1
	s_load_b64 s[4:5], s[0:1], 0x18
	s_load_b64 s[2:3], s[0:1], 0x0
	v_lshrrev_b32_e32 v1, 4, v0
	s_delay_alu instid0(VALU_DEP_1)
	v_lshl_or_b32 v40, ttmp9, 3, v1
	s_wait_kmcnt 0x0
	s_cmp_lg_u64 s[4:5], 0
	s_cbranch_scc0 .LBB32_9
; %bb.4:
	s_load_b32 s6, s[0:1], 0x10
	s_mov_b32 s7, 0
                                        ; implicit-def: $vgpr1
	s_wait_kmcnt 0x0
	v_cmp_gt_i32_e32 vcc_lo, s6, v40
	s_mov_b32 s6, 0
	s_and_saveexec_b32 s8, vcc_lo
	s_delay_alu instid0(SALU_CYCLE_1)
	s_xor_b32 s8, exec_lo, s8
	s_cbranch_execz .LBB32_6
; %bb.5:
	v_ashrrev_i32_e32 v41, 31, v40
	s_mov_b32 s6, exec_lo
	s_delay_alu instid0(VALU_DEP_1) | instskip(NEXT) | instid1(VALU_DEP_1)
	v_lshlrev_b64_e32 v[1:2], 2, v[40:41]
	v_add_co_u32 v1, vcc_lo, s4, v1
	s_delay_alu instid0(VALU_DEP_1)
	v_add_co_ci_u32_e64 v2, null, s5, v2, vcc_lo
	global_load_b32 v1, v[1:2], off
	s_wait_loadcnt 0x0
	v_subrev_nc_u32_e32 v1, s12, v1
.LBB32_6:
	s_or_b32 exec_lo, exec_lo, s8
	s_delay_alu instid0(SALU_CYCLE_1)
	s_and_b32 vcc_lo, exec_lo, s7
	s_wait_alu 0xfffe
	s_cbranch_vccz .LBB32_10
.LBB32_7:
	v_cmp_gt_i32_e32 vcc_lo, s2, v40
	s_and_not1_b32 s2, s6, exec_lo
	s_and_b32 s4, vcc_lo, exec_lo
	s_wait_alu 0xfffe
	s_or_b32 s6, s2, s4
	s_wait_alu 0xfffe
	s_and_b32 exec_lo, exec_lo, s6
	s_cbranch_execnz .LBB32_11
.LBB32_8:
	s_nop 0
	s_sendmsg sendmsg(MSG_DEALLOC_VGPRS)
	s_endpgm
.LBB32_9:
	s_mov_b32 s6, 0
                                        ; implicit-def: $vgpr1
	s_cbranch_execnz .LBB32_7
.LBB32_10:
	v_mov_b32_e32 v40, v1
	s_and_b32 exec_lo, exec_lo, s6
	s_cbranch_execz .LBB32_8
.LBB32_11:
	s_load_b256 s[4:11], s[0:1], 0x20
	s_delay_alu instid0(VALU_DEP_1) | instskip(SKIP_1) | instid1(VALU_DEP_2)
	v_ashrrev_i32_e32 v41, 31, v40
	v_dual_mov_b32 v58, 0 :: v_dual_and_b32 v57, 15, v0
	v_lshlrev_b64_e32 v[1:2], 3, v[40:41]
	s_wait_kmcnt 0x0
	s_delay_alu instid0(VALU_DEP_1) | instskip(SKIP_1) | instid1(VALU_DEP_2)
	v_add_co_u32 v3, vcc_lo, s4, v1
	s_wait_alu 0xfffd
	v_add_co_ci_u32_e64 v4, null, s5, v2, vcc_lo
	v_add_co_u32 v1, vcc_lo, s6, v1
	s_wait_alu 0xfffd
	v_add_co_ci_u32_e64 v2, null, s7, v2, vcc_lo
	v_add_co_u32 v5, vcc_lo, v3, 8
	global_load_b64 v[49:50], v[3:4], off
	s_wait_alu 0xfffd
	v_add_co_ci_u32_e64 v6, null, 0, v4, vcc_lo
	s_cmp_eq_u64 s[6:7], 0
	s_load_b64 s[4:5], s[0:1], 0x40
	s_cselect_b32 vcc_lo, -1, 0
	s_cmp_eq_u32 s3, 1
	s_wait_alu 0xfffe
	v_dual_cndmask_b32 v2, v2, v6 :: v_dual_cndmask_b32 v1, v1, v5
	global_load_b64 v[1:2], v[1:2], off
	s_wait_loadcnt 0x1
	v_sub_co_u32 v0, vcc_lo, v49, s12
	s_wait_alu 0xfffd
	v_subrev_co_ci_u32_e64 v3, null, 0, v50, vcc_lo
	s_delay_alu instid0(VALU_DEP_2) | instskip(SKIP_1) | instid1(VALU_DEP_2)
	v_add_co_u32 v41, vcc_lo, v0, v57
	s_wait_alu 0xfffd
	v_add_co_ci_u32_e64 v42, null, 0, v3, vcc_lo
	s_wait_loadcnt 0x0
	v_sub_co_u32 v43, vcc_lo, v1, s12
	s_delay_alu instid0(VALU_DEP_2) | instskip(SKIP_2) | instid1(VALU_DEP_2)
	v_lshlrev_b64_e32 v[0:1], 7, v[41:42]
	s_wait_alu 0xfffd
	v_subrev_co_ci_u32_e64 v44, null, 0, v2, vcc_lo
	v_add_co_u32 v45, vcc_lo, s10, v0
	s_delay_alu instid0(VALU_DEP_2)
	v_cmp_lt_i64_e64 s2, v[41:42], v[43:44]
	s_wait_alu 0xfffd
	v_add_co_ci_u32_e64 v46, null, s11, v1, vcc_lo
	s_cbranch_scc1 .LBB32_23
; %bb.12:
	v_dual_mov_b32 v63, 0 :: v_dual_mov_b32 v62, 0
	v_dual_mov_b32 v61, 0 :: v_dual_mov_b32 v60, 0
	;; [unrolled: 1-line block ×3, first 2 shown]
	v_mov_b32_e32 v48, 0
	s_and_saveexec_b32 s3, s2
	s_cbranch_execz .LBB32_22
; %bb.13:
	v_or_b32_e32 v0, 16, v57
	v_not_b32_e32 v3, v49
	v_not_b32_e32 v2, v50
	v_mov_b32_e32 v52, v46
	v_mov_b32_e32 v54, v42
	v_sub_co_u32 v0, s6, v0, s12
	s_wait_alu 0xf1ff
	v_sub_co_ci_u32_e64 v1, null, 0, 0, s6
	v_sub_co_u32 v4, s6, s12, v57
	s_delay_alu instid0(VALU_DEP_3) | instskip(SKIP_1) | instid1(VALU_DEP_3)
	v_add_co_u32 v0, vcc_lo, v0, v49
	s_wait_alu 0xfffd
	v_add_co_ci_u32_e64 v1, null, v1, v50, vcc_lo
	s_wait_alu 0xf1ff
	v_sub_co_ci_u32_e64 v5, null, 0, 0, s6
	v_mov_b32_e32 v53, v41
	s_delay_alu instid0(VALU_DEP_3)
	v_cmp_gt_i64_e32 vcc_lo, v[0:1], v[43:44]
	v_mov_b32_e32 v48, 0
	s_mov_b32 s6, exec_lo
	v_mov_b32_e32 v51, v45
	s_wait_alu 0xfffd
	v_dual_cndmask_b32 v1, v44, v1 :: v_dual_cndmask_b32 v0, v43, v0
	v_mov_b32_e32 v59, v48
	v_add_co_u32 v3, vcc_lo, v4, v3
	s_wait_alu 0xfffd
	v_add_co_ci_u32_e64 v2, null, v5, v2, vcc_lo
	v_dual_mov_b32 v60, v48 :: v_dual_mov_b32 v61, v48
	s_delay_alu instid0(VALU_DEP_3)
	v_add_co_u32 v0, vcc_lo, v3, v0
	v_mov_b32_e32 v64, v48
	v_dual_mov_b32 v62, v48 :: v_dual_mov_b32 v63, v48
	s_wait_alu 0xfffd
	v_add_co_ci_u32_e64 v1, null, v2, v1, vcc_lo
	v_dual_mov_b32 v58, v48 :: v_dual_and_b32 v47, 48, v0
	s_delay_alu instid0(VALU_DEP_1)
	v_cmpx_ne_u64_e32 48, v[47:48]
	s_cbranch_execz .LBB32_17
; %bb.14:
	v_lshrrev_b32_e32 v2, 4, v0
	v_dual_mov_b32 v52, v46 :: v_dual_mov_b32 v61, 0
	v_dual_mov_b32 v54, v42 :: v_dual_mov_b32 v63, 0
	s_delay_alu instid0(VALU_DEP_3) | instskip(SKIP_2) | instid1(VALU_DEP_3)
	v_dual_mov_b32 v51, v45 :: v_dual_add_nc_u32 v4, 1, v2
	v_lshlrev_b64_e32 v[2:3], 2, v[41:42]
	v_dual_mov_b32 v58, 0 :: v_dual_mov_b32 v53, v41
	v_dual_mov_b32 v59, 0 :: v_dual_and_b32 v4, 3, v4
	v_mov_b32_e32 v62, 0
	s_delay_alu instid0(VALU_DEP_4) | instskip(NEXT) | instid1(VALU_DEP_3)
	v_add_co_u32 v2, vcc_lo, s8, v2
	v_sub_co_u32 v4, s7, 0, v4
	s_wait_alu 0xfffd
	v_add_co_ci_u32_e64 v3, null, s9, v3, vcc_lo
	s_wait_alu 0xf1ff
	v_sub_co_ci_u32_e64 v5, null, 0, 0, s7
	v_mov_b32_e32 v60, 0
	v_mov_b32_e32 v64, 0
	;; [unrolled: 1-line block ×3, first 2 shown]
	s_mov_b32 s7, 0
.LBB32_15:                              ; =>This Inner Loop Header: Depth=1
	global_load_b32 v34, v[2:3], off
	s_clause 0x7
	global_load_b128 v[6:9], v[51:52], off offset:48
	global_load_b128 v[10:13], v[51:52], off offset:32
	;; [unrolled: 1-line block ×3, first 2 shown]
	global_load_b128 v[18:21], v[51:52], off
	global_load_b128 v[22:25], v[51:52], off offset:112
	global_load_b128 v[26:29], v[51:52], off offset:96
	;; [unrolled: 1-line block ×4, first 2 shown]
	s_wait_loadcnt 0x8
	v_subrev_nc_u32_e32 v34, s12, v34
	s_delay_alu instid0(VALU_DEP_1) | instskip(NEXT) | instid1(VALU_DEP_1)
	v_lshlrev_b32_e32 v34, 2, v34
	v_ashrrev_i32_e32 v35, 31, v34
	s_delay_alu instid0(VALU_DEP_1) | instskip(SKIP_1) | instid1(VALU_DEP_1)
	v_lshlrev_b64_e32 v[34:35], 3, v[34:35]
	s_wait_kmcnt 0x0
	v_add_co_u32 v34, vcc_lo, s4, v34
	s_wait_alu 0xfffd
	s_delay_alu instid0(VALU_DEP_2)
	v_add_co_ci_u32_e64 v35, null, s5, v35, vcc_lo
	v_add_co_u32 v51, vcc_lo, 0x800, v51
	s_wait_alu 0xfffd
	v_add_co_ci_u32_e64 v52, null, 0, v52, vcc_lo
	s_clause 0x1
	global_load_b128 v[69:72], v[34:35], off
	global_load_b128 v[73:76], v[34:35], off offset:16
	v_add_co_u32 v53, vcc_lo, v53, 16
	s_wait_alu 0xfffd
	v_add_co_ci_u32_e64 v54, null, 0, v54, vcc_lo
	v_add_co_u32 v4, vcc_lo, v4, 1
	s_wait_alu 0xfffd
	v_add_co_ci_u32_e64 v5, null, 0, v5, vcc_lo
	;; [unrolled: 3-line block ×3, first 2 shown]
	s_delay_alu instid0(VALU_DEP_3)
	v_cmp_eq_u64_e32 vcc_lo, 0, v[4:5]
	s_wait_alu 0xfffe
	s_or_b32 s7, vcc_lo, s7
	s_wait_loadcnt 0x1
	v_fmac_f32_e32 v63, v18, v69
	v_fmac_f32_e32 v59, v27, v69
	;; [unrolled: 1-line block ×4, first 2 shown]
	s_delay_alu instid0(VALU_DEP_4) | instskip(SKIP_3) | instid1(VALU_DEP_4)
	v_fma_f32 v19, -v19, v70, v63
	v_fmac_f32_e32 v64, v10, v69
	v_fmac_f32_e32 v59, v26, v70
	;; [unrolled: 1-line block ×3, first 2 shown]
	v_dual_fmac_f32 v58, v18, v70 :: v_dual_fmac_f32 v19, v20, v71
	s_delay_alu instid0(VALU_DEP_4) | instskip(NEXT) | instid1(VALU_DEP_4)
	v_fma_f32 v11, -v11, v70, v64
	v_fmac_f32_e32 v59, v29, v71
	v_fmac_f32_e32 v62, v65, v69
	v_dual_fmac_f32 v61, v26, v69 :: v_dual_fmac_f32 v60, v65, v70
	s_delay_alu instid0(VALU_DEP_4)
	v_fmac_f32_e32 v11, v12, v71
	v_fma_f32 v19, -v21, v72, v19
	v_dual_fmac_f32 v59, v28, v72 :: v_dual_fmac_f32 v48, v10, v70
	v_fma_f32 v10, -v66, v70, v62
	v_fma_f32 v18, -v27, v70, v61
	s_wait_loadcnt 0x0
	v_dual_fmac_f32 v58, v21, v71 :: v_dual_fmac_f32 v19, v14, v73
	v_fmac_f32_e32 v60, v68, v71
	v_fma_f32 v11, -v13, v72, v11
	v_dual_fmac_f32 v18, v28, v71 :: v_dual_fmac_f32 v59, v23, v73
	v_fmac_f32_e32 v48, v13, v71
	s_delay_alu instid0(VALU_DEP_3) | instskip(SKIP_2) | instid1(VALU_DEP_4)
	v_dual_fmac_f32 v10, v67, v71 :: v_dual_fmac_f32 v11, v6, v73
	v_fma_f32 v13, -v15, v74, v19
	v_fmac_f32_e32 v60, v67, v72
	v_fmac_f32_e32 v48, v12, v72
	v_fma_f32 v12, -v29, v72, v18
	v_dual_fmac_f32 v59, v22, v74 :: v_dual_fmac_f32 v58, v20, v72
	v_fma_f32 v10, -v68, v72, v10
	v_dual_fmac_f32 v13, v16, v75 :: v_dual_fmac_f32 v60, v31, v73
	s_delay_alu instid0(VALU_DEP_3) | instskip(SKIP_1) | instid1(VALU_DEP_4)
	v_dual_fmac_f32 v12, v22, v73 :: v_dual_fmac_f32 v59, v25, v75
	v_fmac_f32_e32 v48, v7, v73
	v_fmac_f32_e32 v10, v30, v73
	v_fma_f32 v7, -v7, v74, v11
	v_fmac_f32_e32 v58, v15, v73
	v_dual_fmac_f32 v60, v30, v74 :: v_dual_fmac_f32 v59, v24, v76
	v_fmac_f32_e32 v48, v6, v74
	v_fma_f32 v6, -v31, v74, v10
	v_fma_f32 v10, -v23, v74, v12
	v_dual_fmac_f32 v7, v8, v75 :: v_dual_fmac_f32 v58, v14, v74
	s_delay_alu instid0(VALU_DEP_4) | instskip(NEXT) | instid1(VALU_DEP_4)
	v_fmac_f32_e32 v48, v9, v75
	v_fmac_f32_e32 v6, v32, v75
	v_fmac_f32_e32 v60, v33, v75
	v_fmac_f32_e32 v10, v24, v75
	v_fmac_f32_e32 v58, v17, v75
	v_fma_f32 v63, -v17, v76, v13
	v_fma_f32 v64, -v9, v76, v7
	v_fmac_f32_e32 v48, v8, v76
	v_fma_f32 v62, -v33, v76, v6
	v_fmac_f32_e32 v58, v16, v76
	v_fmac_f32_e32 v60, v32, v76
	v_fma_f32 v61, -v25, v76, v10
	s_wait_alu 0xfffe
	s_and_not1_b32 exec_lo, exec_lo, s7
	s_cbranch_execnz .LBB32_15
; %bb.16:
	s_or_b32 exec_lo, exec_lo, s7
.LBB32_17:
	s_wait_alu 0xfffe
	s_or_b32 exec_lo, exec_lo, s6
	s_delay_alu instid0(SALU_CYCLE_1)
	s_mov_b32 s6, exec_lo
	v_cmpx_lt_u64_e32 47, v[0:1]
	s_cbranch_execz .LBB32_21
; %bb.18:
	v_lshlrev_b64_e32 v[0:1], 2, v[53:54]
	s_mov_b32 s7, 0
	s_delay_alu instid0(VALU_DEP_1) | instskip(SKIP_1) | instid1(VALU_DEP_2)
	v_add_co_u32 v0, vcc_lo, s8, v0
	s_wait_alu 0xfffd
	v_add_co_ci_u32_e64 v1, null, s9, v1, vcc_lo
	s_delay_alu instid0(VALU_DEP_2) | instskip(SKIP_1) | instid1(VALU_DEP_2)
	v_add_co_u32 v55, vcc_lo, 0x80, v0
	s_wait_alu 0xfffd
	v_add_co_ci_u32_e64 v56, null, 0, v1, vcc_lo
.LBB32_19:                              ; =>This Inner Loop Header: Depth=1
	s_clause 0x3
	global_load_b32 v47, v[55:56], off offset:-128
	global_load_b32 v157, v[55:56], off offset:-64
	global_load_b32 v158, v[55:56], off
	global_load_b32 v159, v[55:56], off offset:64
	s_clause 0x1f
	global_load_b128 v[65:68], v[51:52], off offset:48
	global_load_b128 v[69:72], v[51:52], off offset:32
	;; [unrolled: 1-line block ×3, first 2 shown]
	global_load_b128 v[77:80], v[51:52], off
	global_load_b128 v[81:84], v[51:52], off offset:112
	global_load_b128 v[85:88], v[51:52], off offset:96
	;; [unrolled: 1-line block ×28, first 2 shown]
	s_wait_loadcnt 0x23
	v_subrev_nc_u32_e32 v47, s12, v47
	s_wait_loadcnt 0x22
	v_subrev_nc_u32_e32 v160, s12, v157
	;; [unrolled: 2-line block ×4, first 2 shown]
	v_lshlrev_b32_e32 v157, 2, v47
	v_lshlrev_b32_e32 v159, 2, v160
	;; [unrolled: 1-line block ×3, first 2 shown]
	s_delay_alu instid0(VALU_DEP_4) | instskip(NEXT) | instid1(VALU_DEP_4)
	v_lshlrev_b32_e32 v163, 2, v162
	v_ashrrev_i32_e32 v158, 31, v157
	s_delay_alu instid0(VALU_DEP_4) | instskip(NEXT) | instid1(VALU_DEP_4)
	v_ashrrev_i32_e32 v160, 31, v159
	v_ashrrev_i32_e32 v162, 31, v161
	s_delay_alu instid0(VALU_DEP_4) | instskip(NEXT) | instid1(VALU_DEP_4)
	v_ashrrev_i32_e32 v164, 31, v163
	v_lshlrev_b64_e32 v[157:158], 3, v[157:158]
	s_delay_alu instid0(VALU_DEP_4) | instskip(NEXT) | instid1(VALU_DEP_4)
	v_lshlrev_b64_e32 v[159:160], 3, v[159:160]
	v_lshlrev_b64_e32 v[161:162], 3, v[161:162]
	s_delay_alu instid0(VALU_DEP_4) | instskip(SKIP_1) | instid1(VALU_DEP_4)
	v_lshlrev_b64_e32 v[163:164], 3, v[163:164]
	s_wait_kmcnt 0x0
	v_add_co_u32 v165, vcc_lo, s4, v157
	s_wait_alu 0xfffd
	v_add_co_ci_u32_e64 v166, null, s5, v158, vcc_lo
	v_add_co_u32 v169, vcc_lo, s4, v159
	s_wait_alu 0xfffd
	v_add_co_ci_u32_e64 v170, null, s5, v160, vcc_lo
	;; [unrolled: 3-line block ×4, first 2 shown]
	s_clause 0x2
	global_load_b128 v[157:160], v[165:166], off
	global_load_b128 v[161:164], v[165:166], off offset:16
	global_load_b128 v[165:168], v[169:170], off
	v_add_co_u32 v53, vcc_lo, v53, 64
	s_wait_alu 0xfffd
	v_add_co_ci_u32_e64 v54, null, 0, v54, vcc_lo
	v_add_co_u32 v51, vcc_lo, 0x2000, v51
	s_wait_alu 0xfffd
	v_add_co_ci_u32_e64 v52, null, 0, v52, vcc_lo
	;; [unrolled: 3-line block ×3, first 2 shown]
	v_cmp_ge_i64_e32 vcc_lo, v[53:54], v[43:44]
	s_wait_alu 0xfffe
	s_or_b32 s7, vcc_lo, s7
	s_wait_loadcnt 0x2
	v_fmac_f32_e32 v48, v70, v157
	v_fmac_f32_e32 v58, v78, v157
	;; [unrolled: 1-line block ×9, first 2 shown]
	s_delay_alu instid0(VALU_DEP_4) | instskip(NEXT) | instid1(VALU_DEP_4)
	v_dual_fmac_f32 v59, v85, v158 :: v_dual_fmac_f32 v48, v72, v159
	v_fma_f32 v47, -v78, v158, v63
	s_delay_alu instid0(VALU_DEP_4)
	v_fmac_f32_e32 v58, v80, v159
	v_fma_f32 v63, -v70, v158, v64
	v_fma_f32 v61, -v86, v158, v61
	v_fmac_f32_e32 v48, v71, v160
	v_fmac_f32_e32 v47, v79, v159
	;; [unrolled: 1-line block ×3, first 2 shown]
	v_dual_fmac_f32 v63, v71, v159 :: v_dual_fmac_f32 v62, v93, v157
	v_fmac_f32_e32 v61, v87, v159
	s_delay_alu instid0(VALU_DEP_4)
	v_fma_f32 v47, -v80, v160, v47
	global_load_b128 v[77:80], v[169:170], off offset:16
	v_fma_f32 v63, -v72, v160, v63
	s_clause 0x1
	global_load_b128 v[69:72], v[171:172], off
	global_load_b128 v[169:172], v[171:172], off offset:16
	v_fma_f32 v62, -v94, v158, v62
	v_dual_fmac_f32 v60, v93, v158 :: v_dual_fmac_f32 v59, v88, v159
	s_wait_loadcnt 0x4
	v_fmac_f32_e32 v47, v73, v161
	v_fma_f32 v61, -v88, v160, v61
	v_fmac_f32_e32 v62, v95, v159
	v_dual_fmac_f32 v60, v96, v159 :: v_dual_fmac_f32 v59, v87, v160
	global_load_b128 v[85:88], v[173:174], off offset:16
	v_fma_f32 v47, -v74, v162, v47
	v_fma_f32 v62, -v96, v160, v62
	v_dual_fmac_f32 v60, v95, v160 :: v_dual_fmac_f32 v63, v65, v161
	global_load_b128 v[93:96], v[173:174], off
	v_fmac_f32_e32 v59, v82, v161
	v_fmac_f32_e32 v58, v74, v161
	v_dual_fmac_f32 v48, v66, v161 :: v_dual_fmac_f32 v47, v75, v163
	v_fma_f32 v63, -v66, v162, v63
	s_delay_alu instid0(VALU_DEP_4) | instskip(NEXT) | instid1(VALU_DEP_4)
	v_fmac_f32_e32 v59, v81, v162
	v_fmac_f32_e32 v58, v73, v162
	;; [unrolled: 1-line block ×4, first 2 shown]
	v_fma_f32 v47, -v76, v164, v47
	v_fmac_f32_e32 v59, v84, v163
	v_fmac_f32_e32 v58, v76, v163
	v_fma_f32 v61, -v82, v162, v61
	v_fmac_f32_e32 v60, v90, v161
	v_dual_fmac_f32 v62, v89, v161 :: v_dual_fmac_f32 v63, v67, v163
	v_fmac_f32_e32 v59, v83, v164
	s_delay_alu instid0(VALU_DEP_3) | instskip(SKIP_2) | instid1(VALU_DEP_3)
	v_dual_fmac_f32 v61, v83, v163 :: v_dual_fmac_f32 v60, v89, v162
	s_wait_loadcnt 0x5
	v_dual_fmac_f32 v48, v68, v163 :: v_dual_fmac_f32 v47, v109, v165
	v_dual_fmac_f32 v58, v75, v164 :: v_dual_fmac_f32 v59, v118, v165
	v_fma_f32 v62, -v90, v162, v62
	v_fma_f32 v63, -v68, v164, v63
	s_delay_alu instid0(VALU_DEP_4)
	v_fmac_f32_e32 v48, v67, v164
	v_fma_f32 v61, -v84, v164, v61
	v_fmac_f32_e32 v60, v92, v163
	v_fma_f32 v47, -v110, v166, v47
	v_dual_fmac_f32 v59, v117, v166 :: v_dual_fmac_f32 v62, v91, v163
	v_fmac_f32_e32 v63, v101, v165
	s_delay_alu instid0(VALU_DEP_3) | instskip(SKIP_1) | instid1(VALU_DEP_4)
	v_dual_fmac_f32 v58, v110, v165 :: v_dual_fmac_f32 v47, v111, v167
	v_dual_fmac_f32 v61, v117, v165 :: v_dual_fmac_f32 v60, v91, v164
	v_fmac_f32_e32 v59, v120, v167
	s_delay_alu instid0(VALU_DEP_4) | instskip(NEXT) | instid1(VALU_DEP_4)
	v_fma_f32 v63, -v102, v166, v63
	v_fma_f32 v47, -v112, v168, v47
	;; [unrolled: 1-line block ×3, first 2 shown]
	s_delay_alu instid0(VALU_DEP_4) | instskip(SKIP_4) | instid1(VALU_DEP_3)
	v_dual_fmac_f32 v60, v126, v165 :: v_dual_fmac_f32 v59, v119, v168
	v_fmac_f32_e32 v58, v109, v166
	v_dual_fmac_f32 v48, v102, v165 :: v_dual_fmac_f32 v63, v103, v167
	v_fma_f32 v61, -v118, v166, v61
	v_fmac_f32_e32 v62, v125, v165
	v_fma_f32 v63, -v104, v168, v63
	s_delay_alu instid0(VALU_DEP_3) | instskip(NEXT) | instid1(VALU_DEP_3)
	v_fmac_f32_e32 v61, v119, v167
	v_fma_f32 v62, -v126, v166, v62
	s_delay_alu instid0(VALU_DEP_2) | instskip(SKIP_1) | instid1(VALU_DEP_1)
	v_fma_f32 v61, -v120, v168, v61
	s_wait_loadcnt 0x4
	v_dual_fmac_f32 v62, v127, v167 :: v_dual_fmac_f32 v61, v113, v77
	v_fmac_f32_e32 v47, v105, v77
	v_dual_fmac_f32 v59, v114, v77 :: v_dual_fmac_f32 v58, v112, v167
	v_fmac_f32_e32 v63, v97, v77
	s_delay_alu instid0(VALU_DEP_4) | instskip(NEXT) | instid1(VALU_DEP_4)
	v_fma_f32 v61, -v114, v78, v61
	v_fma_f32 v47, -v106, v78, v47
	v_fmac_f32_e32 v48, v101, v166
	v_fma_f32 v62, -v128, v168, v62
	v_fma_f32 v63, -v98, v78, v63
	s_delay_alu instid0(VALU_DEP_4) | instskip(NEXT) | instid1(VALU_DEP_4)
	v_dual_fmac_f32 v60, v125, v166 :: v_dual_fmac_f32 v47, v107, v79
	v_dual_fmac_f32 v48, v104, v167 :: v_dual_fmac_f32 v59, v113, v78
	v_fmac_f32_e32 v58, v111, v168
	s_delay_alu instid0(VALU_DEP_4) | instskip(NEXT) | instid1(VALU_DEP_4)
	v_fmac_f32_e32 v63, v99, v79
	v_fmac_f32_e32 v60, v128, v167
	;; [unrolled: 1-line block ×3, first 2 shown]
	s_delay_alu instid0(VALU_DEP_4) | instskip(SKIP_2) | instid1(VALU_DEP_4)
	v_dual_fmac_f32 v59, v116, v79 :: v_dual_fmac_f32 v58, v106, v77
	v_fma_f32 v47, -v108, v80, v47
	v_fmac_f32_e32 v48, v103, v168
	v_fma_f32 v61, -v116, v80, v61
	s_delay_alu instid0(VALU_DEP_4)
	v_dual_fmac_f32 v59, v115, v80 :: v_dual_fmac_f32 v58, v105, v78
	s_wait_loadcnt 0x3
	v_fmac_f32_e32 v47, v129, v69
	v_fmac_f32_e32 v48, v98, v77
	;; [unrolled: 1-line block ×3, first 2 shown]
	v_dual_fmac_f32 v59, v33, v69 :: v_dual_fmac_f32 v58, v108, v79
	v_fmac_f32_e32 v62, v121, v77
	v_fma_f32 v63, -v100, v80, v63
	s_delay_alu instid0(VALU_DEP_3) | instskip(SKIP_2) | instid1(VALU_DEP_4)
	v_dual_fmac_f32 v60, v127, v168 :: v_dual_fmac_f32 v59, v32, v70
	v_fmac_f32_e32 v48, v97, v78
	v_fma_f32 v47, -v130, v70, v47
	v_fmac_f32_e32 v63, v28, v69
	s_delay_alu instid0(VALU_DEP_4) | instskip(NEXT) | instid1(VALU_DEP_4)
	v_dual_fmac_f32 v60, v122, v77 :: v_dual_fmac_f32 v59, v35, v71
	v_fmac_f32_e32 v48, v100, v79
	v_fma_f32 v33, -v33, v70, v61
	s_delay_alu instid0(VALU_DEP_3) | instskip(NEXT) | instid1(VALU_DEP_4)
	v_dual_fmac_f32 v47, v131, v71 :: v_dual_fmac_f32 v60, v121, v78
	v_fmac_f32_e32 v59, v34, v72
	v_fma_f32 v62, -v122, v78, v62
	s_delay_alu instid0(VALU_DEP_4) | instskip(NEXT) | instid1(VALU_DEP_4)
	v_fmac_f32_e32 v33, v34, v71
	v_fma_f32 v32, -v132, v72, v47
	s_wait_loadcnt 0x2
	v_dual_fmac_f32 v60, v124, v79 :: v_dual_fmac_f32 v59, v13, v169
	v_fmac_f32_e32 v58, v107, v80
	s_delay_alu instid0(VALU_DEP_3) | instskip(NEXT) | instid1(VALU_DEP_2)
	v_fmac_f32_e32 v32, v16, v169
	v_dual_fmac_f32 v59, v12, v170 :: v_dual_fmac_f32 v58, v130, v69
	s_delay_alu instid0(VALU_DEP_1) | instskip(NEXT) | instid1(VALU_DEP_1)
	v_dual_fmac_f32 v59, v15, v171 :: v_dual_fmac_f32 v58, v129, v70
	v_dual_fmac_f32 v59, v14, v172 :: v_dual_fmac_f32 v58, v132, v71
	s_wait_loadcnt 0x0
	s_delay_alu instid0(VALU_DEP_1) | instskip(NEXT) | instid1(VALU_DEP_1)
	v_dual_fmac_f32 v59, v146, v93 :: v_dual_fmac_f32 v58, v131, v72
	v_fmac_f32_e32 v59, v145, v94
	s_delay_alu instid0(VALU_DEP_2) | instskip(SKIP_1) | instid1(VALU_DEP_3)
	v_fmac_f32_e32 v58, v17, v169
	v_fma_f32 v17, -v17, v170, v32
	v_dual_fmac_f32 v48, v99, v80 :: v_dual_fmac_f32 v59, v148, v95
	s_delay_alu instid0(VALU_DEP_2) | instskip(NEXT) | instid1(VALU_DEP_2)
	v_dual_fmac_f32 v58, v16, v170 :: v_dual_fmac_f32 v17, v18, v171
	v_fmac_f32_e32 v48, v29, v69
	v_fma_f32 v29, -v29, v70, v63
	s_delay_alu instid0(VALU_DEP_4) | instskip(NEXT) | instid1(VALU_DEP_4)
	v_fmac_f32_e32 v59, v147, v96
	v_fmac_f32_e32 v58, v19, v171
	s_delay_alu instid0(VALU_DEP_3) | instskip(NEXT) | instid1(VALU_DEP_3)
	v_dual_fmac_f32 v48, v28, v70 :: v_dual_fmac_f32 v29, v30, v71
	v_fmac_f32_e32 v59, v142, v85
	s_delay_alu instid0(VALU_DEP_3) | instskip(NEXT) | instid1(VALU_DEP_3)
	v_fmac_f32_e32 v58, v18, v172
	v_fmac_f32_e32 v48, v31, v71
	s_delay_alu instid0(VALU_DEP_4) | instskip(NEXT) | instid1(VALU_DEP_4)
	v_fma_f32 v29, -v31, v72, v29
	v_dual_fmac_f32 v62, v123, v79 :: v_dual_fmac_f32 v59, v141, v86
	s_delay_alu instid0(VALU_DEP_4) | instskip(NEXT) | instid1(VALU_DEP_3)
	v_fmac_f32_e32 v58, v138, v93
	v_dual_fmac_f32 v48, v30, v72 :: v_dual_fmac_f32 v29, v8, v169
	s_delay_alu instid0(VALU_DEP_3) | instskip(SKIP_1) | instid1(VALU_DEP_3)
	v_fma_f32 v62, -v124, v80, v62
	v_fma_f32 v30, -v35, v72, v33
	v_dual_fmac_f32 v59, v144, v87 :: v_dual_fmac_f32 v48, v9, v169
	s_delay_alu instid0(VALU_DEP_4) | instskip(NEXT) | instid1(VALU_DEP_4)
	v_fma_f32 v9, -v9, v170, v29
	v_fmac_f32_e32 v62, v133, v69
	v_fmac_f32_e32 v60, v123, v80
	;; [unrolled: 1-line block ×3, first 2 shown]
	v_fma_f32 v12, -v19, v172, v17
	v_dual_fmac_f32 v9, v10, v171 :: v_dual_fmac_f32 v48, v8, v170
	s_delay_alu instid0(VALU_DEP_4) | instskip(SKIP_1) | instid1(VALU_DEP_4)
	v_fmac_f32_e32 v60, v134, v69
	v_fma_f32 v28, -v134, v70, v62
	v_fmac_f32_e32 v12, v137, v93
	s_delay_alu instid0(VALU_DEP_4)
	v_fma_f32 v9, -v11, v172, v9
	v_fmac_f32_e32 v48, v11, v171
	v_fma_f32 v13, -v13, v170, v30
	v_fmac_f32_e32 v58, v137, v94
	v_fma_f32 v11, -v138, v94, v12
	v_dual_fmac_f32 v9, v20, v93 :: v_dual_fmac_f32 v60, v133, v70
	s_delay_alu instid0(VALU_DEP_4) | instskip(NEXT) | instid1(VALU_DEP_3)
	v_fmac_f32_e32 v13, v14, v171
	v_dual_fmac_f32 v48, v10, v172 :: v_dual_fmac_f32 v11, v139, v95
	s_delay_alu instid0(VALU_DEP_3) | instskip(NEXT) | instid1(VALU_DEP_4)
	v_fma_f32 v9, -v21, v94, v9
	v_fmac_f32_e32 v60, v136, v71
	s_delay_alu instid0(VALU_DEP_4) | instskip(NEXT) | instid1(VALU_DEP_4)
	v_fma_f32 v10, -v15, v172, v13
	v_fmac_f32_e32 v48, v21, v93
	v_fma_f32 v11, -v140, v96, v11
	s_delay_alu instid0(VALU_DEP_4) | instskip(NEXT) | instid1(VALU_DEP_4)
	v_dual_fmac_f32 v9, v22, v95 :: v_dual_fmac_f32 v60, v135, v72
	v_fmac_f32_e32 v10, v145, v93
	s_delay_alu instid0(VALU_DEP_4) | instskip(NEXT) | instid1(VALU_DEP_4)
	v_fmac_f32_e32 v48, v20, v94
	v_fmac_f32_e32 v11, v4, v85
	s_delay_alu instid0(VALU_DEP_4) | instskip(SKIP_3) | instid1(VALU_DEP_4)
	v_fma_f32 v9, -v23, v96, v9
	v_fmac_f32_e32 v28, v135, v71
	v_fmac_f32_e32 v60, v25, v169
	v_fma_f32 v10, -v146, v94, v10
	v_dual_fmac_f32 v48, v23, v95 :: v_dual_fmac_f32 v9, v0, v85
	s_delay_alu instid0(VALU_DEP_4) | instskip(NEXT) | instid1(VALU_DEP_4)
	v_fma_f32 v28, -v136, v72, v28
	v_fmac_f32_e32 v60, v24, v170
	v_fmac_f32_e32 v58, v140, v95
	;; [unrolled: 1-line block ×4, first 2 shown]
	v_dual_fmac_f32 v28, v24, v169 :: v_dual_fmac_f32 v59, v143, v88
	v_fmac_f32_e32 v60, v27, v171
	v_fmac_f32_e32 v58, v139, v96
	v_fma_f32 v10, -v148, v96, v10
	v_fmac_f32_e32 v48, v1, v85
	v_fma_f32 v1, -v1, v86, v9
	;; [unrolled: 2-line block ×3, first 2 shown]
	v_fmac_f32_e32 v58, v5, v85
	v_fmac_f32_e32 v10, v141, v85
	v_fma_f32 v5, -v5, v86, v11
	v_fmac_f32_e32 v60, v150, v93
	v_dual_fmac_f32 v48, v0, v86 :: v_dual_fmac_f32 v1, v2, v87
	v_fmac_f32_e32 v8, v26, v171
	v_fmac_f32_e32 v58, v4, v86
	s_delay_alu instid0(VALU_DEP_4)
	v_fmac_f32_e32 v60, v149, v94
	v_fma_f32 v4, -v142, v86, v10
	v_fmac_f32_e32 v5, v6, v87
	v_fmac_f32_e32 v48, v3, v87
	v_fma_f32 v64, -v3, v88, v1
	v_fma_f32 v8, -v27, v172, v8
	v_fmac_f32_e32 v60, v152, v95
	v_fmac_f32_e32 v58, v7, v87
	;; [unrolled: 1-line block ×3, first 2 shown]
	v_fma_f32 v63, -v7, v88, v5
	v_fmac_f32_e32 v8, v149, v93
	v_fmac_f32_e32 v60, v151, v96
	;; [unrolled: 1-line block ×4, first 2 shown]
	v_fma_f32 v61, -v144, v88, v4
	v_fma_f32 v8, -v150, v94, v8
	v_fmac_f32_e32 v60, v154, v85
	s_delay_alu instid0(VALU_DEP_2) | instskip(NEXT) | instid1(VALU_DEP_2)
	v_fmac_f32_e32 v8, v151, v95
	v_fmac_f32_e32 v60, v153, v86
	s_delay_alu instid0(VALU_DEP_2) | instskip(NEXT) | instid1(VALU_DEP_2)
	v_fma_f32 v8, -v152, v96, v8
	v_fmac_f32_e32 v60, v156, v87
	s_delay_alu instid0(VALU_DEP_2) | instskip(NEXT) | instid1(VALU_DEP_2)
	v_fmac_f32_e32 v8, v153, v85
	v_fmac_f32_e32 v60, v155, v88
	s_delay_alu instid0(VALU_DEP_2) | instskip(NEXT) | instid1(VALU_DEP_1)
	v_fma_f32 v0, -v154, v86, v8
	v_fmac_f32_e32 v0, v155, v87
	s_delay_alu instid0(VALU_DEP_1)
	v_fma_f32 v62, -v156, v88, v0
	s_wait_alu 0xfffe
	s_and_not1_b32 exec_lo, exec_lo, s7
	s_cbranch_execnz .LBB32_19
; %bb.20:
	s_or_b32 exec_lo, exec_lo, s7
.LBB32_21:
	s_wait_alu 0xfffe
	s_or_b32 exec_lo, exec_lo, s6
.LBB32_22:
	s_wait_alu 0xfffe
	s_or_b32 exec_lo, exec_lo, s3
	s_cbranch_execz .LBB32_24
	s_branch .LBB32_35
.LBB32_23:
                                        ; implicit-def: $vgpr58
                                        ; implicit-def: $vgpr63
                                        ; implicit-def: $vgpr61
                                        ; implicit-def: $vgpr59
                                        ; implicit-def: $vgpr62
                                        ; implicit-def: $vgpr60
                                        ; implicit-def: $vgpr64
                                        ; implicit-def: $vgpr48
.LBB32_24:
	v_dual_mov_b32 v58, 0 :: v_dual_mov_b32 v63, 0
	v_dual_mov_b32 v61, 0 :: v_dual_mov_b32 v62, 0
	;; [unrolled: 1-line block ×3, first 2 shown]
	v_mov_b32_e32 v64, 0
	v_mov_b32_e32 v48, 0
	s_and_saveexec_b32 s3, s2
	s_cbranch_execz .LBB32_34
; %bb.25:
	v_or_b32_e32 v0, 16, v57
	v_not_b32_e32 v3, v49
	v_not_b32_e32 v2, v50
	s_delay_alu instid0(VALU_DEP_3) | instskip(SKIP_3) | instid1(VALU_DEP_3)
	v_sub_co_u32 v0, s2, v0, s12
	s_wait_alu 0xf1ff
	v_sub_co_ci_u32_e64 v1, null, 0, 0, s2
	v_sub_co_u32 v4, s2, s12, v57
	v_add_co_u32 v0, vcc_lo, v0, v49
	s_wait_alu 0xfffd
	s_delay_alu instid0(VALU_DEP_3) | instskip(SKIP_3) | instid1(VALU_DEP_3)
	v_add_co_ci_u32_e64 v1, null, v1, v50, vcc_lo
	s_wait_alu 0xf1ff
	v_sub_co_ci_u32_e64 v5, null, 0, 0, s2
	v_add_co_u32 v3, s2, v4, v3
	v_cmp_gt_i64_e32 vcc_lo, v[0:1], v[43:44]
	s_wait_alu 0xf1ff
	s_delay_alu instid0(VALU_DEP_3) | instskip(SKIP_3) | instid1(VALU_DEP_1)
	v_add_co_ci_u32_e64 v2, null, v5, v2, s2
	s_mov_b32 s2, exec_lo
	s_wait_alu 0xfffd
	v_dual_cndmask_b32 v1, v44, v1 :: v_dual_cndmask_b32 v0, v43, v0
	v_add_co_u32 v0, vcc_lo, v3, v0
	v_mov_b32_e32 v48, 0
	s_wait_alu 0xfffd
	s_delay_alu instid0(VALU_DEP_3) | instskip(NEXT) | instid1(VALU_DEP_2)
	v_add_co_ci_u32_e64 v1, null, v2, v1, vcc_lo
	v_dual_mov_b32 v64, v48 :: v_dual_and_b32 v47, 48, v0
	v_dual_mov_b32 v59, v48 :: v_dual_mov_b32 v60, v48
	v_dual_mov_b32 v61, v48 :: v_dual_mov_b32 v62, v48
	v_dual_mov_b32 v63, v48 :: v_dual_mov_b32 v58, v48
	s_delay_alu instid0(VALU_DEP_4)
	v_cmpx_ne_u64_e32 48, v[47:48]
	s_cbranch_execz .LBB32_29
; %bb.26:
	v_lshrrev_b32_e32 v2, 4, v0
	v_dual_mov_b32 v58, 0 :: v_dual_mov_b32 v63, 0
	v_mov_b32_e32 v62, 0
	v_mov_b32_e32 v60, 0
	s_delay_alu instid0(VALU_DEP_4) | instskip(SKIP_2) | instid1(VALU_DEP_3)
	v_dual_mov_b32 v61, 0 :: v_dual_add_nc_u32 v4, 1, v2
	v_lshlrev_b64_e32 v[2:3], 2, v[41:42]
	v_dual_mov_b32 v59, 0 :: v_dual_mov_b32 v64, 0
	v_and_b32_e32 v4, 3, v4
	v_mov_b32_e32 v48, 0
	s_delay_alu instid0(VALU_DEP_4) | instskip(NEXT) | instid1(VALU_DEP_3)
	v_add_co_u32 v2, vcc_lo, s8, v2
	v_sub_co_u32 v4, s6, 0, v4
	s_wait_alu 0xfffd
	v_add_co_ci_u32_e64 v3, null, s9, v3, vcc_lo
	s_wait_alu 0xf1ff
	v_sub_co_ci_u32_e64 v5, null, 0, 0, s6
	s_mov_b32 s6, 0
.LBB32_27:                              ; =>This Inner Loop Header: Depth=1
	global_load_b32 v18, v[2:3], off
	s_clause 0x2
	global_load_b128 v[6:9], v[45:46], off offset:32
	global_load_b128 v[10:13], v[45:46], off offset:16
	global_load_b128 v[14:17], v[45:46], off
	s_wait_loadcnt 0x3
	v_subrev_nc_u32_e32 v18, s12, v18
	s_delay_alu instid0(VALU_DEP_1) | instskip(NEXT) | instid1(VALU_DEP_1)
	v_lshlrev_b32_e32 v18, 2, v18
	v_ashrrev_i32_e32 v19, 31, v18
	s_delay_alu instid0(VALU_DEP_1) | instskip(SKIP_1) | instid1(VALU_DEP_1)
	v_lshlrev_b64_e32 v[18:19], 3, v[18:19]
	s_wait_kmcnt 0x0
	v_add_co_u32 v22, vcc_lo, s4, v18
	s_wait_alu 0xfffd
	s_delay_alu instid0(VALU_DEP_2)
	v_add_co_ci_u32_e64 v23, null, s5, v19, vcc_lo
	s_clause 0x1
	global_load_b128 v[18:21], v[22:23], off
	global_load_b128 v[22:25], v[22:23], off offset:16
	s_clause 0x4
	global_load_b128 v[26:29], v[45:46], off offset:48
	global_load_b128 v[30:33], v[45:46], off offset:64
	;; [unrolled: 1-line block ×5, first 2 shown]
	v_add_co_u32 v45, vcc_lo, 0x800, v45
	s_wait_alu 0xfffd
	v_add_co_ci_u32_e64 v46, null, 0, v46, vcc_lo
	v_add_co_u32 v41, vcc_lo, v41, 16
	s_wait_alu 0xfffd
	v_add_co_ci_u32_e64 v42, null, 0, v42, vcc_lo
	v_add_co_u32 v4, vcc_lo, v4, 1
	s_wait_alu 0xfffd
	v_add_co_ci_u32_e64 v5, null, 0, v5, vcc_lo
	v_add_co_u32 v2, vcc_lo, v2, 64
	s_wait_alu 0xfffd
	v_add_co_ci_u32_e64 v3, null, 0, v3, vcc_lo
	s_delay_alu instid0(VALU_DEP_3) | instskip(SKIP_4) | instid1(VALU_DEP_1)
	v_cmp_eq_u64_e32 vcc_lo, 0, v[4:5]
	s_wait_alu 0xfffe
	s_or_b32 s6, vcc_lo, s6
	s_wait_loadcnt 0x6
	v_fmac_f32_e32 v59, v13, v18
	v_dual_fmac_f32 v58, v15, v18 :: v_dual_fmac_f32 v59, v12, v19
	s_wait_loadcnt 0x4
	s_delay_alu instid0(VALU_DEP_1) | instskip(NEXT) | instid1(VALU_DEP_1)
	v_dual_fmac_f32 v62, v10, v18 :: v_dual_fmac_f32 v59, v29, v20
	v_dual_fmac_f32 v48, v17, v18 :: v_dual_fmac_f32 v59, v28, v21
	s_delay_alu instid0(VALU_DEP_1) | instskip(SKIP_1) | instid1(VALU_DEP_2)
	v_dual_fmac_f32 v63, v14, v18 :: v_dual_fmac_f32 v48, v16, v19
	s_wait_loadcnt 0x2
	v_fmac_f32_e32 v59, v52, v22
	s_delay_alu instid0(VALU_DEP_2) | instskip(NEXT) | instid1(VALU_DEP_2)
	v_fma_f32 v15, -v15, v19, v63
	v_dual_fmac_f32 v48, v9, v20 :: v_dual_fmac_f32 v59, v51, v23
	s_delay_alu instid0(VALU_DEP_2) | instskip(SKIP_1) | instid1(VALU_DEP_3)
	v_fmac_f32_e32 v15, v6, v20
	v_dual_fmac_f32 v61, v12, v18 :: v_dual_fmac_f32 v58, v14, v19
	v_fmac_f32_e32 v48, v8, v21
	s_wait_loadcnt 0x0
	v_fmac_f32_e32 v59, v68, v24
	s_delay_alu instid0(VALU_DEP_3) | instskip(SKIP_1) | instid1(VALU_DEP_3)
	v_fmac_f32_e32 v58, v7, v20
	v_fma_f32 v7, -v7, v21, v15
	v_dual_fmac_f32 v48, v33, v22 :: v_dual_fmac_f32 v59, v67, v25
	s_delay_alu instid0(VALU_DEP_2) | instskip(NEXT) | instid1(VALU_DEP_4)
	v_fmac_f32_e32 v7, v30, v22
	v_fmac_f32_e32 v58, v6, v21
	s_delay_alu instid0(VALU_DEP_3) | instskip(NEXT) | instid1(VALU_DEP_3)
	v_fmac_f32_e32 v48, v32, v23
	v_fma_f32 v7, -v31, v23, v7
	v_fmac_f32_e32 v60, v11, v18
	v_fma_f32 v11, -v11, v19, v62
	v_fmac_f32_e32 v64, v16, v18
	v_fmac_f32_e32 v48, v56, v24
	s_delay_alu instid0(VALU_DEP_4) | instskip(SKIP_3) | instid1(VALU_DEP_4)
	v_dual_fmac_f32 v7, v53, v24 :: v_dual_fmac_f32 v60, v10, v19
	v_fma_f32 v10, -v13, v19, v61
	v_fmac_f32_e32 v11, v26, v20
	v_fma_f32 v14, -v17, v19, v64
	v_fma_f32 v63, -v54, v25, v7
	v_fmac_f32_e32 v60, v27, v20
	v_fmac_f32_e32 v10, v28, v20
	;; [unrolled: 1-line block ×4, first 2 shown]
	v_fma_f32 v8, -v27, v21, v11
	v_fmac_f32_e32 v60, v26, v21
	s_delay_alu instid0(VALU_DEP_3) | instskip(SKIP_1) | instid1(VALU_DEP_4)
	v_fma_f32 v6, -v9, v21, v14
	v_fma_f32 v9, -v29, v21, v10
	v_fmac_f32_e32 v8, v49, v22
	s_delay_alu instid0(VALU_DEP_4) | instskip(NEXT) | instid1(VALU_DEP_4)
	v_fmac_f32_e32 v60, v50, v22
	v_fmac_f32_e32 v6, v32, v22
	s_delay_alu instid0(VALU_DEP_4) | instskip(NEXT) | instid1(VALU_DEP_4)
	v_fmac_f32_e32 v9, v51, v22
	v_fma_f32 v8, -v50, v23, v8
	s_delay_alu instid0(VALU_DEP_4) | instskip(NEXT) | instid1(VALU_DEP_4)
	v_fmac_f32_e32 v60, v49, v23
	v_fma_f32 v6, -v33, v23, v6
	s_delay_alu instid0(VALU_DEP_4) | instskip(NEXT) | instid1(VALU_DEP_4)
	v_fma_f32 v9, -v52, v23, v9
	v_fmac_f32_e32 v8, v65, v24
	s_delay_alu instid0(VALU_DEP_4) | instskip(NEXT) | instid1(VALU_DEP_4)
	v_fmac_f32_e32 v60, v66, v24
	v_fmac_f32_e32 v6, v55, v24
	s_delay_alu instid0(VALU_DEP_4)
	v_fmac_f32_e32 v9, v67, v24
	v_fmac_f32_e32 v58, v31, v22
	v_fma_f32 v62, -v66, v25, v8
	v_fmac_f32_e32 v60, v65, v25
	v_fma_f32 v64, -v56, v25, v6
	v_fma_f32 v61, -v68, v25, v9
	v_fmac_f32_e32 v58, v30, v23
	s_delay_alu instid0(VALU_DEP_1) | instskip(NEXT) | instid1(VALU_DEP_1)
	v_fmac_f32_e32 v58, v54, v24
	v_fmac_f32_e32 v58, v53, v25
	s_wait_alu 0xfffe
	s_and_not1_b32 exec_lo, exec_lo, s6
	s_cbranch_execnz .LBB32_27
; %bb.28:
	s_or_b32 exec_lo, exec_lo, s6
.LBB32_29:
	s_wait_alu 0xfffe
	s_or_b32 exec_lo, exec_lo, s2
	s_delay_alu instid0(SALU_CYCLE_1)
	s_mov_b32 s2, exec_lo
	v_cmpx_lt_u64_e32 47, v[0:1]
	s_cbranch_execz .LBB32_33
; %bb.30:
	v_lshlrev_b64_e32 v[0:1], 2, v[41:42]
	s_mov_b32 s6, 0
	s_delay_alu instid0(VALU_DEP_1) | instskip(SKIP_1) | instid1(VALU_DEP_2)
	v_add_co_u32 v0, vcc_lo, s8, v0
	s_wait_alu 0xfffd
	v_add_co_ci_u32_e64 v1, null, s9, v1, vcc_lo
	s_delay_alu instid0(VALU_DEP_2) | instskip(SKIP_1) | instid1(VALU_DEP_2)
	v_add_co_u32 v4, vcc_lo, 0x80, v0
	s_wait_alu 0xfffd
	v_add_co_ci_u32_e64 v5, null, 0, v1, vcc_lo
.LBB32_31:                              ; =>This Inner Loop Header: Depth=1
	s_clause 0x3
	global_load_b32 v6, v[4:5], off offset:-128
	global_load_b32 v35, v[4:5], off offset:-64
	global_load_b32 v47, v[4:5], off
	global_load_b32 v133, v[4:5], off offset:64
	s_clause 0x1a
	global_load_b128 v[7:10], v[45:46], off offset:48
	global_load_b128 v[11:14], v[45:46], off offset:32
	;; [unrolled: 1-line block ×3, first 2 shown]
	global_load_b128 v[19:22], v[45:46], off
	global_load_b128 v[23:26], v[45:46], off offset:112
	global_load_b128 v[27:30], v[45:46], off offset:96
	;; [unrolled: 1-line block ×23, first 2 shown]
	s_wait_loadcnt 0x1e
	v_subrev_nc_u32_e32 v6, s12, v6
	s_wait_loadcnt 0x1d
	v_subrev_nc_u32_e32 v35, s12, v35
	;; [unrolled: 2-line block ×4, first 2 shown]
	v_lshlrev_b32_e32 v133, 2, v6
	v_lshlrev_b32_e32 v135, 2, v35
	;; [unrolled: 1-line block ×3, first 2 shown]
	s_delay_alu instid0(VALU_DEP_4) | instskip(NEXT) | instid1(VALU_DEP_4)
	v_lshlrev_b32_e32 v139, 2, v134
	v_ashrrev_i32_e32 v134, 31, v133
	s_delay_alu instid0(VALU_DEP_4) | instskip(NEXT) | instid1(VALU_DEP_4)
	v_ashrrev_i32_e32 v136, 31, v135
	v_ashrrev_i32_e32 v138, 31, v137
	s_delay_alu instid0(VALU_DEP_4) | instskip(NEXT) | instid1(VALU_DEP_4)
	v_ashrrev_i32_e32 v140, 31, v139
	v_lshlrev_b64_e32 v[133:134], 3, v[133:134]
	s_delay_alu instid0(VALU_DEP_4) | instskip(NEXT) | instid1(VALU_DEP_4)
	v_lshlrev_b64_e32 v[135:136], 3, v[135:136]
	v_lshlrev_b64_e32 v[137:138], 3, v[137:138]
	s_delay_alu instid0(VALU_DEP_4) | instskip(SKIP_1) | instid1(VALU_DEP_4)
	v_lshlrev_b64_e32 v[139:140], 3, v[139:140]
	s_wait_kmcnt 0x0
	v_add_co_u32 v141, vcc_lo, s4, v133
	s_wait_alu 0xfffd
	v_add_co_ci_u32_e64 v142, null, s5, v134, vcc_lo
	v_add_co_u32 v143, vcc_lo, s4, v135
	s_wait_alu 0xfffd
	v_add_co_ci_u32_e64 v144, null, s5, v136, vcc_lo
	;; [unrolled: 3-line block ×4, first 2 shown]
	s_clause 0x1
	global_load_b128 v[133:136], v[141:142], off
	global_load_b128 v[137:140], v[141:142], off offset:16
	s_wait_loadcnt 0x1
	v_fmac_f32_e32 v64, v21, v133
	v_fmac_f32_e32 v48, v22, v133
	v_fmac_f32_e32 v63, v19, v133
	v_fmac_f32_e32 v58, v20, v133
	v_fmac_f32_e32 v61, v17, v133
	v_fma_f32 v35, -v22, v134, v64
	v_fmac_f32_e32 v60, v16, v133
	v_fmac_f32_e32 v48, v21, v134
	v_fma_f32 v6, -v20, v134, v63
	s_delay_alu instid0(VALU_DEP_4) | instskip(NEXT) | instid1(VALU_DEP_4)
	v_dual_fmac_f32 v58, v19, v134 :: v_dual_fmac_f32 v35, v13, v135
	v_dual_fmac_f32 v59, v18, v133 :: v_dual_fmac_f32 v60, v15, v134
	v_fmac_f32_e32 v62, v15, v133
	s_delay_alu instid0(VALU_DEP_4) | instskip(NEXT) | instid1(VALU_DEP_4)
	v_fmac_f32_e32 v6, v11, v135
	v_fma_f32 v35, -v14, v136, v35
	s_delay_alu instid0(VALU_DEP_4) | instskip(NEXT) | instid1(VALU_DEP_4)
	v_dual_fmac_f32 v59, v17, v134 :: v_dual_fmac_f32 v60, v8, v135
	v_fma_f32 v47, -v16, v134, v62
	v_fma_f32 v61, -v18, v134, v61
	;; [unrolled: 1-line block ×3, first 2 shown]
	s_wait_loadcnt 0x0
	v_dual_fmac_f32 v48, v14, v135 :: v_dual_fmac_f32 v35, v51, v137
	v_dual_fmac_f32 v59, v10, v135 :: v_dual_fmac_f32 v60, v7, v136
	v_fmac_f32_e32 v58, v12, v135
	v_fmac_f32_e32 v47, v7, v135
	;; [unrolled: 1-line block ×3, first 2 shown]
	s_delay_alu instid0(VALU_DEP_4) | instskip(NEXT) | instid1(VALU_DEP_4)
	v_fmac_f32_e32 v59, v9, v136
	v_dual_fmac_f32 v133, v49, v137 :: v_dual_fmac_f32 v58, v11, v136
	v_fmac_f32_e32 v48, v13, v136
	s_clause 0x2
	global_load_b128 v[19:22], v[45:46], off offset:6144
	global_load_b128 v[11:14], v[45:46], off offset:6208
	;; [unrolled: 1-line block ×3, first 2 shown]
	v_fma_f32 v47, -v8, v136, v47
	v_fma_f32 v10, -v10, v136, v61
	s_clause 0x1
	global_load_b128 v[6:9], v[143:144], off
	global_load_b128 v[61:64], v[143:144], off offset:16
	v_fma_f32 v141, -v50, v138, v133
	v_fmac_f32_e32 v48, v52, v137
	v_fmac_f32_e32 v59, v34, v137
	;; [unrolled: 1-line block ×3, first 2 shown]
	v_fma_f32 v35, -v52, v138, v35
	v_fmac_f32_e32 v141, v27, v139
	v_fmac_f32_e32 v48, v51, v138
	;; [unrolled: 1-line block ×3, first 2 shown]
	v_dual_fmac_f32 v58, v49, v138 :: v_dual_fmac_f32 v47, v31, v137
	s_clause 0x1
	global_load_b128 v[49:52], v[145:146], off
	global_load_b128 v[133:136], v[145:146], off offset:16
	v_dual_fmac_f32 v60, v32, v137 :: v_dual_fmac_f32 v35, v29, v139
	v_fmac_f32_e32 v59, v26, v139
	v_fma_f32 v47, -v32, v138, v47
	v_fmac_f32_e32 v10, v33, v137
	s_delay_alu instid0(VALU_DEP_4) | instskip(NEXT) | instid1(VALU_DEP_4)
	v_fmac_f32_e32 v60, v31, v138
	v_dual_fmac_f32 v58, v28, v139 :: v_dual_fmac_f32 v59, v25, v140
	s_delay_alu instid0(VALU_DEP_4) | instskip(NEXT) | instid1(VALU_DEP_4)
	v_fmac_f32_e32 v47, v23, v139
	v_fma_f32 v10, -v34, v138, v10
	global_load_b128 v[31:34], v[147:148], off
	v_fma_f32 v141, -v28, v140, v141
	v_fmac_f32_e32 v48, v30, v139
	v_fma_f32 v35, -v30, v140, v35
	v_fmac_f32_e32 v10, v25, v139
	v_fma_f32 v47, -v24, v140, v47
	s_wait_loadcnt 0x4
	s_delay_alu instid0(VALU_DEP_1)
	v_dual_fmac_f32 v58, v27, v140 :: v_dual_fmac_f32 v47, v69, v6
	v_fmac_f32_e32 v59, v72, v6
	v_fma_f32 v10, -v26, v140, v10
	v_fmac_f32_e32 v141, v73, v6
	v_dual_fmac_f32 v48, v29, v140 :: v_dual_fmac_f32 v35, v75, v6
	global_load_b128 v[27:30], v[147:148], off offset:16
	v_dual_fmac_f32 v58, v74, v6 :: v_dual_fmac_f32 v59, v71, v7
	v_fmac_f32_e32 v10, v71, v6
	v_fma_f32 v35, -v76, v7, v35
	v_fmac_f32_e32 v60, v24, v139
	v_fma_f32 v47, -v70, v7, v47
	v_dual_fmac_f32 v59, v56, v8 :: v_dual_fmac_f32 v58, v73, v7
	s_delay_alu instid0(VALU_DEP_4) | instskip(NEXT) | instid1(VALU_DEP_3)
	v_dual_fmac_f32 v35, v67, v8 :: v_dual_fmac_f32 v48, v76, v6
	v_fmac_f32_e32 v47, v53, v8
	s_delay_alu instid0(VALU_DEP_3)
	v_fmac_f32_e32 v59, v55, v9
	v_fmac_f32_e32 v60, v23, v140
	s_clause 0x1
	global_load_b128 v[23:26], v[45:46], off offset:6240
	global_load_b128 v[137:140], v[45:46], off offset:6256
	v_fmac_f32_e32 v58, v66, v8
	v_fma_f32 v10, -v72, v7, v10
	s_wait_loadcnt 0x6
	v_dual_fmac_f32 v59, v88, v61 :: v_dual_fmac_f32 v60, v70, v6
	v_fma_f32 v6, -v74, v7, v141
	v_add_co_u32 v45, vcc_lo, 0x2000, v45
	s_delay_alu instid0(VALU_DEP_3) | instskip(SKIP_3) | instid1(VALU_DEP_3)
	v_dual_fmac_f32 v59, v87, v62 :: v_dual_fmac_f32 v60, v69, v7
	s_wait_alu 0xfffd
	v_add_co_ci_u32_e64 v46, null, 0, v46, vcc_lo
	v_add_co_u32 v41, vcc_lo, v41, 64
	v_dual_fmac_f32 v60, v54, v8 :: v_dual_fmac_f32 v59, v80, v63
	v_fmac_f32_e32 v58, v65, v9
	s_wait_alu 0xfffd
	v_add_co_ci_u32_e64 v42, null, 0, v42, vcc_lo
	v_add_co_u32 v4, vcc_lo, 0x100, v4
	v_fmac_f32_e32 v59, v79, v64
	v_fmac_f32_e32 v48, v75, v7
	v_fma_f32 v7, -v68, v9, v35
	s_wait_alu 0xfffd
	v_add_co_ci_u32_e64 v5, null, 0, v5, vcc_lo
	s_wait_loadcnt 0x5
	v_fmac_f32_e32 v59, v104, v49
	v_fmac_f32_e32 v60, v53, v9
	;; [unrolled: 1-line block ×3, first 2 shown]
	v_cmp_ge_i64_e32 vcc_lo, v[41:42], v[43:44]
	s_delay_alu instid0(VALU_DEP_4) | instskip(SKIP_1) | instid1(VALU_DEP_4)
	v_fmac_f32_e32 v59, v103, v50
	v_fmac_f32_e32 v10, v55, v8
	v_fma_f32 v7, -v92, v62, v7
	v_fmac_f32_e32 v6, v65, v8
	s_wait_alu 0xfffe
	s_or_b32 s6, vcc_lo, s6
	v_fmac_f32_e32 v59, v96, v51
	v_fma_f32 v10, -v56, v9, v10
	v_fmac_f32_e32 v7, v83, v63
	v_fma_f32 v6, -v66, v9, v6
	s_delay_alu instid0(VALU_DEP_4) | instskip(NEXT) | instid1(VALU_DEP_4)
	v_fmac_f32_e32 v59, v95, v52
	v_fmac_f32_e32 v10, v87, v61
	s_delay_alu instid0(VALU_DEP_4)
	v_fma_f32 v7, -v84, v64, v7
	v_fmac_f32_e32 v48, v68, v8
	v_fma_f32 v8, -v54, v9, v47
	s_wait_loadcnt 0x4
	v_fmac_f32_e32 v59, v116, v133
	v_fmac_f32_e32 v7, v107, v49
	;; [unrolled: 1-line block ×3, first 2 shown]
	v_fma_f32 v9, -v88, v62, v10
	s_delay_alu instid0(VALU_DEP_4) | instskip(NEXT) | instid1(VALU_DEP_4)
	v_dual_fmac_f32 v8, v85, v61 :: v_dual_fmac_f32 v59, v115, v134
	v_fma_f32 v7, -v108, v50, v7
	s_delay_alu instid0(VALU_DEP_3) | instskip(NEXT) | instid1(VALU_DEP_3)
	v_dual_fmac_f32 v6, v89, v61 :: v_dual_fmac_f32 v9, v79, v63
	v_fma_f32 v8, -v86, v62, v8
	s_delay_alu instid0(VALU_DEP_4) | instskip(NEXT) | instid1(VALU_DEP_4)
	v_fmac_f32_e32 v59, v3, v135
	v_fmac_f32_e32 v7, v99, v51
	s_delay_alu instid0(VALU_DEP_4) | instskip(SKIP_1) | instid1(VALU_DEP_4)
	v_fma_f32 v6, -v90, v62, v6
	v_fma_f32 v9, -v80, v64, v9
	v_fmac_f32_e32 v59, v2, v136
	s_delay_alu instid0(VALU_DEP_4) | instskip(NEXT) | instid1(VALU_DEP_3)
	v_fma_f32 v7, -v100, v52, v7
	v_dual_fmac_f32 v6, v81, v63 :: v_dual_fmac_f32 v9, v103, v49
	s_wait_loadcnt 0x3
	s_delay_alu instid0(VALU_DEP_3) | instskip(NEXT) | instid1(VALU_DEP_3)
	v_fmac_f32_e32 v59, v132, v31
	v_fmac_f32_e32 v7, v119, v133
	s_delay_alu instid0(VALU_DEP_3) | instskip(SKIP_1) | instid1(VALU_DEP_4)
	v_fma_f32 v6, -v82, v64, v6
	v_fma_f32 v9, -v104, v50, v9
	v_dual_fmac_f32 v58, v90, v61 :: v_dual_fmac_f32 v59, v131, v32
	s_delay_alu instid0(VALU_DEP_4) | instskip(NEXT) | instid1(VALU_DEP_3)
	v_fma_f32 v7, -v120, v134, v7
	v_dual_fmac_f32 v60, v86, v61 :: v_dual_fmac_f32 v9, v95, v51
	s_delay_alu instid0(VALU_DEP_3) | instskip(NEXT) | instid1(VALU_DEP_3)
	v_fmac_f32_e32 v58, v89, v62
	v_dual_fmac_f32 v6, v105, v49 :: v_dual_fmac_f32 v7, v111, v135
	v_dual_fmac_f32 v8, v77, v63 :: v_dual_fmac_f32 v59, v124, v33
	s_delay_alu instid0(VALU_DEP_4) | instskip(SKIP_2) | instid1(VALU_DEP_4)
	v_fma_f32 v9, -v96, v52, v9
	v_fmac_f32_e32 v60, v85, v62
	v_fmac_f32_e32 v58, v82, v63
	v_fma_f32 v8, -v78, v64, v8
	v_fma_f32 v7, -v112, v136, v7
	s_delay_alu instid0(VALU_DEP_4) | instskip(NEXT) | instid1(VALU_DEP_4)
	v_dual_fmac_f32 v9, v115, v133 :: v_dual_fmac_f32 v60, v78, v63
	v_dual_fmac_f32 v58, v81, v64 :: v_dual_fmac_f32 v59, v123, v34
	s_delay_alu instid0(VALU_DEP_4) | instskip(NEXT) | instid1(VALU_DEP_3)
	v_fmac_f32_e32 v8, v101, v49
	v_fma_f32 v9, -v116, v134, v9
	s_delay_alu instid0(VALU_DEP_4) | instskip(NEXT) | instid1(VALU_DEP_4)
	v_fmac_f32_e32 v60, v77, v64
	v_dual_fmac_f32 v58, v106, v49 :: v_dual_fmac_f32 v7, v21, v31
	v_fma_f32 v6, -v106, v50, v6
	s_delay_alu instid0(VALU_DEP_4) | instskip(NEXT) | instid1(VALU_DEP_3)
	v_dual_fmac_f32 v9, v2, v135 :: v_dual_fmac_f32 v48, v92, v61
	v_fmac_f32_e32 v58, v105, v50
	v_fma_f32 v8, -v102, v50, v8
	s_delay_alu instid0(VALU_DEP_3) | instskip(NEXT) | instid1(VALU_DEP_2)
	v_fmac_f32_e32 v48, v91, v62
	v_fmac_f32_e32 v8, v93, v51
	s_delay_alu instid0(VALU_DEP_1) | instskip(NEXT) | instid1(VALU_DEP_1)
	v_fma_f32 v8, -v94, v52, v8
	v_fmac_f32_e32 v8, v113, v133
	s_delay_alu instid0(VALU_DEP_1) | instskip(NEXT) | instid1(VALU_DEP_1)
	v_fma_f32 v8, -v114, v134, v8
	v_fmac_f32_e32 v8, v0, v135
	s_wait_loadcnt 0x2
	v_fmac_f32_e32 v59, v18, v27
	s_delay_alu instid0(VALU_DEP_1) | instskip(SKIP_1) | instid1(VALU_DEP_1)
	v_dual_fmac_f32 v60, v102, v49 :: v_dual_fmac_f32 v59, v17, v28
	s_wait_loadcnt 0x0
	v_dual_fmac_f32 v60, v101, v50 :: v_dual_fmac_f32 v59, v140, v29
	s_delay_alu instid0(VALU_DEP_1) | instskip(NEXT) | instid1(VALU_DEP_2)
	v_fmac_f32_e32 v60, v94, v51
	v_dual_fmac_f32 v6, v97, v51 :: v_dual_fmac_f32 v59, v139, v30
	s_delay_alu instid0(VALU_DEP_2) | instskip(NEXT) | instid1(VALU_DEP_2)
	v_fmac_f32_e32 v60, v93, v52
	v_fma_f32 v6, -v98, v52, v6
	s_delay_alu instid0(VALU_DEP_2) | instskip(NEXT) | instid1(VALU_DEP_2)
	v_fmac_f32_e32 v60, v114, v133
	v_fmac_f32_e32 v6, v117, v133
	s_delay_alu instid0(VALU_DEP_2) | instskip(NEXT) | instid1(VALU_DEP_2)
	v_fmac_f32_e32 v60, v113, v134
	v_fma_f32 v6, -v118, v134, v6
	s_delay_alu instid0(VALU_DEP_2) | instskip(SKIP_1) | instid1(VALU_DEP_3)
	v_fmac_f32_e32 v60, v1, v135
	v_fma_f32 v1, -v1, v136, v8
	v_fmac_f32_e32 v6, v109, v135
	s_delay_alu instid0(VALU_DEP_3)
	v_fmac_f32_e32 v60, v0, v136
	v_fma_f32 v0, -v3, v136, v9
	v_fma_f32 v3, -v22, v32, v7
	v_fmac_f32_e32 v48, v84, v63
	v_fmac_f32_e32 v1, v129, v31
	v_fma_f32 v6, -v110, v136, v6
	s_delay_alu instid0(VALU_DEP_4) | instskip(NEXT) | instid1(VALU_DEP_4)
	v_dual_fmac_f32 v60, v130, v31 :: v_dual_fmac_f32 v3, v127, v33
	v_fmac_f32_e32 v48, v83, v64
	s_delay_alu instid0(VALU_DEP_4) | instskip(NEXT) | instid1(VALU_DEP_4)
	v_fma_f32 v1, -v130, v32, v1
	v_fmac_f32_e32 v6, v19, v31
	v_fmac_f32_e32 v0, v131, v31
	v_fma_f32 v3, -v128, v34, v3
	v_fmac_f32_e32 v48, v108, v49
	v_fmac_f32_e32 v1, v121, v33
	;; [unrolled: 3-line block ×3, first 2 shown]
	v_fma_f32 v0, -v132, v32, v0
	v_fma_f32 v1, -v122, v34, v1
	v_fmac_f32_e32 v2, v125, v33
	v_fmac_f32_e32 v60, v122, v33
	v_fma_f32 v3, -v14, v28, v3
	v_fmac_f32_e32 v48, v107, v50
	v_fmac_f32_e32 v1, v15, v27
	;; [unrolled: 1-line block ×3, first 2 shown]
	v_fma_f32 v2, -v126, v34, v2
	s_delay_alu instid0(VALU_DEP_4) | instskip(NEXT) | instid1(VALU_DEP_4)
	v_dual_fmac_f32 v3, v25, v29 :: v_dual_fmac_f32 v48, v100, v51
	v_fma_f32 v1, -v16, v28, v1
	v_fmac_f32_e32 v58, v98, v51
	v_fmac_f32_e32 v60, v121, v34
	v_fma_f32 v0, -v124, v34, v0
	s_delay_alu instid0(VALU_DEP_4) | instskip(NEXT) | instid1(VALU_DEP_4)
	v_dual_fmac_f32 v48, v99, v52 :: v_dual_fmac_f32 v1, v137, v29
	v_fmac_f32_e32 v58, v97, v52
	v_fmac_f32_e32 v2, v11, v27
	;; [unrolled: 1-line block ×3, first 2 shown]
	s_delay_alu instid0(VALU_DEP_4)
	v_fmac_f32_e32 v48, v120, v133
	v_fmac_f32_e32 v0, v17, v27
	;; [unrolled: 1-line block ×3, first 2 shown]
	v_fma_f32 v2, -v12, v28, v2
	v_fmac_f32_e32 v60, v15, v28
	v_fmac_f32_e32 v48, v119, v134
	v_fma_f32 v0, -v18, v28, v0
	v_fmac_f32_e32 v58, v117, v134
	v_fmac_f32_e32 v2, v23, v29
	;; [unrolled: 1-line block ×6, first 2 shown]
	v_fma_f32 v63, -v24, v30, v2
	v_fma_f32 v64, -v26, v30, v3
	v_fmac_f32_e32 v48, v111, v136
	v_fma_f32 v62, -v138, v30, v1
	v_fmac_f32_e32 v58, v109, v136
	v_fmac_f32_e32 v60, v137, v30
	v_fma_f32 v61, -v140, v30, v0
	v_fmac_f32_e32 v48, v22, v31
	s_delay_alu instid0(VALU_DEP_4) | instskip(NEXT) | instid1(VALU_DEP_2)
	v_fmac_f32_e32 v58, v20, v31
	v_fmac_f32_e32 v48, v21, v32
	s_delay_alu instid0(VALU_DEP_2) | instskip(NEXT) | instid1(VALU_DEP_2)
	v_fmac_f32_e32 v58, v19, v32
	v_fmac_f32_e32 v48, v128, v33
	s_delay_alu instid0(VALU_DEP_2) | instskip(NEXT) | instid1(VALU_DEP_2)
	;; [unrolled: 3-line block ×6, first 2 shown]
	v_fmac_f32_e32 v58, v24, v29
	v_fmac_f32_e32 v48, v25, v30
	s_delay_alu instid0(VALU_DEP_2)
	v_fmac_f32_e32 v58, v23, v30
	s_wait_alu 0xfffe
	s_and_not1_b32 exec_lo, exec_lo, s6
	s_cbranch_execnz .LBB32_31
; %bb.32:
	s_or_b32 exec_lo, exec_lo, s6
.LBB32_33:
	s_wait_alu 0xfffe
	s_or_b32 exec_lo, exec_lo, s2
.LBB32_34:
	s_wait_alu 0xfffe
	s_or_b32 exec_lo, exec_lo, s3
.LBB32_35:
	v_mbcnt_lo_u32_b32 v0, -1, 0
	s_delay_alu instid0(VALU_DEP_1) | instskip(SKIP_2) | instid1(VALU_DEP_3)
	v_xor_b32_e32 v1, 8, v0
	v_xor_b32_e32 v9, 4, v0
	;; [unrolled: 1-line block ×3, first 2 shown]
	v_cmp_gt_i32_e32 vcc_lo, 32, v1
	s_wait_alu 0xfffd
	v_cndmask_b32_e32 v1, v0, v1, vcc_lo
	v_cmp_gt_i32_e32 vcc_lo, 32, v9
	s_delay_alu instid0(VALU_DEP_2)
	v_lshlrev_b32_e32 v1, 2, v1
	ds_bpermute_b32 v4, v1, v64
	s_wait_dscnt 0x0
	v_add_f32_e32 v4, v64, v4
	ds_bpermute_b32 v2, v1, v63
	ds_bpermute_b32 v6, v1, v62
	;; [unrolled: 1-line block ×3, first 2 shown]
	s_wait_alu 0xfffd
	v_cndmask_b32_e32 v9, v0, v9, vcc_lo
	ds_bpermute_b32 v3, v1, v58
	ds_bpermute_b32 v5, v1, v48
	ds_bpermute_b32 v7, v1, v60
	ds_bpermute_b32 v1, v1, v59
	v_cmp_gt_i32_e32 vcc_lo, 32, v17
	s_wait_dscnt 0x6
	s_wait_alu 0xfffd
	v_dual_cndmask_b32 v17, v0, v17 :: v_dual_add_f32 v2, v63, v2
	s_wait_dscnt 0x5
	v_dual_add_f32 v6, v62, v6 :: v_dual_lshlrev_b32 v9, 2, v9
	s_wait_dscnt 0x4
	v_add_f32_e32 v8, v61, v8
	ds_bpermute_b32 v10, v9, v2
	ds_bpermute_b32 v12, v9, v4
	;; [unrolled: 1-line block ×4, first 2 shown]
	s_wait_dscnt 0x7
	v_add_f32_e32 v3, v58, v3
	s_wait_dscnt 0x6
	v_add_f32_e32 v5, v48, v5
	;; [unrolled: 2-line block ×3, first 2 shown]
	s_wait_dscnt 0x3
	v_dual_add_f32 v1, v59, v1 :: v_dual_add_f32 v2, v2, v10
	ds_bpermute_b32 v13, v9, v5
	s_wait_dscnt 0x3
	v_add_f32_e32 v4, v4, v12
	ds_bpermute_b32 v11, v9, v3
	s_wait_dscnt 0x3
	v_add_f32_e32 v6, v6, v14
	;; [unrolled: 3-line block ×3, first 2 shown]
	ds_bpermute_b32 v9, v9, v1
	v_lshlrev_b32_e32 v17, 2, v17
	s_wait_dscnt 0x2
	v_add_f32_e32 v3, v3, v11
	ds_bpermute_b32 v11, v17, v4
	s_wait_dscnt 0x1
	v_add_f32_e32 v9, v1, v9
	ds_bpermute_b32 v1, v17, v2
	v_add_f32_e32 v7, v7, v15
	ds_bpermute_b32 v15, v17, v8
	;; [unrolled: 2-line block ×3, first 2 shown]
	ds_bpermute_b32 v13, v17, v6
	ds_bpermute_b32 v14, v17, v7
	;; [unrolled: 1-line block ×4, first 2 shown]
	v_xor_b32_e32 v17, 1, v0
	s_delay_alu instid0(VALU_DEP_1) | instskip(SKIP_4) | instid1(VALU_DEP_2)
	v_cmp_gt_i32_e32 vcc_lo, 32, v17
	s_wait_alu 0xfffd
	v_cndmask_b32_e32 v0, v0, v17, vcc_lo
	v_cmp_eq_u32_e32 vcc_lo, 15, v57
	s_wait_dscnt 0x6
	v_dual_add_f32 v0, v2, v1 :: v_dual_lshlrev_b32 v17, 2, v0
	s_wait_dscnt 0x4
	v_dual_add_f32 v1, v3, v10 :: v_dual_add_f32 v2, v4, v11
	s_wait_dscnt 0x3
	v_add_f32_e32 v4, v6, v13
	s_wait_dscnt 0x0
	v_dual_add_f32 v6, v8, v15 :: v_dual_add_f32 v3, v5, v12
	v_add_f32_e32 v5, v7, v14
	v_add_f32_e32 v7, v9, v16
	ds_bpermute_b32 v8, v17, v0
	ds_bpermute_b32 v9, v17, v1
	;; [unrolled: 1-line block ×8, first 2 shown]
	s_and_b32 exec_lo, exec_lo, vcc_lo
	s_cbranch_execz .LBB32_8
; %bb.36:
	s_load_b64 s[2:3], s[0:1], 0x50
	s_wait_dscnt 0x7
	v_add_f32_e32 v8, v0, v8
	s_wait_dscnt 0x4
	v_dual_add_f32 v0, v1, v9 :: v_dual_add_f32 v1, v3, v11
	s_wait_dscnt 0x2
	v_dual_add_f32 v9, v2, v10 :: v_dual_add_f32 v2, v5, v13
	;; [unrolled: 2-line block ×3, first 2 shown]
	v_add_f32_e32 v11, v6, v14
	v_mul_f32_e64 v4, v0, -v39
	v_mul_f32_e32 v5, v38, v0
	v_mul_f32_e64 v6, v1, -v39
	v_mul_f32_e32 v7, v38, v1
	;; [unrolled: 2-line block ×4, first 2 shown]
	v_cmp_eq_f32_e32 vcc_lo, 0, v36
	v_cmp_eq_f32_e64 s0, 0, v37
	v_fmac_f32_e32 v4, v38, v8
	v_dual_fmac_f32 v5, v39, v8 :: v_dual_fmac_f32 v6, v38, v9
	v_dual_fmac_f32 v7, v39, v9 :: v_dual_lshlrev_b32 v8, 2, v40
	v_dual_fmac_f32 v0, v38, v10 :: v_dual_fmac_f32 v3, v39, v11
	v_dual_fmac_f32 v1, v39, v10 :: v_dual_fmac_f32 v2, v38, v11
	s_and_b32 s0, vcc_lo, s0
	s_wait_alu 0xfffe
	s_and_saveexec_b32 s1, s0
	s_wait_alu 0xfffe
	s_xor_b32 s0, exec_lo, s1
	s_cbranch_execz .LBB32_38
; %bb.37:
	v_ashrrev_i32_e32 v9, 31, v8
                                        ; implicit-def: $vgpr36_vgpr37
	s_delay_alu instid0(VALU_DEP_1) | instskip(SKIP_1) | instid1(VALU_DEP_1)
	v_lshlrev_b64_e32 v[8:9], 3, v[8:9]
	s_wait_kmcnt 0x0
	v_add_co_u32 v8, vcc_lo, s2, v8
	s_wait_alu 0xfffd
	s_delay_alu instid0(VALU_DEP_2)
	v_add_co_ci_u32_e64 v9, null, s3, v9, vcc_lo
	s_clause 0x1
	global_store_b128 v[8:9], v[4:7], off
	global_store_b128 v[8:9], v[0:3], off offset:16
                                        ; implicit-def: $vgpr4
                                        ; implicit-def: $vgpr8
                                        ; implicit-def: $vgpr0
.LBB32_38:
	s_wait_alu 0xfffe
	s_and_not1_saveexec_b32 s0, s0
	s_cbranch_execz .LBB32_8
; %bb.39:
	v_ashrrev_i32_e32 v9, 31, v8
	s_delay_alu instid0(VALU_DEP_1) | instskip(SKIP_1) | instid1(VALU_DEP_1)
	v_lshlrev_b64_e32 v[8:9], 3, v[8:9]
	s_wait_kmcnt 0x0
	v_add_co_u32 v16, vcc_lo, s2, v8
	s_wait_alu 0xfffd
	s_delay_alu instid0(VALU_DEP_2)
	v_add_co_ci_u32_e64 v17, null, s3, v9, vcc_lo
	s_clause 0x1
	global_load_b128 v[8:11], v[16:17], off
	global_load_b128 v[12:15], v[16:17], off offset:16
	s_wait_loadcnt 0x1
	v_dual_fmac_f32 v4, v36, v8 :: v_dual_fmac_f32 v7, v37, v10
	v_dual_fmac_f32 v5, v37, v8 :: v_dual_fmac_f32 v6, v36, v10
	s_wait_loadcnt 0x0
	v_dual_fmac_f32 v0, v36, v12 :: v_dual_fmac_f32 v3, v37, v14
	v_dual_fmac_f32 v1, v37, v12 :: v_dual_fmac_f32 v2, v36, v14
	v_fma_f32 v4, -v37, v9, v4
	v_fmac_f32_e32 v5, v36, v9
	v_fma_f32 v6, -v37, v11, v6
	v_fmac_f32_e32 v7, v36, v11
	;; [unrolled: 2-line block ×4, first 2 shown]
	s_clause 0x1
	global_store_b128 v[16:17], v[4:7], off
	global_store_b128 v[16:17], v[0:3], off offset:16
	s_nop 0
	s_sendmsg sendmsg(MSG_DEALLOC_VGPRS)
	s_endpgm
	.section	.rodata,"a",@progbits
	.p2align	6, 0x0
	.amdhsa_kernel _ZN9rocsparseL18bsrxmvn_4x4_kernelILj128ELj16E21rocsparse_complex_numIfEliS2_S2_S2_EEvT3_20rocsparse_direction_NS_24const_host_device_scalarIT1_EES3_PKS3_PKT2_SC_S9_PKT4_PKT5_S7_PT6_21rocsparse_index_base_b
		.amdhsa_group_segment_fixed_size 0
		.amdhsa_private_segment_fixed_size 0
		.amdhsa_kernarg_size 96
		.amdhsa_user_sgpr_count 2
		.amdhsa_user_sgpr_dispatch_ptr 0
		.amdhsa_user_sgpr_queue_ptr 0
		.amdhsa_user_sgpr_kernarg_segment_ptr 1
		.amdhsa_user_sgpr_dispatch_id 0
		.amdhsa_user_sgpr_private_segment_size 0
		.amdhsa_wavefront_size32 1
		.amdhsa_uses_dynamic_stack 0
		.amdhsa_enable_private_segment 0
		.amdhsa_system_sgpr_workgroup_id_x 1
		.amdhsa_system_sgpr_workgroup_id_y 0
		.amdhsa_system_sgpr_workgroup_id_z 0
		.amdhsa_system_sgpr_workgroup_info 0
		.amdhsa_system_vgpr_workitem_id 0
		.amdhsa_next_free_vgpr 175
		.amdhsa_next_free_sgpr 14
		.amdhsa_reserve_vcc 1
		.amdhsa_float_round_mode_32 0
		.amdhsa_float_round_mode_16_64 0
		.amdhsa_float_denorm_mode_32 3
		.amdhsa_float_denorm_mode_16_64 3
		.amdhsa_fp16_overflow 0
		.amdhsa_workgroup_processor_mode 1
		.amdhsa_memory_ordered 1
		.amdhsa_forward_progress 1
		.amdhsa_inst_pref_size 68
		.amdhsa_round_robin_scheduling 0
		.amdhsa_exception_fp_ieee_invalid_op 0
		.amdhsa_exception_fp_denorm_src 0
		.amdhsa_exception_fp_ieee_div_zero 0
		.amdhsa_exception_fp_ieee_overflow 0
		.amdhsa_exception_fp_ieee_underflow 0
		.amdhsa_exception_fp_ieee_inexact 0
		.amdhsa_exception_int_div_zero 0
	.end_amdhsa_kernel
	.section	.text._ZN9rocsparseL18bsrxmvn_4x4_kernelILj128ELj16E21rocsparse_complex_numIfEliS2_S2_S2_EEvT3_20rocsparse_direction_NS_24const_host_device_scalarIT1_EES3_PKS3_PKT2_SC_S9_PKT4_PKT5_S7_PT6_21rocsparse_index_base_b,"axG",@progbits,_ZN9rocsparseL18bsrxmvn_4x4_kernelILj128ELj16E21rocsparse_complex_numIfEliS2_S2_S2_EEvT3_20rocsparse_direction_NS_24const_host_device_scalarIT1_EES3_PKS3_PKT2_SC_S9_PKT4_PKT5_S7_PT6_21rocsparse_index_base_b,comdat
.Lfunc_end32:
	.size	_ZN9rocsparseL18bsrxmvn_4x4_kernelILj128ELj16E21rocsparse_complex_numIfEliS2_S2_S2_EEvT3_20rocsparse_direction_NS_24const_host_device_scalarIT1_EES3_PKS3_PKT2_SC_S9_PKT4_PKT5_S7_PT6_21rocsparse_index_base_b, .Lfunc_end32-_ZN9rocsparseL18bsrxmvn_4x4_kernelILj128ELj16E21rocsparse_complex_numIfEliS2_S2_S2_EEvT3_20rocsparse_direction_NS_24const_host_device_scalarIT1_EES3_PKS3_PKT2_SC_S9_PKT4_PKT5_S7_PT6_21rocsparse_index_base_b
                                        ; -- End function
	.set _ZN9rocsparseL18bsrxmvn_4x4_kernelILj128ELj16E21rocsparse_complex_numIfEliS2_S2_S2_EEvT3_20rocsparse_direction_NS_24const_host_device_scalarIT1_EES3_PKS3_PKT2_SC_S9_PKT4_PKT5_S7_PT6_21rocsparse_index_base_b.num_vgpr, 175
	.set _ZN9rocsparseL18bsrxmvn_4x4_kernelILj128ELj16E21rocsparse_complex_numIfEliS2_S2_S2_EEvT3_20rocsparse_direction_NS_24const_host_device_scalarIT1_EES3_PKS3_PKT2_SC_S9_PKT4_PKT5_S7_PT6_21rocsparse_index_base_b.num_agpr, 0
	.set _ZN9rocsparseL18bsrxmvn_4x4_kernelILj128ELj16E21rocsparse_complex_numIfEliS2_S2_S2_EEvT3_20rocsparse_direction_NS_24const_host_device_scalarIT1_EES3_PKS3_PKT2_SC_S9_PKT4_PKT5_S7_PT6_21rocsparse_index_base_b.numbered_sgpr, 14
	.set _ZN9rocsparseL18bsrxmvn_4x4_kernelILj128ELj16E21rocsparse_complex_numIfEliS2_S2_S2_EEvT3_20rocsparse_direction_NS_24const_host_device_scalarIT1_EES3_PKS3_PKT2_SC_S9_PKT4_PKT5_S7_PT6_21rocsparse_index_base_b.num_named_barrier, 0
	.set _ZN9rocsparseL18bsrxmvn_4x4_kernelILj128ELj16E21rocsparse_complex_numIfEliS2_S2_S2_EEvT3_20rocsparse_direction_NS_24const_host_device_scalarIT1_EES3_PKS3_PKT2_SC_S9_PKT4_PKT5_S7_PT6_21rocsparse_index_base_b.private_seg_size, 0
	.set _ZN9rocsparseL18bsrxmvn_4x4_kernelILj128ELj16E21rocsparse_complex_numIfEliS2_S2_S2_EEvT3_20rocsparse_direction_NS_24const_host_device_scalarIT1_EES3_PKS3_PKT2_SC_S9_PKT4_PKT5_S7_PT6_21rocsparse_index_base_b.uses_vcc, 1
	.set _ZN9rocsparseL18bsrxmvn_4x4_kernelILj128ELj16E21rocsparse_complex_numIfEliS2_S2_S2_EEvT3_20rocsparse_direction_NS_24const_host_device_scalarIT1_EES3_PKS3_PKT2_SC_S9_PKT4_PKT5_S7_PT6_21rocsparse_index_base_b.uses_flat_scratch, 0
	.set _ZN9rocsparseL18bsrxmvn_4x4_kernelILj128ELj16E21rocsparse_complex_numIfEliS2_S2_S2_EEvT3_20rocsparse_direction_NS_24const_host_device_scalarIT1_EES3_PKS3_PKT2_SC_S9_PKT4_PKT5_S7_PT6_21rocsparse_index_base_b.has_dyn_sized_stack, 0
	.set _ZN9rocsparseL18bsrxmvn_4x4_kernelILj128ELj16E21rocsparse_complex_numIfEliS2_S2_S2_EEvT3_20rocsparse_direction_NS_24const_host_device_scalarIT1_EES3_PKS3_PKT2_SC_S9_PKT4_PKT5_S7_PT6_21rocsparse_index_base_b.has_recursion, 0
	.set _ZN9rocsparseL18bsrxmvn_4x4_kernelILj128ELj16E21rocsparse_complex_numIfEliS2_S2_S2_EEvT3_20rocsparse_direction_NS_24const_host_device_scalarIT1_EES3_PKS3_PKT2_SC_S9_PKT4_PKT5_S7_PT6_21rocsparse_index_base_b.has_indirect_call, 0
	.section	.AMDGPU.csdata,"",@progbits
; Kernel info:
; codeLenInByte = 8632
; TotalNumSgprs: 16
; NumVgprs: 175
; ScratchSize: 0
; MemoryBound: 0
; FloatMode: 240
; IeeeMode: 1
; LDSByteSize: 0 bytes/workgroup (compile time only)
; SGPRBlocks: 0
; VGPRBlocks: 21
; NumSGPRsForWavesPerEU: 16
; NumVGPRsForWavesPerEU: 175
; Occupancy: 8
; WaveLimiterHint : 1
; COMPUTE_PGM_RSRC2:SCRATCH_EN: 0
; COMPUTE_PGM_RSRC2:USER_SGPR: 2
; COMPUTE_PGM_RSRC2:TRAP_HANDLER: 0
; COMPUTE_PGM_RSRC2:TGID_X_EN: 1
; COMPUTE_PGM_RSRC2:TGID_Y_EN: 0
; COMPUTE_PGM_RSRC2:TGID_Z_EN: 0
; COMPUTE_PGM_RSRC2:TIDIG_COMP_CNT: 0
	.section	.text._ZN9rocsparseL18bsrxmvn_4x4_kernelILj128ELj32E21rocsparse_complex_numIfEliS2_S2_S2_EEvT3_20rocsparse_direction_NS_24const_host_device_scalarIT1_EES3_PKS3_PKT2_SC_S9_PKT4_PKT5_S7_PT6_21rocsparse_index_base_b,"axG",@progbits,_ZN9rocsparseL18bsrxmvn_4x4_kernelILj128ELj32E21rocsparse_complex_numIfEliS2_S2_S2_EEvT3_20rocsparse_direction_NS_24const_host_device_scalarIT1_EES3_PKS3_PKT2_SC_S9_PKT4_PKT5_S7_PT6_21rocsparse_index_base_b,comdat
	.globl	_ZN9rocsparseL18bsrxmvn_4x4_kernelILj128ELj32E21rocsparse_complex_numIfEliS2_S2_S2_EEvT3_20rocsparse_direction_NS_24const_host_device_scalarIT1_EES3_PKS3_PKT2_SC_S9_PKT4_PKT5_S7_PT6_21rocsparse_index_base_b ; -- Begin function _ZN9rocsparseL18bsrxmvn_4x4_kernelILj128ELj32E21rocsparse_complex_numIfEliS2_S2_S2_EEvT3_20rocsparse_direction_NS_24const_host_device_scalarIT1_EES3_PKS3_PKT2_SC_S9_PKT4_PKT5_S7_PT6_21rocsparse_index_base_b
	.p2align	8
	.type	_ZN9rocsparseL18bsrxmvn_4x4_kernelILj128ELj32E21rocsparse_complex_numIfEliS2_S2_S2_EEvT3_20rocsparse_direction_NS_24const_host_device_scalarIT1_EES3_PKS3_PKT2_SC_S9_PKT4_PKT5_S7_PT6_21rocsparse_index_base_b,@function
_ZN9rocsparseL18bsrxmvn_4x4_kernelILj128ELj32E21rocsparse_complex_numIfEliS2_S2_S2_EEvT3_20rocsparse_direction_NS_24const_host_device_scalarIT1_EES3_PKS3_PKT2_SC_S9_PKT4_PKT5_S7_PT6_21rocsparse_index_base_b: ; @_ZN9rocsparseL18bsrxmvn_4x4_kernelILj128ELj32E21rocsparse_complex_numIfEliS2_S2_S2_EEvT3_20rocsparse_direction_NS_24const_host_device_scalarIT1_EES3_PKS3_PKT2_SC_S9_PKT4_PKT5_S7_PT6_21rocsparse_index_base_b
; %bb.0:
	s_clause 0x2
	s_load_b64 s[12:13], s[0:1], 0x58
	s_load_b64 s[2:3], s[0:1], 0x8
	;; [unrolled: 1-line block ×3, first 2 shown]
	s_add_nc_u64 s[6:7], s[0:1], 8
	s_wait_kmcnt 0x0
	s_bitcmp1_b32 s13, 0
	s_cselect_b32 s2, s6, s2
	s_cselect_b32 s3, s7, s3
	s_delay_alu instid0(SALU_CYCLE_1)
	v_dual_mov_b32 v1, s2 :: v_dual_mov_b32 v2, s3
	s_add_nc_u64 s[2:3], s[0:1], 0x48
	s_wait_alu 0xfffe
	s_cselect_b32 s2, s2, s4
	s_cselect_b32 s3, s3, s5
	flat_load_b64 v[38:39], v[1:2]
	s_wait_alu 0xfffe
	v_dual_mov_b32 v1, s2 :: v_dual_mov_b32 v2, s3
	flat_load_b64 v[36:37], v[1:2]
	s_wait_loadcnt_dscnt 0x101
	v_cmp_eq_f32_e32 vcc_lo, 0, v38
	v_cmp_eq_f32_e64 s2, 0, v39
	s_and_b32 s4, vcc_lo, s2
	s_mov_b32 s2, -1
	s_and_saveexec_b32 s3, s4
	s_cbranch_execz .LBB33_2
; %bb.1:
	s_wait_loadcnt_dscnt 0x0
	v_cmp_neq_f32_e32 vcc_lo, 1.0, v36
	v_cmp_neq_f32_e64 s2, 0, v37
	s_wait_alu 0xfffe
	s_or_b32 s2, vcc_lo, s2
	s_wait_alu 0xfffe
	s_or_not1_b32 s2, s2, exec_lo
.LBB33_2:
	s_wait_alu 0xfffe
	s_or_b32 exec_lo, exec_lo, s3
	s_and_saveexec_b32 s3, s2
	s_cbranch_execz .LBB33_8
; %bb.3:
	s_clause 0x1
	s_load_b64 s[4:5], s[0:1], 0x18
	s_load_b64 s[2:3], s[0:1], 0x0
	v_lshrrev_b32_e32 v1, 5, v0
	s_delay_alu instid0(VALU_DEP_1)
	v_lshl_or_b32 v40, ttmp9, 2, v1
	s_wait_kmcnt 0x0
	s_cmp_lg_u64 s[4:5], 0
	s_cbranch_scc0 .LBB33_9
; %bb.4:
	s_load_b32 s6, s[0:1], 0x10
	s_mov_b32 s7, 0
                                        ; implicit-def: $vgpr1
	s_wait_kmcnt 0x0
	v_cmp_gt_i32_e32 vcc_lo, s6, v40
	s_mov_b32 s6, 0
	s_and_saveexec_b32 s8, vcc_lo
	s_delay_alu instid0(SALU_CYCLE_1)
	s_xor_b32 s8, exec_lo, s8
	s_cbranch_execz .LBB33_6
; %bb.5:
	v_ashrrev_i32_e32 v41, 31, v40
	s_mov_b32 s6, exec_lo
	s_delay_alu instid0(VALU_DEP_1) | instskip(NEXT) | instid1(VALU_DEP_1)
	v_lshlrev_b64_e32 v[1:2], 2, v[40:41]
	v_add_co_u32 v1, vcc_lo, s4, v1
	s_delay_alu instid0(VALU_DEP_1)
	v_add_co_ci_u32_e64 v2, null, s5, v2, vcc_lo
	global_load_b32 v1, v[1:2], off
	s_wait_loadcnt 0x0
	v_subrev_nc_u32_e32 v1, s12, v1
.LBB33_6:
	s_or_b32 exec_lo, exec_lo, s8
	s_delay_alu instid0(SALU_CYCLE_1)
	s_and_b32 vcc_lo, exec_lo, s7
	s_wait_alu 0xfffe
	s_cbranch_vccz .LBB33_10
.LBB33_7:
	v_cmp_gt_i32_e32 vcc_lo, s2, v40
	s_and_not1_b32 s2, s6, exec_lo
	s_and_b32 s4, vcc_lo, exec_lo
	s_wait_alu 0xfffe
	s_or_b32 s6, s2, s4
	s_wait_alu 0xfffe
	s_and_b32 exec_lo, exec_lo, s6
	s_cbranch_execnz .LBB33_11
.LBB33_8:
	s_nop 0
	s_sendmsg sendmsg(MSG_DEALLOC_VGPRS)
	s_endpgm
.LBB33_9:
	s_mov_b32 s6, 0
                                        ; implicit-def: $vgpr1
	s_cbranch_execnz .LBB33_7
.LBB33_10:
	v_mov_b32_e32 v40, v1
	s_and_b32 exec_lo, exec_lo, s6
	s_cbranch_execz .LBB33_8
.LBB33_11:
	s_load_b256 s[4:11], s[0:1], 0x20
	s_delay_alu instid0(VALU_DEP_1) | instskip(SKIP_1) | instid1(VALU_DEP_2)
	v_ashrrev_i32_e32 v41, 31, v40
	v_dual_mov_b32 v58, 0 :: v_dual_and_b32 v57, 31, v0
	v_lshlrev_b64_e32 v[1:2], 3, v[40:41]
	s_wait_kmcnt 0x0
	s_delay_alu instid0(VALU_DEP_1) | instskip(SKIP_1) | instid1(VALU_DEP_2)
	v_add_co_u32 v3, vcc_lo, s4, v1
	s_wait_alu 0xfffd
	v_add_co_ci_u32_e64 v4, null, s5, v2, vcc_lo
	v_add_co_u32 v1, vcc_lo, s6, v1
	s_wait_alu 0xfffd
	v_add_co_ci_u32_e64 v2, null, s7, v2, vcc_lo
	v_add_co_u32 v5, vcc_lo, v3, 8
	global_load_b64 v[49:50], v[3:4], off
	s_wait_alu 0xfffd
	v_add_co_ci_u32_e64 v6, null, 0, v4, vcc_lo
	s_cmp_eq_u64 s[6:7], 0
	s_load_b64 s[4:5], s[0:1], 0x40
	s_cselect_b32 vcc_lo, -1, 0
	s_cmp_eq_u32 s3, 1
	s_wait_alu 0xfffe
	v_dual_cndmask_b32 v2, v2, v6 :: v_dual_cndmask_b32 v1, v1, v5
	global_load_b64 v[1:2], v[1:2], off
	s_wait_loadcnt 0x1
	v_sub_co_u32 v0, vcc_lo, v49, s12
	s_wait_alu 0xfffd
	v_subrev_co_ci_u32_e64 v3, null, 0, v50, vcc_lo
	s_delay_alu instid0(VALU_DEP_2) | instskip(SKIP_1) | instid1(VALU_DEP_2)
	v_add_co_u32 v41, vcc_lo, v0, v57
	s_wait_alu 0xfffd
	v_add_co_ci_u32_e64 v42, null, 0, v3, vcc_lo
	s_wait_loadcnt 0x0
	v_sub_co_u32 v43, vcc_lo, v1, s12
	s_delay_alu instid0(VALU_DEP_2) | instskip(SKIP_2) | instid1(VALU_DEP_2)
	v_lshlrev_b64_e32 v[0:1], 7, v[41:42]
	s_wait_alu 0xfffd
	v_subrev_co_ci_u32_e64 v44, null, 0, v2, vcc_lo
	v_add_co_u32 v47, vcc_lo, s10, v0
	s_delay_alu instid0(VALU_DEP_2)
	v_cmp_lt_i64_e64 s2, v[41:42], v[43:44]
	s_wait_alu 0xfffd
	v_add_co_ci_u32_e64 v48, null, s11, v1, vcc_lo
	s_cbranch_scc1 .LBB33_23
; %bb.12:
	v_dual_mov_b32 v63, 0 :: v_dual_mov_b32 v62, 0
	v_dual_mov_b32 v61, 0 :: v_dual_mov_b32 v60, 0
	;; [unrolled: 1-line block ×3, first 2 shown]
	v_mov_b32_e32 v46, 0
	s_and_saveexec_b32 s3, s2
	s_cbranch_execz .LBB33_22
; %bb.13:
	v_or_b32_e32 v0, 32, v57
	v_not_b32_e32 v3, v49
	v_not_b32_e32 v2, v50
	v_mov_b32_e32 v52, v48
	v_mov_b32_e32 v54, v42
	v_sub_co_u32 v0, s6, v0, s12
	s_wait_alu 0xf1ff
	v_sub_co_ci_u32_e64 v1, null, 0, 0, s6
	v_sub_co_u32 v4, s6, s12, v57
	s_delay_alu instid0(VALU_DEP_3) | instskip(SKIP_1) | instid1(VALU_DEP_3)
	v_add_co_u32 v0, vcc_lo, v0, v49
	s_wait_alu 0xfffd
	v_add_co_ci_u32_e64 v1, null, v1, v50, vcc_lo
	s_wait_alu 0xf1ff
	v_sub_co_ci_u32_e64 v5, null, 0, 0, s6
	v_mov_b32_e32 v53, v41
	s_delay_alu instid0(VALU_DEP_3)
	v_cmp_gt_i64_e32 vcc_lo, v[0:1], v[43:44]
	v_mov_b32_e32 v46, 0
	s_mov_b32 s6, exec_lo
	v_mov_b32_e32 v51, v47
	s_wait_alu 0xfffd
	v_dual_cndmask_b32 v1, v44, v1 :: v_dual_cndmask_b32 v0, v43, v0
	v_mov_b32_e32 v59, v46
	v_add_co_u32 v3, vcc_lo, v4, v3
	s_wait_alu 0xfffd
	v_add_co_ci_u32_e64 v2, null, v5, v2, vcc_lo
	v_dual_mov_b32 v60, v46 :: v_dual_mov_b32 v61, v46
	s_delay_alu instid0(VALU_DEP_3)
	v_add_co_u32 v0, vcc_lo, v3, v0
	v_mov_b32_e32 v64, v46
	v_dual_mov_b32 v62, v46 :: v_dual_mov_b32 v63, v46
	s_wait_alu 0xfffd
	v_add_co_ci_u32_e64 v1, null, v2, v1, vcc_lo
	v_dual_mov_b32 v58, v46 :: v_dual_and_b32 v45, 0x60, v0
	s_delay_alu instid0(VALU_DEP_1)
	v_cmpx_ne_u64_e32 0x60, v[45:46]
	s_cbranch_execz .LBB33_17
; %bb.14:
	v_lshrrev_b32_e32 v2, 5, v0
	v_dual_mov_b32 v52, v48 :: v_dual_mov_b32 v61, 0
	v_dual_mov_b32 v54, v42 :: v_dual_mov_b32 v63, 0
	s_delay_alu instid0(VALU_DEP_3) | instskip(SKIP_2) | instid1(VALU_DEP_3)
	v_dual_mov_b32 v51, v47 :: v_dual_add_nc_u32 v4, 1, v2
	v_lshlrev_b64_e32 v[2:3], 2, v[41:42]
	v_dual_mov_b32 v58, 0 :: v_dual_mov_b32 v53, v41
	v_dual_mov_b32 v59, 0 :: v_dual_and_b32 v4, 3, v4
	v_mov_b32_e32 v62, 0
	s_delay_alu instid0(VALU_DEP_4) | instskip(NEXT) | instid1(VALU_DEP_3)
	v_add_co_u32 v2, vcc_lo, s8, v2
	v_sub_co_u32 v4, s7, 0, v4
	s_wait_alu 0xfffd
	v_add_co_ci_u32_e64 v3, null, s9, v3, vcc_lo
	s_wait_alu 0xf1ff
	v_sub_co_ci_u32_e64 v5, null, 0, 0, s7
	v_mov_b32_e32 v60, 0
	v_mov_b32_e32 v64, 0
	;; [unrolled: 1-line block ×3, first 2 shown]
	s_mov_b32 s7, 0
.LBB33_15:                              ; =>This Inner Loop Header: Depth=1
	global_load_b32 v34, v[2:3], off
	s_clause 0x7
	global_load_b128 v[6:9], v[51:52], off offset:48
	global_load_b128 v[10:13], v[51:52], off offset:32
	;; [unrolled: 1-line block ×3, first 2 shown]
	global_load_b128 v[18:21], v[51:52], off
	global_load_b128 v[22:25], v[51:52], off offset:112
	global_load_b128 v[26:29], v[51:52], off offset:96
	;; [unrolled: 1-line block ×4, first 2 shown]
	s_wait_loadcnt 0x8
	v_subrev_nc_u32_e32 v34, s12, v34
	s_delay_alu instid0(VALU_DEP_1) | instskip(NEXT) | instid1(VALU_DEP_1)
	v_lshlrev_b32_e32 v34, 2, v34
	v_ashrrev_i32_e32 v35, 31, v34
	s_delay_alu instid0(VALU_DEP_1) | instskip(SKIP_1) | instid1(VALU_DEP_1)
	v_lshlrev_b64_e32 v[34:35], 3, v[34:35]
	s_wait_kmcnt 0x0
	v_add_co_u32 v34, vcc_lo, s4, v34
	s_wait_alu 0xfffd
	s_delay_alu instid0(VALU_DEP_2)
	v_add_co_ci_u32_e64 v35, null, s5, v35, vcc_lo
	v_add_co_u32 v51, vcc_lo, 0x1000, v51
	s_wait_alu 0xfffd
	v_add_co_ci_u32_e64 v52, null, 0, v52, vcc_lo
	s_clause 0x1
	global_load_b128 v[69:72], v[34:35], off
	global_load_b128 v[73:76], v[34:35], off offset:16
	v_add_co_u32 v53, vcc_lo, v53, 32
	s_wait_alu 0xfffd
	v_add_co_ci_u32_e64 v54, null, 0, v54, vcc_lo
	v_add_co_u32 v4, vcc_lo, v4, 1
	s_wait_alu 0xfffd
	v_add_co_ci_u32_e64 v5, null, 0, v5, vcc_lo
	;; [unrolled: 3-line block ×3, first 2 shown]
	s_delay_alu instid0(VALU_DEP_3)
	v_cmp_eq_u64_e32 vcc_lo, 0, v[4:5]
	s_wait_alu 0xfffe
	s_or_b32 s7, vcc_lo, s7
	s_wait_loadcnt 0x1
	v_fmac_f32_e32 v63, v18, v69
	v_fmac_f32_e32 v59, v27, v69
	;; [unrolled: 1-line block ×4, first 2 shown]
	s_delay_alu instid0(VALU_DEP_4) | instskip(SKIP_3) | instid1(VALU_DEP_4)
	v_fma_f32 v19, -v19, v70, v63
	v_fmac_f32_e32 v64, v10, v69
	v_fmac_f32_e32 v59, v26, v70
	;; [unrolled: 1-line block ×3, first 2 shown]
	v_dual_fmac_f32 v58, v18, v70 :: v_dual_fmac_f32 v19, v20, v71
	s_delay_alu instid0(VALU_DEP_4) | instskip(NEXT) | instid1(VALU_DEP_4)
	v_fma_f32 v11, -v11, v70, v64
	v_fmac_f32_e32 v59, v29, v71
	v_fmac_f32_e32 v62, v65, v69
	v_dual_fmac_f32 v61, v26, v69 :: v_dual_fmac_f32 v60, v65, v70
	s_delay_alu instid0(VALU_DEP_4)
	v_fmac_f32_e32 v11, v12, v71
	v_fma_f32 v19, -v21, v72, v19
	v_dual_fmac_f32 v59, v28, v72 :: v_dual_fmac_f32 v46, v10, v70
	v_fma_f32 v10, -v66, v70, v62
	v_fma_f32 v18, -v27, v70, v61
	s_wait_loadcnt 0x0
	v_dual_fmac_f32 v58, v21, v71 :: v_dual_fmac_f32 v19, v14, v73
	v_fmac_f32_e32 v60, v68, v71
	v_fma_f32 v11, -v13, v72, v11
	v_dual_fmac_f32 v18, v28, v71 :: v_dual_fmac_f32 v59, v23, v73
	v_fmac_f32_e32 v46, v13, v71
	s_delay_alu instid0(VALU_DEP_3) | instskip(SKIP_2) | instid1(VALU_DEP_4)
	v_dual_fmac_f32 v10, v67, v71 :: v_dual_fmac_f32 v11, v6, v73
	v_fma_f32 v13, -v15, v74, v19
	v_fmac_f32_e32 v60, v67, v72
	v_fmac_f32_e32 v46, v12, v72
	v_fma_f32 v12, -v29, v72, v18
	v_dual_fmac_f32 v59, v22, v74 :: v_dual_fmac_f32 v58, v20, v72
	v_fma_f32 v10, -v68, v72, v10
	v_dual_fmac_f32 v13, v16, v75 :: v_dual_fmac_f32 v60, v31, v73
	s_delay_alu instid0(VALU_DEP_3) | instskip(SKIP_1) | instid1(VALU_DEP_4)
	v_dual_fmac_f32 v12, v22, v73 :: v_dual_fmac_f32 v59, v25, v75
	v_fmac_f32_e32 v46, v7, v73
	v_fmac_f32_e32 v10, v30, v73
	v_fma_f32 v7, -v7, v74, v11
	v_fmac_f32_e32 v58, v15, v73
	v_dual_fmac_f32 v60, v30, v74 :: v_dual_fmac_f32 v59, v24, v76
	v_fmac_f32_e32 v46, v6, v74
	v_fma_f32 v6, -v31, v74, v10
	v_fma_f32 v10, -v23, v74, v12
	v_dual_fmac_f32 v7, v8, v75 :: v_dual_fmac_f32 v58, v14, v74
	s_delay_alu instid0(VALU_DEP_4) | instskip(NEXT) | instid1(VALU_DEP_4)
	v_fmac_f32_e32 v46, v9, v75
	v_fmac_f32_e32 v6, v32, v75
	;; [unrolled: 1-line block ×5, first 2 shown]
	v_fma_f32 v63, -v17, v76, v13
	v_fma_f32 v64, -v9, v76, v7
	v_fmac_f32_e32 v46, v8, v76
	v_fma_f32 v62, -v33, v76, v6
	v_fmac_f32_e32 v58, v16, v76
	v_fmac_f32_e32 v60, v32, v76
	v_fma_f32 v61, -v25, v76, v10
	s_wait_alu 0xfffe
	s_and_not1_b32 exec_lo, exec_lo, s7
	s_cbranch_execnz .LBB33_15
; %bb.16:
	s_or_b32 exec_lo, exec_lo, s7
.LBB33_17:
	s_wait_alu 0xfffe
	s_or_b32 exec_lo, exec_lo, s6
	s_delay_alu instid0(SALU_CYCLE_1)
	s_mov_b32 s6, exec_lo
	v_cmpx_lt_u64_e32 0x5f, v[0:1]
	s_cbranch_execz .LBB33_21
; %bb.18:
	v_lshlrev_b64_e32 v[0:1], 2, v[53:54]
	s_mov_b32 s7, 0
	s_delay_alu instid0(VALU_DEP_1) | instskip(SKIP_1) | instid1(VALU_DEP_2)
	v_add_co_u32 v0, vcc_lo, s8, v0
	s_wait_alu 0xfffd
	v_add_co_ci_u32_e64 v1, null, s9, v1, vcc_lo
	s_delay_alu instid0(VALU_DEP_2) | instskip(SKIP_1) | instid1(VALU_DEP_2)
	v_add_co_u32 v55, vcc_lo, 0x100, v0
	s_wait_alu 0xfffd
	v_add_co_ci_u32_e64 v56, null, 0, v1, vcc_lo
.LBB33_19:                              ; =>This Inner Loop Header: Depth=1
	s_clause 0x3
	global_load_b32 v45, v[55:56], off offset:-256
	global_load_b32 v157, v[55:56], off offset:-128
	global_load_b32 v158, v[55:56], off
	global_load_b32 v159, v[55:56], off offset:128
	s_clause 0x1f
	global_load_b128 v[65:68], v[51:52], off offset:48
	global_load_b128 v[69:72], v[51:52], off offset:32
	;; [unrolled: 1-line block ×3, first 2 shown]
	global_load_b128 v[77:80], v[51:52], off
	global_load_b128 v[81:84], v[51:52], off offset:112
	global_load_b128 v[85:88], v[51:52], off offset:96
	;; [unrolled: 1-line block ×28, first 2 shown]
	s_wait_loadcnt 0x23
	v_subrev_nc_u32_e32 v45, s12, v45
	s_wait_loadcnt 0x22
	v_subrev_nc_u32_e32 v160, s12, v157
	s_wait_loadcnt 0x21
	v_subrev_nc_u32_e32 v158, s12, v158
	s_wait_loadcnt 0x20
	v_subrev_nc_u32_e32 v162, s12, v159
	v_lshlrev_b32_e32 v157, 2, v45
	v_lshlrev_b32_e32 v159, 2, v160
	;; [unrolled: 1-line block ×3, first 2 shown]
	s_delay_alu instid0(VALU_DEP_4) | instskip(NEXT) | instid1(VALU_DEP_4)
	v_lshlrev_b32_e32 v163, 2, v162
	v_ashrrev_i32_e32 v158, 31, v157
	s_delay_alu instid0(VALU_DEP_4) | instskip(NEXT) | instid1(VALU_DEP_4)
	v_ashrrev_i32_e32 v160, 31, v159
	v_ashrrev_i32_e32 v162, 31, v161
	s_delay_alu instid0(VALU_DEP_4) | instskip(NEXT) | instid1(VALU_DEP_4)
	v_ashrrev_i32_e32 v164, 31, v163
	v_lshlrev_b64_e32 v[157:158], 3, v[157:158]
	s_delay_alu instid0(VALU_DEP_4) | instskip(NEXT) | instid1(VALU_DEP_4)
	v_lshlrev_b64_e32 v[159:160], 3, v[159:160]
	v_lshlrev_b64_e32 v[161:162], 3, v[161:162]
	s_delay_alu instid0(VALU_DEP_4) | instskip(SKIP_1) | instid1(VALU_DEP_4)
	v_lshlrev_b64_e32 v[163:164], 3, v[163:164]
	s_wait_kmcnt 0x0
	v_add_co_u32 v165, vcc_lo, s4, v157
	s_wait_alu 0xfffd
	v_add_co_ci_u32_e64 v166, null, s5, v158, vcc_lo
	v_add_co_u32 v169, vcc_lo, s4, v159
	s_wait_alu 0xfffd
	v_add_co_ci_u32_e64 v170, null, s5, v160, vcc_lo
	;; [unrolled: 3-line block ×4, first 2 shown]
	s_clause 0x2
	global_load_b128 v[157:160], v[165:166], off
	global_load_b128 v[161:164], v[165:166], off offset:16
	global_load_b128 v[165:168], v[169:170], off
	v_add_co_u32 v53, vcc_lo, 0x80, v53
	s_wait_alu 0xfffd
	v_add_co_ci_u32_e64 v54, null, 0, v54, vcc_lo
	v_add_co_u32 v51, vcc_lo, 0x4000, v51
	s_wait_alu 0xfffd
	v_add_co_ci_u32_e64 v52, null, 0, v52, vcc_lo
	;; [unrolled: 3-line block ×3, first 2 shown]
	v_cmp_ge_i64_e32 vcc_lo, v[53:54], v[43:44]
	s_wait_alu 0xfffe
	s_or_b32 s7, vcc_lo, s7
	s_wait_loadcnt 0x2
	v_fmac_f32_e32 v46, v70, v157
	v_fmac_f32_e32 v58, v78, v157
	;; [unrolled: 1-line block ×9, first 2 shown]
	s_delay_alu instid0(VALU_DEP_4) | instskip(NEXT) | instid1(VALU_DEP_4)
	v_dual_fmac_f32 v59, v85, v158 :: v_dual_fmac_f32 v46, v72, v159
	v_fma_f32 v45, -v78, v158, v63
	s_delay_alu instid0(VALU_DEP_4)
	v_fmac_f32_e32 v58, v80, v159
	v_fma_f32 v63, -v70, v158, v64
	v_fma_f32 v61, -v86, v158, v61
	v_fmac_f32_e32 v46, v71, v160
	v_fmac_f32_e32 v45, v79, v159
	;; [unrolled: 1-line block ×3, first 2 shown]
	v_dual_fmac_f32 v63, v71, v159 :: v_dual_fmac_f32 v62, v93, v157
	v_fmac_f32_e32 v61, v87, v159
	s_delay_alu instid0(VALU_DEP_4)
	v_fma_f32 v45, -v80, v160, v45
	global_load_b128 v[77:80], v[169:170], off offset:16
	v_fma_f32 v63, -v72, v160, v63
	s_clause 0x1
	global_load_b128 v[69:72], v[171:172], off
	global_load_b128 v[169:172], v[171:172], off offset:16
	v_fma_f32 v62, -v94, v158, v62
	v_dual_fmac_f32 v60, v93, v158 :: v_dual_fmac_f32 v59, v88, v159
	s_wait_loadcnt 0x4
	v_fmac_f32_e32 v45, v73, v161
	v_fma_f32 v61, -v88, v160, v61
	v_fmac_f32_e32 v62, v95, v159
	v_dual_fmac_f32 v60, v96, v159 :: v_dual_fmac_f32 v59, v87, v160
	global_load_b128 v[85:88], v[173:174], off offset:16
	v_fma_f32 v45, -v74, v162, v45
	v_fma_f32 v62, -v96, v160, v62
	v_dual_fmac_f32 v60, v95, v160 :: v_dual_fmac_f32 v63, v65, v161
	global_load_b128 v[93:96], v[173:174], off
	v_fmac_f32_e32 v59, v82, v161
	v_fmac_f32_e32 v58, v74, v161
	v_dual_fmac_f32 v46, v66, v161 :: v_dual_fmac_f32 v45, v75, v163
	v_fma_f32 v63, -v66, v162, v63
	s_delay_alu instid0(VALU_DEP_4) | instskip(NEXT) | instid1(VALU_DEP_4)
	v_fmac_f32_e32 v59, v81, v162
	v_fmac_f32_e32 v58, v73, v162
	;; [unrolled: 1-line block ×4, first 2 shown]
	v_fma_f32 v45, -v76, v164, v45
	v_fmac_f32_e32 v59, v84, v163
	v_fmac_f32_e32 v58, v76, v163
	v_fma_f32 v61, -v82, v162, v61
	v_fmac_f32_e32 v60, v90, v161
	v_dual_fmac_f32 v62, v89, v161 :: v_dual_fmac_f32 v63, v67, v163
	v_fmac_f32_e32 v59, v83, v164
	s_delay_alu instid0(VALU_DEP_3) | instskip(SKIP_2) | instid1(VALU_DEP_3)
	v_dual_fmac_f32 v61, v83, v163 :: v_dual_fmac_f32 v60, v89, v162
	s_wait_loadcnt 0x5
	v_dual_fmac_f32 v46, v68, v163 :: v_dual_fmac_f32 v45, v109, v165
	v_dual_fmac_f32 v58, v75, v164 :: v_dual_fmac_f32 v59, v118, v165
	v_fma_f32 v62, -v90, v162, v62
	v_fma_f32 v63, -v68, v164, v63
	s_delay_alu instid0(VALU_DEP_4)
	v_fmac_f32_e32 v46, v67, v164
	v_fma_f32 v61, -v84, v164, v61
	v_fmac_f32_e32 v60, v92, v163
	v_fma_f32 v45, -v110, v166, v45
	v_dual_fmac_f32 v59, v117, v166 :: v_dual_fmac_f32 v62, v91, v163
	v_fmac_f32_e32 v63, v101, v165
	s_delay_alu instid0(VALU_DEP_3) | instskip(SKIP_1) | instid1(VALU_DEP_4)
	v_dual_fmac_f32 v58, v110, v165 :: v_dual_fmac_f32 v45, v111, v167
	v_dual_fmac_f32 v61, v117, v165 :: v_dual_fmac_f32 v60, v91, v164
	v_fmac_f32_e32 v59, v120, v167
	s_delay_alu instid0(VALU_DEP_4) | instskip(NEXT) | instid1(VALU_DEP_4)
	v_fma_f32 v63, -v102, v166, v63
	v_fma_f32 v45, -v112, v168, v45
	;; [unrolled: 1-line block ×3, first 2 shown]
	s_delay_alu instid0(VALU_DEP_4) | instskip(SKIP_4) | instid1(VALU_DEP_3)
	v_dual_fmac_f32 v60, v126, v165 :: v_dual_fmac_f32 v59, v119, v168
	v_fmac_f32_e32 v58, v109, v166
	v_dual_fmac_f32 v46, v102, v165 :: v_dual_fmac_f32 v63, v103, v167
	v_fma_f32 v61, -v118, v166, v61
	v_fmac_f32_e32 v62, v125, v165
	v_fma_f32 v63, -v104, v168, v63
	s_delay_alu instid0(VALU_DEP_3) | instskip(NEXT) | instid1(VALU_DEP_3)
	v_fmac_f32_e32 v61, v119, v167
	v_fma_f32 v62, -v126, v166, v62
	s_delay_alu instid0(VALU_DEP_2) | instskip(SKIP_1) | instid1(VALU_DEP_1)
	v_fma_f32 v61, -v120, v168, v61
	s_wait_loadcnt 0x4
	v_dual_fmac_f32 v62, v127, v167 :: v_dual_fmac_f32 v61, v113, v77
	v_fmac_f32_e32 v45, v105, v77
	v_dual_fmac_f32 v59, v114, v77 :: v_dual_fmac_f32 v58, v112, v167
	v_fmac_f32_e32 v63, v97, v77
	s_delay_alu instid0(VALU_DEP_4) | instskip(NEXT) | instid1(VALU_DEP_4)
	v_fma_f32 v61, -v114, v78, v61
	v_fma_f32 v45, -v106, v78, v45
	v_fmac_f32_e32 v46, v101, v166
	v_fma_f32 v62, -v128, v168, v62
	v_fma_f32 v63, -v98, v78, v63
	s_delay_alu instid0(VALU_DEP_4) | instskip(NEXT) | instid1(VALU_DEP_4)
	v_dual_fmac_f32 v60, v125, v166 :: v_dual_fmac_f32 v45, v107, v79
	v_dual_fmac_f32 v46, v104, v167 :: v_dual_fmac_f32 v59, v113, v78
	v_fmac_f32_e32 v58, v111, v168
	s_delay_alu instid0(VALU_DEP_4) | instskip(NEXT) | instid1(VALU_DEP_4)
	v_fmac_f32_e32 v63, v99, v79
	v_fmac_f32_e32 v60, v128, v167
	;; [unrolled: 1-line block ×3, first 2 shown]
	s_delay_alu instid0(VALU_DEP_4) | instskip(SKIP_2) | instid1(VALU_DEP_4)
	v_dual_fmac_f32 v59, v116, v79 :: v_dual_fmac_f32 v58, v106, v77
	v_fma_f32 v45, -v108, v80, v45
	v_fmac_f32_e32 v46, v103, v168
	v_fma_f32 v61, -v116, v80, v61
	s_delay_alu instid0(VALU_DEP_4)
	v_dual_fmac_f32 v59, v115, v80 :: v_dual_fmac_f32 v58, v105, v78
	s_wait_loadcnt 0x3
	v_fmac_f32_e32 v45, v129, v69
	v_fmac_f32_e32 v46, v98, v77
	;; [unrolled: 1-line block ×3, first 2 shown]
	v_dual_fmac_f32 v59, v33, v69 :: v_dual_fmac_f32 v58, v108, v79
	v_fmac_f32_e32 v62, v121, v77
	v_fma_f32 v63, -v100, v80, v63
	s_delay_alu instid0(VALU_DEP_3) | instskip(SKIP_2) | instid1(VALU_DEP_4)
	v_dual_fmac_f32 v60, v127, v168 :: v_dual_fmac_f32 v59, v32, v70
	v_fmac_f32_e32 v46, v97, v78
	v_fma_f32 v45, -v130, v70, v45
	v_fmac_f32_e32 v63, v28, v69
	s_delay_alu instid0(VALU_DEP_4) | instskip(NEXT) | instid1(VALU_DEP_4)
	v_dual_fmac_f32 v60, v122, v77 :: v_dual_fmac_f32 v59, v35, v71
	v_fmac_f32_e32 v46, v100, v79
	v_fma_f32 v33, -v33, v70, v61
	s_delay_alu instid0(VALU_DEP_3) | instskip(NEXT) | instid1(VALU_DEP_4)
	v_dual_fmac_f32 v45, v131, v71 :: v_dual_fmac_f32 v60, v121, v78
	v_fmac_f32_e32 v59, v34, v72
	v_fma_f32 v62, -v122, v78, v62
	s_delay_alu instid0(VALU_DEP_4) | instskip(NEXT) | instid1(VALU_DEP_4)
	v_fmac_f32_e32 v33, v34, v71
	v_fma_f32 v32, -v132, v72, v45
	s_wait_loadcnt 0x2
	v_dual_fmac_f32 v60, v124, v79 :: v_dual_fmac_f32 v59, v13, v169
	v_fmac_f32_e32 v58, v107, v80
	s_delay_alu instid0(VALU_DEP_3) | instskip(NEXT) | instid1(VALU_DEP_2)
	v_fmac_f32_e32 v32, v16, v169
	v_dual_fmac_f32 v59, v12, v170 :: v_dual_fmac_f32 v58, v130, v69
	s_delay_alu instid0(VALU_DEP_1) | instskip(NEXT) | instid1(VALU_DEP_1)
	v_dual_fmac_f32 v59, v15, v171 :: v_dual_fmac_f32 v58, v129, v70
	v_dual_fmac_f32 v59, v14, v172 :: v_dual_fmac_f32 v58, v132, v71
	s_wait_loadcnt 0x0
	s_delay_alu instid0(VALU_DEP_1) | instskip(NEXT) | instid1(VALU_DEP_1)
	v_dual_fmac_f32 v59, v146, v93 :: v_dual_fmac_f32 v58, v131, v72
	v_fmac_f32_e32 v59, v145, v94
	s_delay_alu instid0(VALU_DEP_2) | instskip(SKIP_1) | instid1(VALU_DEP_3)
	v_fmac_f32_e32 v58, v17, v169
	v_fma_f32 v17, -v17, v170, v32
	v_dual_fmac_f32 v46, v99, v80 :: v_dual_fmac_f32 v59, v148, v95
	s_delay_alu instid0(VALU_DEP_2) | instskip(NEXT) | instid1(VALU_DEP_2)
	v_dual_fmac_f32 v58, v16, v170 :: v_dual_fmac_f32 v17, v18, v171
	v_fmac_f32_e32 v46, v29, v69
	v_fma_f32 v29, -v29, v70, v63
	s_delay_alu instid0(VALU_DEP_4) | instskip(NEXT) | instid1(VALU_DEP_4)
	v_fmac_f32_e32 v59, v147, v96
	v_fmac_f32_e32 v58, v19, v171
	s_delay_alu instid0(VALU_DEP_3) | instskip(NEXT) | instid1(VALU_DEP_3)
	v_dual_fmac_f32 v46, v28, v70 :: v_dual_fmac_f32 v29, v30, v71
	v_fmac_f32_e32 v59, v142, v85
	s_delay_alu instid0(VALU_DEP_3) | instskip(NEXT) | instid1(VALU_DEP_3)
	v_fmac_f32_e32 v58, v18, v172
	v_fmac_f32_e32 v46, v31, v71
	s_delay_alu instid0(VALU_DEP_4) | instskip(NEXT) | instid1(VALU_DEP_4)
	v_fma_f32 v29, -v31, v72, v29
	v_dual_fmac_f32 v62, v123, v79 :: v_dual_fmac_f32 v59, v141, v86
	s_delay_alu instid0(VALU_DEP_4) | instskip(NEXT) | instid1(VALU_DEP_3)
	v_fmac_f32_e32 v58, v138, v93
	v_dual_fmac_f32 v46, v30, v72 :: v_dual_fmac_f32 v29, v8, v169
	s_delay_alu instid0(VALU_DEP_3) | instskip(SKIP_1) | instid1(VALU_DEP_3)
	v_fma_f32 v62, -v124, v80, v62
	v_fma_f32 v30, -v35, v72, v33
	v_dual_fmac_f32 v59, v144, v87 :: v_dual_fmac_f32 v46, v9, v169
	s_delay_alu instid0(VALU_DEP_4) | instskip(NEXT) | instid1(VALU_DEP_4)
	v_fma_f32 v9, -v9, v170, v29
	v_fmac_f32_e32 v62, v133, v69
	v_fmac_f32_e32 v60, v123, v80
	;; [unrolled: 1-line block ×3, first 2 shown]
	v_fma_f32 v12, -v19, v172, v17
	v_dual_fmac_f32 v9, v10, v171 :: v_dual_fmac_f32 v46, v8, v170
	s_delay_alu instid0(VALU_DEP_4) | instskip(SKIP_1) | instid1(VALU_DEP_4)
	v_fmac_f32_e32 v60, v134, v69
	v_fma_f32 v28, -v134, v70, v62
	v_fmac_f32_e32 v12, v137, v93
	s_delay_alu instid0(VALU_DEP_4)
	v_fma_f32 v9, -v11, v172, v9
	v_fmac_f32_e32 v46, v11, v171
	v_fma_f32 v13, -v13, v170, v30
	v_fmac_f32_e32 v58, v137, v94
	v_fma_f32 v11, -v138, v94, v12
	v_dual_fmac_f32 v9, v20, v93 :: v_dual_fmac_f32 v60, v133, v70
	s_delay_alu instid0(VALU_DEP_4) | instskip(NEXT) | instid1(VALU_DEP_3)
	v_fmac_f32_e32 v13, v14, v171
	v_dual_fmac_f32 v46, v10, v172 :: v_dual_fmac_f32 v11, v139, v95
	s_delay_alu instid0(VALU_DEP_3) | instskip(NEXT) | instid1(VALU_DEP_4)
	v_fma_f32 v9, -v21, v94, v9
	v_fmac_f32_e32 v60, v136, v71
	s_delay_alu instid0(VALU_DEP_4) | instskip(NEXT) | instid1(VALU_DEP_4)
	v_fma_f32 v10, -v15, v172, v13
	v_fmac_f32_e32 v46, v21, v93
	v_fma_f32 v11, -v140, v96, v11
	s_delay_alu instid0(VALU_DEP_4) | instskip(NEXT) | instid1(VALU_DEP_4)
	v_dual_fmac_f32 v9, v22, v95 :: v_dual_fmac_f32 v60, v135, v72
	v_fmac_f32_e32 v10, v145, v93
	s_delay_alu instid0(VALU_DEP_4) | instskip(NEXT) | instid1(VALU_DEP_4)
	v_fmac_f32_e32 v46, v20, v94
	v_fmac_f32_e32 v11, v4, v85
	s_delay_alu instid0(VALU_DEP_4) | instskip(SKIP_3) | instid1(VALU_DEP_4)
	v_fma_f32 v9, -v23, v96, v9
	v_fmac_f32_e32 v28, v135, v71
	v_fmac_f32_e32 v60, v25, v169
	v_fma_f32 v10, -v146, v94, v10
	v_dual_fmac_f32 v46, v23, v95 :: v_dual_fmac_f32 v9, v0, v85
	s_delay_alu instid0(VALU_DEP_4) | instskip(NEXT) | instid1(VALU_DEP_4)
	v_fma_f32 v28, -v136, v72, v28
	v_fmac_f32_e32 v60, v24, v170
	v_fmac_f32_e32 v58, v140, v95
	;; [unrolled: 1-line block ×4, first 2 shown]
	v_dual_fmac_f32 v28, v24, v169 :: v_dual_fmac_f32 v59, v143, v88
	v_fmac_f32_e32 v60, v27, v171
	v_fmac_f32_e32 v58, v139, v96
	v_fma_f32 v10, -v148, v96, v10
	v_fmac_f32_e32 v46, v1, v85
	v_fma_f32 v1, -v1, v86, v9
	;; [unrolled: 2-line block ×3, first 2 shown]
	v_fmac_f32_e32 v58, v5, v85
	v_fmac_f32_e32 v10, v141, v85
	v_fma_f32 v5, -v5, v86, v11
	v_fmac_f32_e32 v60, v150, v93
	v_dual_fmac_f32 v46, v0, v86 :: v_dual_fmac_f32 v1, v2, v87
	v_fmac_f32_e32 v8, v26, v171
	v_fmac_f32_e32 v58, v4, v86
	s_delay_alu instid0(VALU_DEP_4)
	v_fmac_f32_e32 v60, v149, v94
	v_fma_f32 v4, -v142, v86, v10
	v_fmac_f32_e32 v5, v6, v87
	v_fmac_f32_e32 v46, v3, v87
	v_fma_f32 v64, -v3, v88, v1
	v_fma_f32 v8, -v27, v172, v8
	v_fmac_f32_e32 v60, v152, v95
	v_fmac_f32_e32 v58, v7, v87
	;; [unrolled: 1-line block ×3, first 2 shown]
	v_fma_f32 v63, -v7, v88, v5
	v_fmac_f32_e32 v8, v149, v93
	v_fmac_f32_e32 v60, v151, v96
	v_fmac_f32_e32 v58, v6, v88
	v_fmac_f32_e32 v46, v2, v88
	v_fma_f32 v61, -v144, v88, v4
	v_fma_f32 v8, -v150, v94, v8
	v_fmac_f32_e32 v60, v154, v85
	s_delay_alu instid0(VALU_DEP_2) | instskip(NEXT) | instid1(VALU_DEP_2)
	v_fmac_f32_e32 v8, v151, v95
	v_fmac_f32_e32 v60, v153, v86
	s_delay_alu instid0(VALU_DEP_2) | instskip(NEXT) | instid1(VALU_DEP_2)
	v_fma_f32 v8, -v152, v96, v8
	v_fmac_f32_e32 v60, v156, v87
	s_delay_alu instid0(VALU_DEP_2) | instskip(NEXT) | instid1(VALU_DEP_2)
	v_fmac_f32_e32 v8, v153, v85
	v_fmac_f32_e32 v60, v155, v88
	s_delay_alu instid0(VALU_DEP_2) | instskip(NEXT) | instid1(VALU_DEP_1)
	v_fma_f32 v0, -v154, v86, v8
	v_fmac_f32_e32 v0, v155, v87
	s_delay_alu instid0(VALU_DEP_1)
	v_fma_f32 v62, -v156, v88, v0
	s_wait_alu 0xfffe
	s_and_not1_b32 exec_lo, exec_lo, s7
	s_cbranch_execnz .LBB33_19
; %bb.20:
	s_or_b32 exec_lo, exec_lo, s7
.LBB33_21:
	s_wait_alu 0xfffe
	s_or_b32 exec_lo, exec_lo, s6
.LBB33_22:
	s_wait_alu 0xfffe
	s_or_b32 exec_lo, exec_lo, s3
	s_cbranch_execz .LBB33_24
	s_branch .LBB33_35
.LBB33_23:
                                        ; implicit-def: $vgpr58
                                        ; implicit-def: $vgpr63
                                        ; implicit-def: $vgpr61
                                        ; implicit-def: $vgpr59
                                        ; implicit-def: $vgpr62
                                        ; implicit-def: $vgpr60
                                        ; implicit-def: $vgpr64
                                        ; implicit-def: $vgpr46
.LBB33_24:
	v_dual_mov_b32 v58, 0 :: v_dual_mov_b32 v63, 0
	v_dual_mov_b32 v61, 0 :: v_dual_mov_b32 v62, 0
	;; [unrolled: 1-line block ×3, first 2 shown]
	v_mov_b32_e32 v64, 0
	v_mov_b32_e32 v46, 0
	s_and_saveexec_b32 s3, s2
	s_cbranch_execz .LBB33_34
; %bb.25:
	v_or_b32_e32 v0, 32, v57
	v_not_b32_e32 v3, v49
	v_not_b32_e32 v2, v50
	s_delay_alu instid0(VALU_DEP_3) | instskip(SKIP_3) | instid1(VALU_DEP_3)
	v_sub_co_u32 v0, s2, v0, s12
	s_wait_alu 0xf1ff
	v_sub_co_ci_u32_e64 v1, null, 0, 0, s2
	v_sub_co_u32 v4, s2, s12, v57
	v_add_co_u32 v0, vcc_lo, v0, v49
	s_wait_alu 0xfffd
	s_delay_alu instid0(VALU_DEP_3) | instskip(SKIP_3) | instid1(VALU_DEP_3)
	v_add_co_ci_u32_e64 v1, null, v1, v50, vcc_lo
	s_wait_alu 0xf1ff
	v_sub_co_ci_u32_e64 v5, null, 0, 0, s2
	v_add_co_u32 v3, s2, v4, v3
	v_cmp_gt_i64_e32 vcc_lo, v[0:1], v[43:44]
	s_wait_alu 0xf1ff
	s_delay_alu instid0(VALU_DEP_3) | instskip(SKIP_3) | instid1(VALU_DEP_1)
	v_add_co_ci_u32_e64 v2, null, v5, v2, s2
	s_mov_b32 s2, exec_lo
	s_wait_alu 0xfffd
	v_dual_cndmask_b32 v1, v44, v1 :: v_dual_cndmask_b32 v0, v43, v0
	v_add_co_u32 v0, vcc_lo, v3, v0
	v_mov_b32_e32 v46, 0
	s_wait_alu 0xfffd
	s_delay_alu instid0(VALU_DEP_3) | instskip(NEXT) | instid1(VALU_DEP_2)
	v_add_co_ci_u32_e64 v1, null, v2, v1, vcc_lo
	v_dual_mov_b32 v64, v46 :: v_dual_and_b32 v45, 0x60, v0
	v_dual_mov_b32 v59, v46 :: v_dual_mov_b32 v60, v46
	v_dual_mov_b32 v61, v46 :: v_dual_mov_b32 v62, v46
	;; [unrolled: 1-line block ×3, first 2 shown]
	s_delay_alu instid0(VALU_DEP_4)
	v_cmpx_ne_u64_e32 0x60, v[45:46]
	s_cbranch_execz .LBB33_29
; %bb.26:
	v_lshrrev_b32_e32 v2, 5, v0
	v_dual_mov_b32 v58, 0 :: v_dual_mov_b32 v63, 0
	v_mov_b32_e32 v62, 0
	v_mov_b32_e32 v60, 0
	s_delay_alu instid0(VALU_DEP_4) | instskip(SKIP_2) | instid1(VALU_DEP_3)
	v_dual_mov_b32 v61, 0 :: v_dual_add_nc_u32 v4, 1, v2
	v_lshlrev_b64_e32 v[2:3], 2, v[41:42]
	v_dual_mov_b32 v59, 0 :: v_dual_mov_b32 v64, 0
	v_and_b32_e32 v4, 3, v4
	v_mov_b32_e32 v46, 0
	s_delay_alu instid0(VALU_DEP_4) | instskip(NEXT) | instid1(VALU_DEP_3)
	v_add_co_u32 v2, vcc_lo, s8, v2
	v_sub_co_u32 v4, s6, 0, v4
	s_wait_alu 0xfffd
	v_add_co_ci_u32_e64 v3, null, s9, v3, vcc_lo
	s_wait_alu 0xf1ff
	v_sub_co_ci_u32_e64 v5, null, 0, 0, s6
	s_mov_b32 s6, 0
.LBB33_27:                              ; =>This Inner Loop Header: Depth=1
	global_load_b32 v18, v[2:3], off
	s_clause 0x2
	global_load_b128 v[6:9], v[47:48], off offset:32
	global_load_b128 v[10:13], v[47:48], off offset:16
	global_load_b128 v[14:17], v[47:48], off
	s_wait_loadcnt 0x3
	v_subrev_nc_u32_e32 v18, s12, v18
	s_delay_alu instid0(VALU_DEP_1) | instskip(NEXT) | instid1(VALU_DEP_1)
	v_lshlrev_b32_e32 v18, 2, v18
	v_ashrrev_i32_e32 v19, 31, v18
	s_delay_alu instid0(VALU_DEP_1) | instskip(SKIP_1) | instid1(VALU_DEP_1)
	v_lshlrev_b64_e32 v[18:19], 3, v[18:19]
	s_wait_kmcnt 0x0
	v_add_co_u32 v22, vcc_lo, s4, v18
	s_wait_alu 0xfffd
	s_delay_alu instid0(VALU_DEP_2)
	v_add_co_ci_u32_e64 v23, null, s5, v19, vcc_lo
	s_clause 0x1
	global_load_b128 v[18:21], v[22:23], off
	global_load_b128 v[22:25], v[22:23], off offset:16
	s_clause 0x4
	global_load_b128 v[26:29], v[47:48], off offset:48
	global_load_b128 v[30:33], v[47:48], off offset:64
	;; [unrolled: 1-line block ×5, first 2 shown]
	v_add_co_u32 v47, vcc_lo, 0x1000, v47
	s_wait_alu 0xfffd
	v_add_co_ci_u32_e64 v48, null, 0, v48, vcc_lo
	v_add_co_u32 v41, vcc_lo, v41, 32
	s_wait_alu 0xfffd
	v_add_co_ci_u32_e64 v42, null, 0, v42, vcc_lo
	;; [unrolled: 3-line block ×4, first 2 shown]
	s_delay_alu instid0(VALU_DEP_3) | instskip(SKIP_4) | instid1(VALU_DEP_1)
	v_cmp_eq_u64_e32 vcc_lo, 0, v[4:5]
	s_wait_alu 0xfffe
	s_or_b32 s6, vcc_lo, s6
	s_wait_loadcnt 0x6
	v_fmac_f32_e32 v59, v13, v18
	v_dual_fmac_f32 v58, v15, v18 :: v_dual_fmac_f32 v59, v12, v19
	s_wait_loadcnt 0x4
	s_delay_alu instid0(VALU_DEP_1) | instskip(NEXT) | instid1(VALU_DEP_1)
	v_dual_fmac_f32 v62, v10, v18 :: v_dual_fmac_f32 v59, v29, v20
	v_dual_fmac_f32 v46, v17, v18 :: v_dual_fmac_f32 v59, v28, v21
	s_delay_alu instid0(VALU_DEP_1) | instskip(SKIP_1) | instid1(VALU_DEP_2)
	v_dual_fmac_f32 v63, v14, v18 :: v_dual_fmac_f32 v46, v16, v19
	s_wait_loadcnt 0x2
	v_fmac_f32_e32 v59, v52, v22
	s_delay_alu instid0(VALU_DEP_2) | instskip(NEXT) | instid1(VALU_DEP_2)
	v_fma_f32 v15, -v15, v19, v63
	v_dual_fmac_f32 v46, v9, v20 :: v_dual_fmac_f32 v59, v51, v23
	s_delay_alu instid0(VALU_DEP_2) | instskip(SKIP_1) | instid1(VALU_DEP_3)
	v_fmac_f32_e32 v15, v6, v20
	v_dual_fmac_f32 v61, v12, v18 :: v_dual_fmac_f32 v58, v14, v19
	v_fmac_f32_e32 v46, v8, v21
	s_wait_loadcnt 0x0
	v_fmac_f32_e32 v59, v68, v24
	s_delay_alu instid0(VALU_DEP_3) | instskip(SKIP_1) | instid1(VALU_DEP_3)
	v_fmac_f32_e32 v58, v7, v20
	v_fma_f32 v7, -v7, v21, v15
	v_dual_fmac_f32 v46, v33, v22 :: v_dual_fmac_f32 v59, v67, v25
	s_delay_alu instid0(VALU_DEP_2) | instskip(NEXT) | instid1(VALU_DEP_4)
	v_fmac_f32_e32 v7, v30, v22
	v_fmac_f32_e32 v58, v6, v21
	s_delay_alu instid0(VALU_DEP_3) | instskip(NEXT) | instid1(VALU_DEP_3)
	v_fmac_f32_e32 v46, v32, v23
	v_fma_f32 v7, -v31, v23, v7
	v_fmac_f32_e32 v60, v11, v18
	v_fma_f32 v11, -v11, v19, v62
	v_fmac_f32_e32 v64, v16, v18
	v_fmac_f32_e32 v46, v56, v24
	s_delay_alu instid0(VALU_DEP_4) | instskip(SKIP_3) | instid1(VALU_DEP_4)
	v_dual_fmac_f32 v7, v53, v24 :: v_dual_fmac_f32 v60, v10, v19
	v_fma_f32 v10, -v13, v19, v61
	v_fmac_f32_e32 v11, v26, v20
	v_fma_f32 v14, -v17, v19, v64
	v_fma_f32 v63, -v54, v25, v7
	v_fmac_f32_e32 v60, v27, v20
	v_fmac_f32_e32 v10, v28, v20
	;; [unrolled: 1-line block ×4, first 2 shown]
	v_fma_f32 v8, -v27, v21, v11
	v_fmac_f32_e32 v60, v26, v21
	s_delay_alu instid0(VALU_DEP_3) | instskip(SKIP_1) | instid1(VALU_DEP_4)
	v_fma_f32 v6, -v9, v21, v14
	v_fma_f32 v9, -v29, v21, v10
	v_fmac_f32_e32 v8, v49, v22
	s_delay_alu instid0(VALU_DEP_4) | instskip(NEXT) | instid1(VALU_DEP_4)
	v_fmac_f32_e32 v60, v50, v22
	v_fmac_f32_e32 v6, v32, v22
	s_delay_alu instid0(VALU_DEP_4) | instskip(NEXT) | instid1(VALU_DEP_4)
	v_fmac_f32_e32 v9, v51, v22
	v_fma_f32 v8, -v50, v23, v8
	s_delay_alu instid0(VALU_DEP_4) | instskip(NEXT) | instid1(VALU_DEP_4)
	v_fmac_f32_e32 v60, v49, v23
	v_fma_f32 v6, -v33, v23, v6
	s_delay_alu instid0(VALU_DEP_4) | instskip(NEXT) | instid1(VALU_DEP_4)
	v_fma_f32 v9, -v52, v23, v9
	v_fmac_f32_e32 v8, v65, v24
	s_delay_alu instid0(VALU_DEP_4) | instskip(NEXT) | instid1(VALU_DEP_4)
	v_fmac_f32_e32 v60, v66, v24
	v_fmac_f32_e32 v6, v55, v24
	s_delay_alu instid0(VALU_DEP_4)
	v_fmac_f32_e32 v9, v67, v24
	v_fmac_f32_e32 v58, v31, v22
	v_fma_f32 v62, -v66, v25, v8
	v_fmac_f32_e32 v60, v65, v25
	v_fma_f32 v64, -v56, v25, v6
	v_fma_f32 v61, -v68, v25, v9
	v_fmac_f32_e32 v58, v30, v23
	s_delay_alu instid0(VALU_DEP_1) | instskip(NEXT) | instid1(VALU_DEP_1)
	v_fmac_f32_e32 v58, v54, v24
	v_fmac_f32_e32 v58, v53, v25
	s_wait_alu 0xfffe
	s_and_not1_b32 exec_lo, exec_lo, s6
	s_cbranch_execnz .LBB33_27
; %bb.28:
	s_or_b32 exec_lo, exec_lo, s6
.LBB33_29:
	s_wait_alu 0xfffe
	s_or_b32 exec_lo, exec_lo, s2
	s_delay_alu instid0(SALU_CYCLE_1)
	s_mov_b32 s2, exec_lo
	v_cmpx_lt_u64_e32 0x5f, v[0:1]
	s_cbranch_execz .LBB33_33
; %bb.30:
	v_lshlrev_b64_e32 v[0:1], 2, v[41:42]
	s_mov_b32 s6, 0
	s_delay_alu instid0(VALU_DEP_1) | instskip(SKIP_1) | instid1(VALU_DEP_2)
	v_add_co_u32 v0, vcc_lo, s8, v0
	s_wait_alu 0xfffd
	v_add_co_ci_u32_e64 v1, null, s9, v1, vcc_lo
	s_delay_alu instid0(VALU_DEP_2) | instskip(SKIP_1) | instid1(VALU_DEP_2)
	v_add_co_u32 v4, vcc_lo, 0x100, v0
	s_wait_alu 0xfffd
	v_add_co_ci_u32_e64 v5, null, 0, v1, vcc_lo
.LBB33_31:                              ; =>This Inner Loop Header: Depth=1
	s_clause 0x3
	global_load_b32 v6, v[4:5], off offset:-256
	global_load_b32 v35, v[4:5], off offset:-128
	global_load_b32 v45, v[4:5], off
	global_load_b32 v133, v[4:5], off offset:128
	s_clause 0x1a
	global_load_b128 v[7:10], v[47:48], off offset:48
	global_load_b128 v[11:14], v[47:48], off offset:32
	;; [unrolled: 1-line block ×3, first 2 shown]
	global_load_b128 v[19:22], v[47:48], off
	global_load_b128 v[23:26], v[47:48], off offset:112
	global_load_b128 v[27:30], v[47:48], off offset:96
	;; [unrolled: 1-line block ×23, first 2 shown]
	s_wait_loadcnt 0x1e
	v_subrev_nc_u32_e32 v6, s12, v6
	s_wait_loadcnt 0x1d
	v_subrev_nc_u32_e32 v35, s12, v35
	;; [unrolled: 2-line block ×4, first 2 shown]
	v_lshlrev_b32_e32 v133, 2, v6
	v_lshlrev_b32_e32 v135, 2, v35
	;; [unrolled: 1-line block ×3, first 2 shown]
	s_delay_alu instid0(VALU_DEP_4) | instskip(NEXT) | instid1(VALU_DEP_4)
	v_lshlrev_b32_e32 v139, 2, v134
	v_ashrrev_i32_e32 v134, 31, v133
	s_delay_alu instid0(VALU_DEP_4) | instskip(NEXT) | instid1(VALU_DEP_4)
	v_ashrrev_i32_e32 v136, 31, v135
	v_ashrrev_i32_e32 v138, 31, v137
	s_delay_alu instid0(VALU_DEP_4) | instskip(NEXT) | instid1(VALU_DEP_4)
	v_ashrrev_i32_e32 v140, 31, v139
	v_lshlrev_b64_e32 v[133:134], 3, v[133:134]
	s_delay_alu instid0(VALU_DEP_4) | instskip(NEXT) | instid1(VALU_DEP_4)
	v_lshlrev_b64_e32 v[135:136], 3, v[135:136]
	v_lshlrev_b64_e32 v[137:138], 3, v[137:138]
	s_delay_alu instid0(VALU_DEP_4) | instskip(SKIP_1) | instid1(VALU_DEP_4)
	v_lshlrev_b64_e32 v[139:140], 3, v[139:140]
	s_wait_kmcnt 0x0
	v_add_co_u32 v141, vcc_lo, s4, v133
	s_wait_alu 0xfffd
	v_add_co_ci_u32_e64 v142, null, s5, v134, vcc_lo
	v_add_co_u32 v143, vcc_lo, s4, v135
	s_wait_alu 0xfffd
	v_add_co_ci_u32_e64 v144, null, s5, v136, vcc_lo
	;; [unrolled: 3-line block ×4, first 2 shown]
	s_clause 0x1
	global_load_b128 v[133:136], v[141:142], off
	global_load_b128 v[137:140], v[141:142], off offset:16
	s_wait_loadcnt 0x1
	v_fmac_f32_e32 v58, v20, v133
	v_fmac_f32_e32 v64, v21, v133
	s_delay_alu instid0(VALU_DEP_2) | instskip(NEXT) | instid1(VALU_DEP_2)
	v_dual_fmac_f32 v58, v19, v134 :: v_dual_fmac_f32 v59, v18, v133
	v_fma_f32 v35, -v22, v134, v64
	v_fmac_f32_e32 v62, v15, v133
	s_delay_alu instid0(VALU_DEP_3) | instskip(NEXT) | instid1(VALU_DEP_4)
	v_fmac_f32_e32 v58, v12, v135
	v_dual_fmac_f32 v46, v22, v133 :: v_dual_fmac_f32 v59, v17, v134
	v_fmac_f32_e32 v63, v19, v133
	v_fmac_f32_e32 v35, v13, v135
	v_fma_f32 v45, -v16, v134, v62
	s_delay_alu instid0(VALU_DEP_4)
	v_fmac_f32_e32 v46, v21, v134
	v_fmac_f32_e32 v60, v16, v133
	v_fma_f32 v6, -v20, v134, v63
	global_load_b128 v[19:22], v[47:48], off offset:12288
	v_fmac_f32_e32 v45, v7, v135
	v_dual_fmac_f32 v61, v17, v133 :: v_dual_fmac_f32 v60, v15, v134
	v_fmac_f32_e32 v6, v11, v135
	v_fma_f32 v35, -v14, v136, v35
	s_delay_alu instid0(VALU_DEP_4) | instskip(NEXT) | instid1(VALU_DEP_4)
	v_fma_f32 v45, -v8, v136, v45
	v_fma_f32 v61, -v18, v134, v61
	v_fmac_f32_e32 v58, v11, v136
	v_fma_f32 v133, -v12, v136, v6
	v_fmac_f32_e32 v60, v8, v135
	global_load_b128 v[15:18], v[47:48], off offset:12368
	v_fmac_f32_e32 v61, v9, v135
	s_wait_loadcnt 0x2
	v_fmac_f32_e32 v35, v51, v137
	v_fmac_f32_e32 v133, v49, v137
	v_dual_fmac_f32 v59, v10, v135 :: v_dual_fmac_f32 v60, v7, v136
	v_fmac_f32_e32 v46, v14, v135
	v_fma_f32 v10, -v10, v136, v61
	s_delay_alu instid0(VALU_DEP_4) | instskip(NEXT) | instid1(VALU_DEP_4)
	v_fma_f32 v141, -v50, v138, v133
	v_fmac_f32_e32 v59, v9, v136
	v_fma_f32 v35, -v52, v138, v35
	v_fmac_f32_e32 v46, v13, v136
	global_load_b128 v[11:14], v[47:48], off offset:12352
	s_clause 0x1
	global_load_b128 v[6:9], v[143:144], off
	global_load_b128 v[61:64], v[143:144], off offset:16
	v_fmac_f32_e32 v59, v34, v137
	v_fmac_f32_e32 v58, v50, v137
	v_dual_fmac_f32 v46, v52, v137 :: v_dual_fmac_f32 v141, v27, v139
	v_fmac_f32_e32 v45, v31, v137
	s_delay_alu instid0(VALU_DEP_4) | instskip(NEXT) | instid1(VALU_DEP_4)
	v_fmac_f32_e32 v59, v33, v138
	v_fmac_f32_e32 v58, v49, v138
	s_delay_alu instid0(VALU_DEP_4)
	v_fmac_f32_e32 v46, v51, v138
	s_clause 0x1
	global_load_b128 v[49:52], v[145:146], off
	global_load_b128 v[133:136], v[145:146], off offset:16
	v_dual_fmac_f32 v60, v32, v137 :: v_dual_fmac_f32 v35, v29, v139
	v_fma_f32 v45, -v32, v138, v45
	v_dual_fmac_f32 v10, v33, v137 :: v_dual_fmac_f32 v59, v26, v139
	s_delay_alu instid0(VALU_DEP_3) | instskip(SKIP_1) | instid1(VALU_DEP_4)
	v_fmac_f32_e32 v60, v31, v138
	v_fmac_f32_e32 v58, v28, v139
	;; [unrolled: 1-line block ×3, first 2 shown]
	s_delay_alu instid0(VALU_DEP_4)
	v_fma_f32 v10, -v34, v138, v10
	global_load_b128 v[31:34], v[147:148], off
	v_fmac_f32_e32 v59, v25, v140
	v_fma_f32 v141, -v28, v140, v141
	v_fmac_f32_e32 v46, v30, v139
	v_fma_f32 v35, -v30, v140, v35
	;; [unrolled: 2-line block ×3, first 2 shown]
	s_wait_loadcnt 0x4
	s_delay_alu instid0(VALU_DEP_1)
	v_dual_fmac_f32 v58, v27, v140 :: v_dual_fmac_f32 v45, v69, v6
	v_fmac_f32_e32 v59, v72, v6
	v_fma_f32 v10, -v26, v140, v10
	v_fmac_f32_e32 v141, v73, v6
	v_dual_fmac_f32 v46, v29, v140 :: v_dual_fmac_f32 v35, v75, v6
	global_load_b128 v[27:30], v[147:148], off offset:16
	v_dual_fmac_f32 v58, v74, v6 :: v_dual_fmac_f32 v59, v71, v7
	v_fmac_f32_e32 v10, v71, v6
	v_fma_f32 v35, -v76, v7, v35
	v_fmac_f32_e32 v60, v24, v139
	v_fma_f32 v45, -v70, v7, v45
	v_dual_fmac_f32 v59, v56, v8 :: v_dual_fmac_f32 v58, v73, v7
	s_delay_alu instid0(VALU_DEP_4) | instskip(NEXT) | instid1(VALU_DEP_3)
	v_dual_fmac_f32 v35, v67, v8 :: v_dual_fmac_f32 v46, v76, v6
	v_fmac_f32_e32 v45, v53, v8
	s_delay_alu instid0(VALU_DEP_3)
	v_fmac_f32_e32 v59, v55, v9
	v_fmac_f32_e32 v60, v23, v140
	s_clause 0x1
	global_load_b128 v[23:26], v[47:48], off offset:12384
	global_load_b128 v[137:140], v[47:48], off offset:12400
	v_fmac_f32_e32 v58, v66, v8
	v_fma_f32 v10, -v72, v7, v10
	s_wait_loadcnt 0x6
	v_dual_fmac_f32 v59, v88, v61 :: v_dual_fmac_f32 v60, v70, v6
	v_fma_f32 v6, -v74, v7, v141
	v_add_co_u32 v47, vcc_lo, 0x4000, v47
	s_delay_alu instid0(VALU_DEP_3) | instskip(SKIP_3) | instid1(VALU_DEP_3)
	v_dual_fmac_f32 v59, v87, v62 :: v_dual_fmac_f32 v60, v69, v7
	s_wait_alu 0xfffd
	v_add_co_ci_u32_e64 v48, null, 0, v48, vcc_lo
	v_add_co_u32 v41, vcc_lo, 0x80, v41
	v_dual_fmac_f32 v60, v54, v8 :: v_dual_fmac_f32 v59, v80, v63
	v_fmac_f32_e32 v58, v65, v9
	s_wait_alu 0xfffd
	v_add_co_ci_u32_e64 v42, null, 0, v42, vcc_lo
	v_add_co_u32 v4, vcc_lo, 0x200, v4
	v_fmac_f32_e32 v59, v79, v64
	v_fmac_f32_e32 v46, v75, v7
	v_fma_f32 v7, -v68, v9, v35
	s_wait_alu 0xfffd
	v_add_co_ci_u32_e64 v5, null, 0, v5, vcc_lo
	s_wait_loadcnt 0x5
	v_fmac_f32_e32 v59, v104, v49
	v_fmac_f32_e32 v60, v53, v9
	;; [unrolled: 1-line block ×3, first 2 shown]
	v_cmp_ge_i64_e32 vcc_lo, v[41:42], v[43:44]
	s_delay_alu instid0(VALU_DEP_4) | instskip(SKIP_1) | instid1(VALU_DEP_4)
	v_fmac_f32_e32 v59, v103, v50
	v_fmac_f32_e32 v10, v55, v8
	v_fma_f32 v7, -v92, v62, v7
	v_fmac_f32_e32 v6, v65, v8
	s_wait_alu 0xfffe
	s_or_b32 s6, vcc_lo, s6
	v_fmac_f32_e32 v59, v96, v51
	v_fma_f32 v10, -v56, v9, v10
	v_fmac_f32_e32 v7, v83, v63
	v_fma_f32 v6, -v66, v9, v6
	s_delay_alu instid0(VALU_DEP_4) | instskip(NEXT) | instid1(VALU_DEP_4)
	v_fmac_f32_e32 v59, v95, v52
	v_fmac_f32_e32 v10, v87, v61
	s_delay_alu instid0(VALU_DEP_4)
	v_fma_f32 v7, -v84, v64, v7
	v_fmac_f32_e32 v46, v68, v8
	v_fma_f32 v8, -v54, v9, v45
	s_wait_loadcnt 0x4
	v_fmac_f32_e32 v59, v116, v133
	v_fmac_f32_e32 v7, v107, v49
	v_fmac_f32_e32 v46, v67, v9
	v_fma_f32 v9, -v88, v62, v10
	s_delay_alu instid0(VALU_DEP_4) | instskip(NEXT) | instid1(VALU_DEP_4)
	v_dual_fmac_f32 v8, v85, v61 :: v_dual_fmac_f32 v59, v115, v134
	v_fma_f32 v7, -v108, v50, v7
	s_delay_alu instid0(VALU_DEP_3) | instskip(NEXT) | instid1(VALU_DEP_3)
	v_dual_fmac_f32 v6, v89, v61 :: v_dual_fmac_f32 v9, v79, v63
	v_fma_f32 v8, -v86, v62, v8
	s_delay_alu instid0(VALU_DEP_4) | instskip(NEXT) | instid1(VALU_DEP_4)
	v_fmac_f32_e32 v59, v3, v135
	v_fmac_f32_e32 v7, v99, v51
	s_delay_alu instid0(VALU_DEP_4) | instskip(SKIP_1) | instid1(VALU_DEP_4)
	v_fma_f32 v6, -v90, v62, v6
	v_fma_f32 v9, -v80, v64, v9
	v_fmac_f32_e32 v59, v2, v136
	s_delay_alu instid0(VALU_DEP_4) | instskip(NEXT) | instid1(VALU_DEP_3)
	v_fma_f32 v7, -v100, v52, v7
	v_dual_fmac_f32 v6, v81, v63 :: v_dual_fmac_f32 v9, v103, v49
	s_wait_loadcnt 0x3
	s_delay_alu instid0(VALU_DEP_3) | instskip(NEXT) | instid1(VALU_DEP_3)
	v_fmac_f32_e32 v59, v132, v31
	v_fmac_f32_e32 v7, v119, v133
	s_delay_alu instid0(VALU_DEP_3) | instskip(SKIP_1) | instid1(VALU_DEP_4)
	v_fma_f32 v6, -v82, v64, v6
	v_fma_f32 v9, -v104, v50, v9
	v_dual_fmac_f32 v58, v90, v61 :: v_dual_fmac_f32 v59, v131, v32
	s_delay_alu instid0(VALU_DEP_4) | instskip(NEXT) | instid1(VALU_DEP_3)
	v_fma_f32 v7, -v120, v134, v7
	v_dual_fmac_f32 v60, v86, v61 :: v_dual_fmac_f32 v9, v95, v51
	s_delay_alu instid0(VALU_DEP_3) | instskip(NEXT) | instid1(VALU_DEP_3)
	v_fmac_f32_e32 v58, v89, v62
	v_dual_fmac_f32 v6, v105, v49 :: v_dual_fmac_f32 v7, v111, v135
	v_dual_fmac_f32 v8, v77, v63 :: v_dual_fmac_f32 v59, v124, v33
	s_delay_alu instid0(VALU_DEP_4) | instskip(SKIP_2) | instid1(VALU_DEP_4)
	v_fma_f32 v9, -v96, v52, v9
	v_fmac_f32_e32 v60, v85, v62
	v_fmac_f32_e32 v58, v82, v63
	v_fma_f32 v8, -v78, v64, v8
	v_fma_f32 v7, -v112, v136, v7
	s_delay_alu instid0(VALU_DEP_4) | instskip(NEXT) | instid1(VALU_DEP_4)
	v_dual_fmac_f32 v9, v115, v133 :: v_dual_fmac_f32 v60, v78, v63
	v_dual_fmac_f32 v58, v81, v64 :: v_dual_fmac_f32 v59, v123, v34
	s_delay_alu instid0(VALU_DEP_4) | instskip(NEXT) | instid1(VALU_DEP_3)
	v_fmac_f32_e32 v8, v101, v49
	v_fma_f32 v9, -v116, v134, v9
	s_delay_alu instid0(VALU_DEP_4) | instskip(NEXT) | instid1(VALU_DEP_4)
	v_fmac_f32_e32 v60, v77, v64
	v_dual_fmac_f32 v58, v106, v49 :: v_dual_fmac_f32 v7, v21, v31
	v_fma_f32 v6, -v106, v50, v6
	s_delay_alu instid0(VALU_DEP_4) | instskip(NEXT) | instid1(VALU_DEP_3)
	v_dual_fmac_f32 v9, v2, v135 :: v_dual_fmac_f32 v46, v92, v61
	v_fmac_f32_e32 v58, v105, v50
	v_fma_f32 v8, -v102, v50, v8
	s_delay_alu instid0(VALU_DEP_3) | instskip(NEXT) | instid1(VALU_DEP_2)
	v_fmac_f32_e32 v46, v91, v62
	v_fmac_f32_e32 v8, v93, v51
	s_delay_alu instid0(VALU_DEP_1) | instskip(NEXT) | instid1(VALU_DEP_1)
	v_fma_f32 v8, -v94, v52, v8
	v_fmac_f32_e32 v8, v113, v133
	s_delay_alu instid0(VALU_DEP_1) | instskip(NEXT) | instid1(VALU_DEP_1)
	v_fma_f32 v8, -v114, v134, v8
	v_fmac_f32_e32 v8, v0, v135
	s_wait_loadcnt 0x2
	v_fmac_f32_e32 v59, v18, v27
	s_delay_alu instid0(VALU_DEP_1) | instskip(SKIP_1) | instid1(VALU_DEP_1)
	v_dual_fmac_f32 v60, v102, v49 :: v_dual_fmac_f32 v59, v17, v28
	s_wait_loadcnt 0x0
	v_dual_fmac_f32 v60, v101, v50 :: v_dual_fmac_f32 v59, v140, v29
	s_delay_alu instid0(VALU_DEP_1) | instskip(NEXT) | instid1(VALU_DEP_2)
	v_fmac_f32_e32 v60, v94, v51
	v_dual_fmac_f32 v6, v97, v51 :: v_dual_fmac_f32 v59, v139, v30
	s_delay_alu instid0(VALU_DEP_2) | instskip(NEXT) | instid1(VALU_DEP_2)
	v_fmac_f32_e32 v60, v93, v52
	v_fma_f32 v6, -v98, v52, v6
	s_delay_alu instid0(VALU_DEP_2) | instskip(NEXT) | instid1(VALU_DEP_2)
	v_fmac_f32_e32 v60, v114, v133
	v_fmac_f32_e32 v6, v117, v133
	s_delay_alu instid0(VALU_DEP_2) | instskip(NEXT) | instid1(VALU_DEP_2)
	v_fmac_f32_e32 v60, v113, v134
	v_fma_f32 v6, -v118, v134, v6
	s_delay_alu instid0(VALU_DEP_2) | instskip(SKIP_1) | instid1(VALU_DEP_3)
	v_fmac_f32_e32 v60, v1, v135
	v_fma_f32 v1, -v1, v136, v8
	v_fmac_f32_e32 v6, v109, v135
	s_delay_alu instid0(VALU_DEP_3)
	v_fmac_f32_e32 v60, v0, v136
	v_fma_f32 v0, -v3, v136, v9
	v_fma_f32 v3, -v22, v32, v7
	v_fmac_f32_e32 v46, v84, v63
	v_fmac_f32_e32 v1, v129, v31
	v_fma_f32 v6, -v110, v136, v6
	s_delay_alu instid0(VALU_DEP_4) | instskip(NEXT) | instid1(VALU_DEP_4)
	v_dual_fmac_f32 v60, v130, v31 :: v_dual_fmac_f32 v3, v127, v33
	v_fmac_f32_e32 v46, v83, v64
	s_delay_alu instid0(VALU_DEP_4) | instskip(NEXT) | instid1(VALU_DEP_4)
	v_fma_f32 v1, -v130, v32, v1
	v_fmac_f32_e32 v6, v19, v31
	v_fmac_f32_e32 v0, v131, v31
	v_fma_f32 v3, -v128, v34, v3
	v_fmac_f32_e32 v46, v108, v49
	v_fmac_f32_e32 v1, v121, v33
	;; [unrolled: 3-line block ×3, first 2 shown]
	v_fma_f32 v0, -v132, v32, v0
	v_fma_f32 v1, -v122, v34, v1
	v_fmac_f32_e32 v2, v125, v33
	v_fmac_f32_e32 v60, v122, v33
	v_fma_f32 v3, -v14, v28, v3
	v_fmac_f32_e32 v46, v107, v50
	v_fmac_f32_e32 v1, v15, v27
	;; [unrolled: 1-line block ×3, first 2 shown]
	v_fma_f32 v2, -v126, v34, v2
	s_delay_alu instid0(VALU_DEP_4) | instskip(NEXT) | instid1(VALU_DEP_4)
	v_dual_fmac_f32 v3, v25, v29 :: v_dual_fmac_f32 v46, v100, v51
	v_fma_f32 v1, -v16, v28, v1
	v_fmac_f32_e32 v58, v98, v51
	v_fmac_f32_e32 v60, v121, v34
	v_fma_f32 v0, -v124, v34, v0
	s_delay_alu instid0(VALU_DEP_4) | instskip(NEXT) | instid1(VALU_DEP_4)
	v_dual_fmac_f32 v46, v99, v52 :: v_dual_fmac_f32 v1, v137, v29
	v_fmac_f32_e32 v58, v97, v52
	v_fmac_f32_e32 v2, v11, v27
	;; [unrolled: 1-line block ×3, first 2 shown]
	s_delay_alu instid0(VALU_DEP_4)
	v_fmac_f32_e32 v46, v120, v133
	v_fmac_f32_e32 v0, v17, v27
	v_fmac_f32_e32 v58, v118, v133
	v_fma_f32 v2, -v12, v28, v2
	v_fmac_f32_e32 v60, v15, v28
	v_fmac_f32_e32 v46, v119, v134
	v_fma_f32 v0, -v18, v28, v0
	v_fmac_f32_e32 v58, v117, v134
	v_fmac_f32_e32 v2, v23, v29
	;; [unrolled: 1-line block ×6, first 2 shown]
	v_fma_f32 v63, -v24, v30, v2
	v_fma_f32 v64, -v26, v30, v3
	v_fmac_f32_e32 v46, v111, v136
	v_fma_f32 v62, -v138, v30, v1
	v_fmac_f32_e32 v58, v109, v136
	v_fmac_f32_e32 v60, v137, v30
	v_fma_f32 v61, -v140, v30, v0
	v_fmac_f32_e32 v46, v22, v31
	s_delay_alu instid0(VALU_DEP_4) | instskip(NEXT) | instid1(VALU_DEP_2)
	v_fmac_f32_e32 v58, v20, v31
	v_fmac_f32_e32 v46, v21, v32
	s_delay_alu instid0(VALU_DEP_2) | instskip(NEXT) | instid1(VALU_DEP_2)
	v_fmac_f32_e32 v58, v19, v32
	v_fmac_f32_e32 v46, v128, v33
	s_delay_alu instid0(VALU_DEP_2) | instskip(NEXT) | instid1(VALU_DEP_2)
	;; [unrolled: 3-line block ×6, first 2 shown]
	v_fmac_f32_e32 v58, v24, v29
	v_fmac_f32_e32 v46, v25, v30
	s_delay_alu instid0(VALU_DEP_2)
	v_fmac_f32_e32 v58, v23, v30
	s_wait_alu 0xfffe
	s_and_not1_b32 exec_lo, exec_lo, s6
	s_cbranch_execnz .LBB33_31
; %bb.32:
	s_or_b32 exec_lo, exec_lo, s6
.LBB33_33:
	s_wait_alu 0xfffe
	s_or_b32 exec_lo, exec_lo, s2
.LBB33_34:
	s_wait_alu 0xfffe
	s_or_b32 exec_lo, exec_lo, s3
.LBB33_35:
	v_mbcnt_lo_u32_b32 v0, -1, 0
	s_delay_alu instid0(VALU_DEP_1) | instskip(SKIP_2) | instid1(VALU_DEP_3)
	v_xor_b32_e32 v1, 16, v0
	v_xor_b32_e32 v9, 8, v0
	;; [unrolled: 1-line block ×3, first 2 shown]
	v_cmp_gt_i32_e32 vcc_lo, 32, v1
	s_wait_alu 0xfffd
	v_cndmask_b32_e32 v1, v0, v1, vcc_lo
	v_cmp_gt_i32_e32 vcc_lo, 32, v9
	s_delay_alu instid0(VALU_DEP_2)
	v_lshlrev_b32_e32 v1, 2, v1
	ds_bpermute_b32 v4, v1, v64
	s_wait_dscnt 0x0
	v_add_f32_e32 v4, v64, v4
	ds_bpermute_b32 v6, v1, v62
	ds_bpermute_b32 v8, v1, v61
	s_wait_alu 0xfffd
	v_cndmask_b32_e32 v9, v0, v9, vcc_lo
	ds_bpermute_b32 v2, v1, v63
	ds_bpermute_b32 v3, v1, v58
	ds_bpermute_b32 v5, v1, v46
	ds_bpermute_b32 v7, v1, v60
	ds_bpermute_b32 v1, v1, v59
	v_cmp_gt_i32_e32 vcc_lo, 32, v17
	s_wait_dscnt 0x6
	s_wait_alu 0xfffd
	v_dual_cndmask_b32 v17, v0, v17 :: v_dual_add_f32 v6, v62, v6
	s_wait_dscnt 0x5
	v_dual_add_f32 v8, v61, v8 :: v_dual_lshlrev_b32 v9, 2, v9
	s_wait_dscnt 0x4
	v_add_f32_e32 v2, v63, v2
	ds_bpermute_b32 v12, v9, v4
	s_wait_dscnt 0x4
	v_add_f32_e32 v3, v58, v3
	ds_bpermute_b32 v10, v9, v2
	ds_bpermute_b32 v14, v9, v6
	;; [unrolled: 1-line block ×3, first 2 shown]
	s_wait_dscnt 0x6
	v_add_f32_e32 v5, v46, v5
	s_wait_dscnt 0x5
	v_add_f32_e32 v7, v60, v7
	s_wait_dscnt 0x3
	v_dual_add_f32 v1, v59, v1 :: v_dual_add_f32 v4, v4, v12
	ds_bpermute_b32 v11, v9, v3
	s_wait_dscnt 0x3
	v_dual_add_f32 v2, v2, v10 :: v_dual_lshlrev_b32 v17, 2, v17
	ds_bpermute_b32 v15, v9, v7
	s_wait_dscnt 0x3
	v_add_f32_e32 v6, v6, v14
	s_wait_dscnt 0x2
	v_add_f32_e32 v8, v8, v16
	ds_bpermute_b32 v13, v9, v5
	ds_bpermute_b32 v9, v9, v1
	s_wait_dscnt 0x3
	v_add_f32_e32 v3, v3, v11
	ds_bpermute_b32 v11, v17, v4
	s_wait_dscnt 0x3
	v_add_f32_e32 v7, v7, v15
	s_wait_dscnt 0x0
	v_dual_add_f32 v4, v4, v11 :: v_dual_add_f32 v1, v1, v9
	ds_bpermute_b32 v9, v17, v2
	ds_bpermute_b32 v15, v17, v8
	v_add_f32_e32 v5, v5, v13
	ds_bpermute_b32 v13, v17, v6
	ds_bpermute_b32 v16, v17, v1
	s_wait_dscnt 0x3
	v_add_f32_e32 v2, v2, v9
	ds_bpermute_b32 v10, v17, v3
	s_wait_dscnt 0x3
	v_add_f32_e32 v8, v8, v15
	;; [unrolled: 3-line block ×3, first 2 shown]
	ds_bpermute_b32 v14, v17, v7
	v_xor_b32_e32 v17, 2, v0
	s_wait_dscnt 0x3
	v_add_f32_e32 v9, v1, v16
	s_delay_alu instid0(VALU_DEP_2) | instskip(SKIP_2) | instid1(VALU_DEP_1)
	v_cmp_gt_i32_e32 vcc_lo, 32, v17
	s_wait_alu 0xfffd
	v_cndmask_b32_e32 v17, v0, v17, vcc_lo
	v_lshlrev_b32_e32 v17, 2, v17
	s_wait_dscnt 0x2
	v_add_f32_e32 v3, v3, v10
	ds_bpermute_b32 v1, v17, v2
	s_wait_dscnt 0x2
	v_add_f32_e32 v5, v5, v12
	ds_bpermute_b32 v13, v17, v6
	;; [unrolled: 3-line block ×3, first 2 shown]
	ds_bpermute_b32 v11, v17, v4
	ds_bpermute_b32 v12, v17, v5
	ds_bpermute_b32 v15, v17, v8
	ds_bpermute_b32 v14, v17, v7
	ds_bpermute_b32 v16, v17, v9
	v_xor_b32_e32 v17, 1, v0
	s_delay_alu instid0(VALU_DEP_1) | instskip(SKIP_4) | instid1(VALU_DEP_2)
	v_cmp_gt_i32_e32 vcc_lo, 32, v17
	s_wait_alu 0xfffd
	v_cndmask_b32_e32 v0, v0, v17, vcc_lo
	v_cmp_eq_u32_e32 vcc_lo, 31, v57
	s_wait_dscnt 0x7
	v_dual_add_f32 v0, v2, v1 :: v_dual_lshlrev_b32 v17, 2, v0
	s_wait_dscnt 0x4
	v_dual_add_f32 v1, v3, v10 :: v_dual_add_f32 v2, v4, v11
	s_wait_dscnt 0x3
	v_dual_add_f32 v3, v5, v12 :: v_dual_add_f32 v4, v6, v13
	;; [unrolled: 2-line block ×3, first 2 shown]
	s_wait_dscnt 0x0
	v_add_f32_e32 v7, v9, v16
	ds_bpermute_b32 v8, v17, v0
	ds_bpermute_b32 v9, v17, v1
	;; [unrolled: 1-line block ×8, first 2 shown]
	s_and_b32 exec_lo, exec_lo, vcc_lo
	s_cbranch_execz .LBB33_8
; %bb.36:
	s_load_b64 s[2:3], s[0:1], 0x50
	s_wait_dscnt 0x7
	v_add_f32_e32 v8, v0, v8
	s_wait_dscnt 0x4
	v_dual_add_f32 v0, v1, v9 :: v_dual_add_f32 v1, v3, v11
	s_wait_dscnt 0x2
	v_dual_add_f32 v9, v2, v10 :: v_dual_add_f32 v2, v5, v13
	s_wait_dscnt 0x0
	v_dual_add_f32 v3, v7, v15 :: v_dual_add_f32 v10, v4, v12
	v_add_f32_e32 v11, v6, v14
	v_mul_f32_e64 v4, v0, -v39
	v_mul_f32_e32 v5, v38, v0
	v_mul_f32_e64 v6, v1, -v39
	v_mul_f32_e32 v7, v38, v1
	;; [unrolled: 2-line block ×4, first 2 shown]
	v_cmp_eq_f32_e32 vcc_lo, 0, v36
	v_cmp_eq_f32_e64 s0, 0, v37
	v_fmac_f32_e32 v4, v38, v8
	v_dual_fmac_f32 v5, v39, v8 :: v_dual_fmac_f32 v6, v38, v9
	v_dual_fmac_f32 v7, v39, v9 :: v_dual_lshlrev_b32 v8, 2, v40
	v_dual_fmac_f32 v0, v38, v10 :: v_dual_fmac_f32 v3, v39, v11
	v_dual_fmac_f32 v1, v39, v10 :: v_dual_fmac_f32 v2, v38, v11
	s_and_b32 s0, vcc_lo, s0
	s_wait_alu 0xfffe
	s_and_saveexec_b32 s1, s0
	s_wait_alu 0xfffe
	s_xor_b32 s0, exec_lo, s1
	s_cbranch_execz .LBB33_38
; %bb.37:
	v_ashrrev_i32_e32 v9, 31, v8
                                        ; implicit-def: $vgpr36_vgpr37
	s_delay_alu instid0(VALU_DEP_1) | instskip(SKIP_1) | instid1(VALU_DEP_1)
	v_lshlrev_b64_e32 v[8:9], 3, v[8:9]
	s_wait_kmcnt 0x0
	v_add_co_u32 v8, vcc_lo, s2, v8
	s_wait_alu 0xfffd
	s_delay_alu instid0(VALU_DEP_2)
	v_add_co_ci_u32_e64 v9, null, s3, v9, vcc_lo
	s_clause 0x1
	global_store_b128 v[8:9], v[4:7], off
	global_store_b128 v[8:9], v[0:3], off offset:16
                                        ; implicit-def: $vgpr4
                                        ; implicit-def: $vgpr8
                                        ; implicit-def: $vgpr0
.LBB33_38:
	s_wait_alu 0xfffe
	s_and_not1_saveexec_b32 s0, s0
	s_cbranch_execz .LBB33_8
; %bb.39:
	v_ashrrev_i32_e32 v9, 31, v8
	s_delay_alu instid0(VALU_DEP_1) | instskip(SKIP_1) | instid1(VALU_DEP_1)
	v_lshlrev_b64_e32 v[8:9], 3, v[8:9]
	s_wait_kmcnt 0x0
	v_add_co_u32 v16, vcc_lo, s2, v8
	s_wait_alu 0xfffd
	s_delay_alu instid0(VALU_DEP_2)
	v_add_co_ci_u32_e64 v17, null, s3, v9, vcc_lo
	s_clause 0x1
	global_load_b128 v[8:11], v[16:17], off
	global_load_b128 v[12:15], v[16:17], off offset:16
	s_wait_loadcnt 0x1
	v_dual_fmac_f32 v4, v36, v8 :: v_dual_fmac_f32 v7, v37, v10
	v_dual_fmac_f32 v5, v37, v8 :: v_dual_fmac_f32 v6, v36, v10
	s_wait_loadcnt 0x0
	v_dual_fmac_f32 v0, v36, v12 :: v_dual_fmac_f32 v3, v37, v14
	v_dual_fmac_f32 v1, v37, v12 :: v_dual_fmac_f32 v2, v36, v14
	v_fma_f32 v4, -v37, v9, v4
	v_fmac_f32_e32 v5, v36, v9
	v_fma_f32 v6, -v37, v11, v6
	v_fmac_f32_e32 v7, v36, v11
	;; [unrolled: 2-line block ×4, first 2 shown]
	s_clause 0x1
	global_store_b128 v[16:17], v[4:7], off
	global_store_b128 v[16:17], v[0:3], off offset:16
	s_nop 0
	s_sendmsg sendmsg(MSG_DEALLOC_VGPRS)
	s_endpgm
	.section	.rodata,"a",@progbits
	.p2align	6, 0x0
	.amdhsa_kernel _ZN9rocsparseL18bsrxmvn_4x4_kernelILj128ELj32E21rocsparse_complex_numIfEliS2_S2_S2_EEvT3_20rocsparse_direction_NS_24const_host_device_scalarIT1_EES3_PKS3_PKT2_SC_S9_PKT4_PKT5_S7_PT6_21rocsparse_index_base_b
		.amdhsa_group_segment_fixed_size 0
		.amdhsa_private_segment_fixed_size 0
		.amdhsa_kernarg_size 96
		.amdhsa_user_sgpr_count 2
		.amdhsa_user_sgpr_dispatch_ptr 0
		.amdhsa_user_sgpr_queue_ptr 0
		.amdhsa_user_sgpr_kernarg_segment_ptr 1
		.amdhsa_user_sgpr_dispatch_id 0
		.amdhsa_user_sgpr_private_segment_size 0
		.amdhsa_wavefront_size32 1
		.amdhsa_uses_dynamic_stack 0
		.amdhsa_enable_private_segment 0
		.amdhsa_system_sgpr_workgroup_id_x 1
		.amdhsa_system_sgpr_workgroup_id_y 0
		.amdhsa_system_sgpr_workgroup_id_z 0
		.amdhsa_system_sgpr_workgroup_info 0
		.amdhsa_system_vgpr_workitem_id 0
		.amdhsa_next_free_vgpr 175
		.amdhsa_next_free_sgpr 14
		.amdhsa_reserve_vcc 1
		.amdhsa_float_round_mode_32 0
		.amdhsa_float_round_mode_16_64 0
		.amdhsa_float_denorm_mode_32 3
		.amdhsa_float_denorm_mode_16_64 3
		.amdhsa_fp16_overflow 0
		.amdhsa_workgroup_processor_mode 1
		.amdhsa_memory_ordered 1
		.amdhsa_forward_progress 1
		.amdhsa_inst_pref_size 70
		.amdhsa_round_robin_scheduling 0
		.amdhsa_exception_fp_ieee_invalid_op 0
		.amdhsa_exception_fp_denorm_src 0
		.amdhsa_exception_fp_ieee_div_zero 0
		.amdhsa_exception_fp_ieee_overflow 0
		.amdhsa_exception_fp_ieee_underflow 0
		.amdhsa_exception_fp_ieee_inexact 0
		.amdhsa_exception_int_div_zero 0
	.end_amdhsa_kernel
	.section	.text._ZN9rocsparseL18bsrxmvn_4x4_kernelILj128ELj32E21rocsparse_complex_numIfEliS2_S2_S2_EEvT3_20rocsparse_direction_NS_24const_host_device_scalarIT1_EES3_PKS3_PKT2_SC_S9_PKT4_PKT5_S7_PT6_21rocsparse_index_base_b,"axG",@progbits,_ZN9rocsparseL18bsrxmvn_4x4_kernelILj128ELj32E21rocsparse_complex_numIfEliS2_S2_S2_EEvT3_20rocsparse_direction_NS_24const_host_device_scalarIT1_EES3_PKS3_PKT2_SC_S9_PKT4_PKT5_S7_PT6_21rocsparse_index_base_b,comdat
.Lfunc_end33:
	.size	_ZN9rocsparseL18bsrxmvn_4x4_kernelILj128ELj32E21rocsparse_complex_numIfEliS2_S2_S2_EEvT3_20rocsparse_direction_NS_24const_host_device_scalarIT1_EES3_PKS3_PKT2_SC_S9_PKT4_PKT5_S7_PT6_21rocsparse_index_base_b, .Lfunc_end33-_ZN9rocsparseL18bsrxmvn_4x4_kernelILj128ELj32E21rocsparse_complex_numIfEliS2_S2_S2_EEvT3_20rocsparse_direction_NS_24const_host_device_scalarIT1_EES3_PKS3_PKT2_SC_S9_PKT4_PKT5_S7_PT6_21rocsparse_index_base_b
                                        ; -- End function
	.set _ZN9rocsparseL18bsrxmvn_4x4_kernelILj128ELj32E21rocsparse_complex_numIfEliS2_S2_S2_EEvT3_20rocsparse_direction_NS_24const_host_device_scalarIT1_EES3_PKS3_PKT2_SC_S9_PKT4_PKT5_S7_PT6_21rocsparse_index_base_b.num_vgpr, 175
	.set _ZN9rocsparseL18bsrxmvn_4x4_kernelILj128ELj32E21rocsparse_complex_numIfEliS2_S2_S2_EEvT3_20rocsparse_direction_NS_24const_host_device_scalarIT1_EES3_PKS3_PKT2_SC_S9_PKT4_PKT5_S7_PT6_21rocsparse_index_base_b.num_agpr, 0
	.set _ZN9rocsparseL18bsrxmvn_4x4_kernelILj128ELj32E21rocsparse_complex_numIfEliS2_S2_S2_EEvT3_20rocsparse_direction_NS_24const_host_device_scalarIT1_EES3_PKS3_PKT2_SC_S9_PKT4_PKT5_S7_PT6_21rocsparse_index_base_b.numbered_sgpr, 14
	.set _ZN9rocsparseL18bsrxmvn_4x4_kernelILj128ELj32E21rocsparse_complex_numIfEliS2_S2_S2_EEvT3_20rocsparse_direction_NS_24const_host_device_scalarIT1_EES3_PKS3_PKT2_SC_S9_PKT4_PKT5_S7_PT6_21rocsparse_index_base_b.num_named_barrier, 0
	.set _ZN9rocsparseL18bsrxmvn_4x4_kernelILj128ELj32E21rocsparse_complex_numIfEliS2_S2_S2_EEvT3_20rocsparse_direction_NS_24const_host_device_scalarIT1_EES3_PKS3_PKT2_SC_S9_PKT4_PKT5_S7_PT6_21rocsparse_index_base_b.private_seg_size, 0
	.set _ZN9rocsparseL18bsrxmvn_4x4_kernelILj128ELj32E21rocsparse_complex_numIfEliS2_S2_S2_EEvT3_20rocsparse_direction_NS_24const_host_device_scalarIT1_EES3_PKS3_PKT2_SC_S9_PKT4_PKT5_S7_PT6_21rocsparse_index_base_b.uses_vcc, 1
	.set _ZN9rocsparseL18bsrxmvn_4x4_kernelILj128ELj32E21rocsparse_complex_numIfEliS2_S2_S2_EEvT3_20rocsparse_direction_NS_24const_host_device_scalarIT1_EES3_PKS3_PKT2_SC_S9_PKT4_PKT5_S7_PT6_21rocsparse_index_base_b.uses_flat_scratch, 0
	.set _ZN9rocsparseL18bsrxmvn_4x4_kernelILj128ELj32E21rocsparse_complex_numIfEliS2_S2_S2_EEvT3_20rocsparse_direction_NS_24const_host_device_scalarIT1_EES3_PKS3_PKT2_SC_S9_PKT4_PKT5_S7_PT6_21rocsparse_index_base_b.has_dyn_sized_stack, 0
	.set _ZN9rocsparseL18bsrxmvn_4x4_kernelILj128ELj32E21rocsparse_complex_numIfEliS2_S2_S2_EEvT3_20rocsparse_direction_NS_24const_host_device_scalarIT1_EES3_PKS3_PKT2_SC_S9_PKT4_PKT5_S7_PT6_21rocsparse_index_base_b.has_recursion, 0
	.set _ZN9rocsparseL18bsrxmvn_4x4_kernelILj128ELj32E21rocsparse_complex_numIfEliS2_S2_S2_EEvT3_20rocsparse_direction_NS_24const_host_device_scalarIT1_EES3_PKS3_PKT2_SC_S9_PKT4_PKT5_S7_PT6_21rocsparse_index_base_b.has_indirect_call, 0
	.section	.AMDGPU.csdata,"",@progbits
; Kernel info:
; codeLenInByte = 8836
; TotalNumSgprs: 16
; NumVgprs: 175
; ScratchSize: 0
; MemoryBound: 0
; FloatMode: 240
; IeeeMode: 1
; LDSByteSize: 0 bytes/workgroup (compile time only)
; SGPRBlocks: 0
; VGPRBlocks: 21
; NumSGPRsForWavesPerEU: 16
; NumVGPRsForWavesPerEU: 175
; Occupancy: 8
; WaveLimiterHint : 1
; COMPUTE_PGM_RSRC2:SCRATCH_EN: 0
; COMPUTE_PGM_RSRC2:USER_SGPR: 2
; COMPUTE_PGM_RSRC2:TRAP_HANDLER: 0
; COMPUTE_PGM_RSRC2:TGID_X_EN: 1
; COMPUTE_PGM_RSRC2:TGID_Y_EN: 0
; COMPUTE_PGM_RSRC2:TGID_Z_EN: 0
; COMPUTE_PGM_RSRC2:TIDIG_COMP_CNT: 0
	.section	.text._ZN9rocsparseL18bsrxmvn_4x4_kernelILj128ELj64E21rocsparse_complex_numIfEliS2_S2_S2_EEvT3_20rocsparse_direction_NS_24const_host_device_scalarIT1_EES3_PKS3_PKT2_SC_S9_PKT4_PKT5_S7_PT6_21rocsparse_index_base_b,"axG",@progbits,_ZN9rocsparseL18bsrxmvn_4x4_kernelILj128ELj64E21rocsparse_complex_numIfEliS2_S2_S2_EEvT3_20rocsparse_direction_NS_24const_host_device_scalarIT1_EES3_PKS3_PKT2_SC_S9_PKT4_PKT5_S7_PT6_21rocsparse_index_base_b,comdat
	.globl	_ZN9rocsparseL18bsrxmvn_4x4_kernelILj128ELj64E21rocsparse_complex_numIfEliS2_S2_S2_EEvT3_20rocsparse_direction_NS_24const_host_device_scalarIT1_EES3_PKS3_PKT2_SC_S9_PKT4_PKT5_S7_PT6_21rocsparse_index_base_b ; -- Begin function _ZN9rocsparseL18bsrxmvn_4x4_kernelILj128ELj64E21rocsparse_complex_numIfEliS2_S2_S2_EEvT3_20rocsparse_direction_NS_24const_host_device_scalarIT1_EES3_PKS3_PKT2_SC_S9_PKT4_PKT5_S7_PT6_21rocsparse_index_base_b
	.p2align	8
	.type	_ZN9rocsparseL18bsrxmvn_4x4_kernelILj128ELj64E21rocsparse_complex_numIfEliS2_S2_S2_EEvT3_20rocsparse_direction_NS_24const_host_device_scalarIT1_EES3_PKS3_PKT2_SC_S9_PKT4_PKT5_S7_PT6_21rocsparse_index_base_b,@function
_ZN9rocsparseL18bsrxmvn_4x4_kernelILj128ELj64E21rocsparse_complex_numIfEliS2_S2_S2_EEvT3_20rocsparse_direction_NS_24const_host_device_scalarIT1_EES3_PKS3_PKT2_SC_S9_PKT4_PKT5_S7_PT6_21rocsparse_index_base_b: ; @_ZN9rocsparseL18bsrxmvn_4x4_kernelILj128ELj64E21rocsparse_complex_numIfEliS2_S2_S2_EEvT3_20rocsparse_direction_NS_24const_host_device_scalarIT1_EES3_PKS3_PKT2_SC_S9_PKT4_PKT5_S7_PT6_21rocsparse_index_base_b
; %bb.0:
	s_clause 0x2
	s_load_b64 s[12:13], s[0:1], 0x58
	s_load_b64 s[2:3], s[0:1], 0x8
	;; [unrolled: 1-line block ×3, first 2 shown]
	s_add_nc_u64 s[6:7], s[0:1], 8
	s_wait_kmcnt 0x0
	s_bitcmp1_b32 s13, 0
	s_cselect_b32 s2, s6, s2
	s_cselect_b32 s3, s7, s3
	s_delay_alu instid0(SALU_CYCLE_1)
	v_dual_mov_b32 v1, s2 :: v_dual_mov_b32 v2, s3
	s_add_nc_u64 s[2:3], s[0:1], 0x48
	s_wait_alu 0xfffe
	s_cselect_b32 s2, s2, s4
	s_cselect_b32 s3, s3, s5
	flat_load_b64 v[38:39], v[1:2]
	s_wait_alu 0xfffe
	v_dual_mov_b32 v1, s2 :: v_dual_mov_b32 v2, s3
	flat_load_b64 v[36:37], v[1:2]
	s_wait_loadcnt_dscnt 0x101
	v_cmp_eq_f32_e32 vcc_lo, 0, v38
	v_cmp_eq_f32_e64 s2, 0, v39
	s_and_b32 s4, vcc_lo, s2
	s_mov_b32 s2, -1
	s_and_saveexec_b32 s3, s4
	s_cbranch_execz .LBB34_2
; %bb.1:
	s_wait_loadcnt_dscnt 0x0
	v_cmp_neq_f32_e32 vcc_lo, 1.0, v36
	v_cmp_neq_f32_e64 s2, 0, v37
	s_wait_alu 0xfffe
	s_or_b32 s2, vcc_lo, s2
	s_wait_alu 0xfffe
	s_or_not1_b32 s2, s2, exec_lo
.LBB34_2:
	s_wait_alu 0xfffe
	s_or_b32 exec_lo, exec_lo, s3
	s_and_saveexec_b32 s3, s2
	s_cbranch_execz .LBB34_8
; %bb.3:
	s_clause 0x1
	s_load_b64 s[4:5], s[0:1], 0x18
	s_load_b64 s[2:3], s[0:1], 0x0
	v_lshrrev_b32_e32 v1, 6, v0
	s_delay_alu instid0(VALU_DEP_1)
	v_lshl_or_b32 v40, ttmp9, 1, v1
	s_wait_kmcnt 0x0
	s_cmp_lg_u64 s[4:5], 0
	s_cbranch_scc0 .LBB34_9
; %bb.4:
	s_load_b32 s6, s[0:1], 0x10
	s_mov_b32 s7, 0
                                        ; implicit-def: $vgpr1
	s_wait_kmcnt 0x0
	v_cmp_gt_i32_e32 vcc_lo, s6, v40
	s_mov_b32 s6, 0
	s_and_saveexec_b32 s8, vcc_lo
	s_delay_alu instid0(SALU_CYCLE_1)
	s_xor_b32 s8, exec_lo, s8
	s_cbranch_execz .LBB34_6
; %bb.5:
	v_ashrrev_i32_e32 v41, 31, v40
	s_mov_b32 s6, exec_lo
	s_delay_alu instid0(VALU_DEP_1) | instskip(NEXT) | instid1(VALU_DEP_1)
	v_lshlrev_b64_e32 v[1:2], 2, v[40:41]
	v_add_co_u32 v1, vcc_lo, s4, v1
	s_delay_alu instid0(VALU_DEP_1)
	v_add_co_ci_u32_e64 v2, null, s5, v2, vcc_lo
	global_load_b32 v1, v[1:2], off
	s_wait_loadcnt 0x0
	v_subrev_nc_u32_e32 v1, s12, v1
.LBB34_6:
	s_or_b32 exec_lo, exec_lo, s8
	s_delay_alu instid0(SALU_CYCLE_1)
	s_and_b32 vcc_lo, exec_lo, s7
	s_wait_alu 0xfffe
	s_cbranch_vccz .LBB34_10
.LBB34_7:
	v_cmp_gt_i32_e32 vcc_lo, s2, v40
	s_and_not1_b32 s2, s6, exec_lo
	s_and_b32 s4, vcc_lo, exec_lo
	s_wait_alu 0xfffe
	s_or_b32 s6, s2, s4
	s_wait_alu 0xfffe
	s_and_b32 exec_lo, exec_lo, s6
	s_cbranch_execnz .LBB34_11
.LBB34_8:
	s_nop 0
	s_sendmsg sendmsg(MSG_DEALLOC_VGPRS)
	s_endpgm
.LBB34_9:
	s_mov_b32 s6, 0
                                        ; implicit-def: $vgpr1
	s_cbranch_execnz .LBB34_7
.LBB34_10:
	v_mov_b32_e32 v40, v1
	s_and_b32 exec_lo, exec_lo, s6
	s_cbranch_execz .LBB34_8
.LBB34_11:
	s_load_b256 s[4:11], s[0:1], 0x20
	s_delay_alu instid0(VALU_DEP_1) | instskip(SKIP_1) | instid1(VALU_DEP_2)
	v_ashrrev_i32_e32 v41, 31, v40
	v_dual_mov_b32 v58, 0 :: v_dual_and_b32 v57, 63, v0
	v_lshlrev_b64_e32 v[1:2], 3, v[40:41]
	s_wait_kmcnt 0x0
	s_delay_alu instid0(VALU_DEP_1) | instskip(SKIP_1) | instid1(VALU_DEP_2)
	v_add_co_u32 v3, vcc_lo, s4, v1
	s_wait_alu 0xfffd
	v_add_co_ci_u32_e64 v4, null, s5, v2, vcc_lo
	v_add_co_u32 v1, vcc_lo, s6, v1
	s_wait_alu 0xfffd
	v_add_co_ci_u32_e64 v2, null, s7, v2, vcc_lo
	v_add_co_u32 v5, vcc_lo, v3, 8
	global_load_b64 v[49:50], v[3:4], off
	s_wait_alu 0xfffd
	v_add_co_ci_u32_e64 v6, null, 0, v4, vcc_lo
	s_cmp_eq_u64 s[6:7], 0
	s_load_b64 s[4:5], s[0:1], 0x40
	s_cselect_b32 vcc_lo, -1, 0
	s_cmp_eq_u32 s3, 1
	s_wait_alu 0xfffe
	v_dual_cndmask_b32 v2, v2, v6 :: v_dual_cndmask_b32 v1, v1, v5
	global_load_b64 v[1:2], v[1:2], off
	s_wait_loadcnt 0x1
	v_sub_co_u32 v0, vcc_lo, v49, s12
	s_wait_alu 0xfffd
	v_subrev_co_ci_u32_e64 v3, null, 0, v50, vcc_lo
	s_delay_alu instid0(VALU_DEP_2) | instskip(SKIP_1) | instid1(VALU_DEP_2)
	v_add_co_u32 v43, vcc_lo, v0, v57
	s_wait_alu 0xfffd
	v_add_co_ci_u32_e64 v44, null, 0, v3, vcc_lo
	s_wait_loadcnt 0x0
	v_sub_co_u32 v45, vcc_lo, v1, s12
	s_delay_alu instid0(VALU_DEP_2) | instskip(SKIP_2) | instid1(VALU_DEP_2)
	v_lshlrev_b64_e32 v[0:1], 7, v[43:44]
	s_wait_alu 0xfffd
	v_subrev_co_ci_u32_e64 v46, null, 0, v2, vcc_lo
	v_add_co_u32 v47, vcc_lo, s10, v0
	s_delay_alu instid0(VALU_DEP_2)
	v_cmp_lt_i64_e64 s2, v[43:44], v[45:46]
	s_wait_alu 0xfffd
	v_add_co_ci_u32_e64 v48, null, s11, v1, vcc_lo
	s_cbranch_scc1 .LBB34_23
; %bb.12:
	v_dual_mov_b32 v63, 0 :: v_dual_mov_b32 v62, 0
	v_dual_mov_b32 v61, 0 :: v_dual_mov_b32 v60, 0
	;; [unrolled: 1-line block ×3, first 2 shown]
	v_mov_b32_e32 v42, 0
	s_and_saveexec_b32 s3, s2
	s_cbranch_execz .LBB34_22
; %bb.13:
	v_or_b32_e32 v0, 64, v57
	v_not_b32_e32 v3, v49
	v_not_b32_e32 v2, v50
	v_mov_b32_e32 v52, v48
	v_mov_b32_e32 v54, v44
	v_sub_co_u32 v0, s6, v0, s12
	s_wait_alu 0xf1ff
	v_sub_co_ci_u32_e64 v1, null, 0, 0, s6
	v_sub_co_u32 v4, s6, s12, v57
	s_delay_alu instid0(VALU_DEP_3) | instskip(SKIP_1) | instid1(VALU_DEP_3)
	v_add_co_u32 v0, vcc_lo, v0, v49
	s_wait_alu 0xfffd
	v_add_co_ci_u32_e64 v1, null, v1, v50, vcc_lo
	s_wait_alu 0xf1ff
	v_sub_co_ci_u32_e64 v5, null, 0, 0, s6
	v_mov_b32_e32 v53, v43
	s_delay_alu instid0(VALU_DEP_3)
	v_cmp_gt_i64_e32 vcc_lo, v[0:1], v[45:46]
	v_mov_b32_e32 v42, 0
	s_mov_b32 s6, exec_lo
	v_mov_b32_e32 v51, v47
	s_wait_alu 0xfffd
	v_dual_cndmask_b32 v1, v46, v1 :: v_dual_cndmask_b32 v0, v45, v0
	v_mov_b32_e32 v59, v42
	v_add_co_u32 v3, vcc_lo, v4, v3
	s_wait_alu 0xfffd
	v_add_co_ci_u32_e64 v2, null, v5, v2, vcc_lo
	v_dual_mov_b32 v60, v42 :: v_dual_mov_b32 v61, v42
	s_delay_alu instid0(VALU_DEP_3)
	v_add_co_u32 v0, vcc_lo, v3, v0
	v_mov_b32_e32 v64, v42
	v_dual_mov_b32 v62, v42 :: v_dual_mov_b32 v63, v42
	s_wait_alu 0xfffd
	v_add_co_ci_u32_e64 v1, null, v2, v1, vcc_lo
	v_dual_mov_b32 v58, v42 :: v_dual_and_b32 v41, 0xc0, v0
	s_delay_alu instid0(VALU_DEP_1)
	v_cmpx_ne_u64_e32 0xc0, v[41:42]
	s_cbranch_execz .LBB34_17
; %bb.14:
	v_lshrrev_b32_e32 v2, 6, v0
	v_dual_mov_b32 v52, v48 :: v_dual_mov_b32 v61, 0
	v_dual_mov_b32 v54, v44 :: v_dual_mov_b32 v63, 0
	s_delay_alu instid0(VALU_DEP_3) | instskip(SKIP_2) | instid1(VALU_DEP_3)
	v_dual_mov_b32 v51, v47 :: v_dual_add_nc_u32 v4, 1, v2
	v_lshlrev_b64_e32 v[2:3], 2, v[43:44]
	v_dual_mov_b32 v58, 0 :: v_dual_mov_b32 v53, v43
	v_dual_mov_b32 v59, 0 :: v_dual_and_b32 v4, 3, v4
	v_mov_b32_e32 v62, 0
	s_delay_alu instid0(VALU_DEP_4) | instskip(NEXT) | instid1(VALU_DEP_3)
	v_add_co_u32 v2, vcc_lo, s8, v2
	v_sub_co_u32 v4, s7, 0, v4
	s_wait_alu 0xfffd
	v_add_co_ci_u32_e64 v3, null, s9, v3, vcc_lo
	s_wait_alu 0xf1ff
	v_sub_co_ci_u32_e64 v5, null, 0, 0, s7
	v_mov_b32_e32 v60, 0
	v_mov_b32_e32 v64, 0
	v_mov_b32_e32 v42, 0
	s_mov_b32 s7, 0
.LBB34_15:                              ; =>This Inner Loop Header: Depth=1
	global_load_b32 v34, v[2:3], off
	s_clause 0x7
	global_load_b128 v[6:9], v[51:52], off offset:48
	global_load_b128 v[10:13], v[51:52], off offset:32
	;; [unrolled: 1-line block ×3, first 2 shown]
	global_load_b128 v[18:21], v[51:52], off
	global_load_b128 v[22:25], v[51:52], off offset:112
	global_load_b128 v[26:29], v[51:52], off offset:96
	;; [unrolled: 1-line block ×4, first 2 shown]
	s_wait_loadcnt 0x8
	v_subrev_nc_u32_e32 v34, s12, v34
	s_delay_alu instid0(VALU_DEP_1) | instskip(NEXT) | instid1(VALU_DEP_1)
	v_lshlrev_b32_e32 v34, 2, v34
	v_ashrrev_i32_e32 v35, 31, v34
	s_delay_alu instid0(VALU_DEP_1) | instskip(SKIP_1) | instid1(VALU_DEP_1)
	v_lshlrev_b64_e32 v[34:35], 3, v[34:35]
	s_wait_kmcnt 0x0
	v_add_co_u32 v34, vcc_lo, s4, v34
	s_wait_alu 0xfffd
	s_delay_alu instid0(VALU_DEP_2)
	v_add_co_ci_u32_e64 v35, null, s5, v35, vcc_lo
	v_add_co_u32 v51, vcc_lo, 0x2000, v51
	s_wait_alu 0xfffd
	v_add_co_ci_u32_e64 v52, null, 0, v52, vcc_lo
	s_clause 0x1
	global_load_b128 v[69:72], v[34:35], off
	global_load_b128 v[73:76], v[34:35], off offset:16
	v_add_co_u32 v53, vcc_lo, v53, 64
	s_wait_alu 0xfffd
	v_add_co_ci_u32_e64 v54, null, 0, v54, vcc_lo
	v_add_co_u32 v4, vcc_lo, v4, 1
	s_wait_alu 0xfffd
	v_add_co_ci_u32_e64 v5, null, 0, v5, vcc_lo
	;; [unrolled: 3-line block ×3, first 2 shown]
	s_delay_alu instid0(VALU_DEP_3)
	v_cmp_eq_u64_e32 vcc_lo, 0, v[4:5]
	s_wait_alu 0xfffe
	s_or_b32 s7, vcc_lo, s7
	s_wait_loadcnt 0x1
	v_fmac_f32_e32 v63, v18, v69
	v_fmac_f32_e32 v59, v27, v69
	;; [unrolled: 1-line block ×4, first 2 shown]
	s_delay_alu instid0(VALU_DEP_4) | instskip(SKIP_3) | instid1(VALU_DEP_4)
	v_fma_f32 v19, -v19, v70, v63
	v_fmac_f32_e32 v64, v10, v69
	v_fmac_f32_e32 v59, v26, v70
	;; [unrolled: 1-line block ×3, first 2 shown]
	v_dual_fmac_f32 v58, v18, v70 :: v_dual_fmac_f32 v19, v20, v71
	s_delay_alu instid0(VALU_DEP_4) | instskip(NEXT) | instid1(VALU_DEP_4)
	v_fma_f32 v11, -v11, v70, v64
	v_fmac_f32_e32 v59, v29, v71
	v_fmac_f32_e32 v62, v65, v69
	v_dual_fmac_f32 v61, v26, v69 :: v_dual_fmac_f32 v60, v65, v70
	s_delay_alu instid0(VALU_DEP_4)
	v_fmac_f32_e32 v11, v12, v71
	v_fma_f32 v19, -v21, v72, v19
	v_dual_fmac_f32 v59, v28, v72 :: v_dual_fmac_f32 v42, v10, v70
	v_fma_f32 v10, -v66, v70, v62
	v_fma_f32 v18, -v27, v70, v61
	s_wait_loadcnt 0x0
	v_dual_fmac_f32 v58, v21, v71 :: v_dual_fmac_f32 v19, v14, v73
	v_fmac_f32_e32 v60, v68, v71
	v_fma_f32 v11, -v13, v72, v11
	v_dual_fmac_f32 v18, v28, v71 :: v_dual_fmac_f32 v59, v23, v73
	v_fmac_f32_e32 v42, v13, v71
	s_delay_alu instid0(VALU_DEP_3) | instskip(SKIP_2) | instid1(VALU_DEP_4)
	v_dual_fmac_f32 v10, v67, v71 :: v_dual_fmac_f32 v11, v6, v73
	v_fma_f32 v13, -v15, v74, v19
	v_fmac_f32_e32 v60, v67, v72
	v_fmac_f32_e32 v42, v12, v72
	v_fma_f32 v12, -v29, v72, v18
	v_dual_fmac_f32 v59, v22, v74 :: v_dual_fmac_f32 v58, v20, v72
	v_fma_f32 v10, -v68, v72, v10
	v_dual_fmac_f32 v13, v16, v75 :: v_dual_fmac_f32 v60, v31, v73
	s_delay_alu instid0(VALU_DEP_3) | instskip(SKIP_1) | instid1(VALU_DEP_4)
	v_dual_fmac_f32 v12, v22, v73 :: v_dual_fmac_f32 v59, v25, v75
	v_fmac_f32_e32 v42, v7, v73
	v_fmac_f32_e32 v10, v30, v73
	v_fma_f32 v7, -v7, v74, v11
	v_fmac_f32_e32 v58, v15, v73
	v_dual_fmac_f32 v60, v30, v74 :: v_dual_fmac_f32 v59, v24, v76
	v_fmac_f32_e32 v42, v6, v74
	v_fma_f32 v6, -v31, v74, v10
	v_fma_f32 v10, -v23, v74, v12
	v_dual_fmac_f32 v7, v8, v75 :: v_dual_fmac_f32 v58, v14, v74
	s_delay_alu instid0(VALU_DEP_4) | instskip(NEXT) | instid1(VALU_DEP_4)
	v_fmac_f32_e32 v42, v9, v75
	v_fmac_f32_e32 v6, v32, v75
	;; [unrolled: 1-line block ×5, first 2 shown]
	v_fma_f32 v63, -v17, v76, v13
	v_fma_f32 v64, -v9, v76, v7
	v_fmac_f32_e32 v42, v8, v76
	v_fma_f32 v62, -v33, v76, v6
	v_fmac_f32_e32 v58, v16, v76
	v_fmac_f32_e32 v60, v32, v76
	v_fma_f32 v61, -v25, v76, v10
	s_wait_alu 0xfffe
	s_and_not1_b32 exec_lo, exec_lo, s7
	s_cbranch_execnz .LBB34_15
; %bb.16:
	s_or_b32 exec_lo, exec_lo, s7
.LBB34_17:
	s_wait_alu 0xfffe
	s_or_b32 exec_lo, exec_lo, s6
	s_delay_alu instid0(SALU_CYCLE_1)
	s_mov_b32 s6, exec_lo
	v_cmpx_lt_u64_e32 0xbf, v[0:1]
	s_cbranch_execz .LBB34_21
; %bb.18:
	v_lshlrev_b64_e32 v[0:1], 2, v[53:54]
	s_mov_b32 s7, 0
	s_delay_alu instid0(VALU_DEP_1) | instskip(SKIP_1) | instid1(VALU_DEP_2)
	v_add_co_u32 v0, vcc_lo, s8, v0
	s_wait_alu 0xfffd
	v_add_co_ci_u32_e64 v1, null, s9, v1, vcc_lo
	s_delay_alu instid0(VALU_DEP_2) | instskip(SKIP_1) | instid1(VALU_DEP_2)
	v_add_co_u32 v55, vcc_lo, 0x200, v0
	s_wait_alu 0xfffd
	v_add_co_ci_u32_e64 v56, null, 0, v1, vcc_lo
.LBB34_19:                              ; =>This Inner Loop Header: Depth=1
	s_clause 0x3
	global_load_b32 v41, v[55:56], off offset:-512
	global_load_b32 v157, v[55:56], off offset:-256
	global_load_b32 v158, v[55:56], off
	global_load_b32 v159, v[55:56], off offset:256
	s_clause 0x1f
	global_load_b128 v[65:68], v[51:52], off offset:48
	global_load_b128 v[69:72], v[51:52], off offset:32
	;; [unrolled: 1-line block ×3, first 2 shown]
	global_load_b128 v[77:80], v[51:52], off
	global_load_b128 v[81:84], v[51:52], off offset:112
	global_load_b128 v[85:88], v[51:52], off offset:96
	;; [unrolled: 1-line block ×28, first 2 shown]
	s_wait_loadcnt 0x23
	v_subrev_nc_u32_e32 v41, s12, v41
	s_wait_loadcnt 0x22
	v_subrev_nc_u32_e32 v160, s12, v157
	;; [unrolled: 2-line block ×4, first 2 shown]
	v_lshlrev_b32_e32 v157, 2, v41
	v_lshlrev_b32_e32 v159, 2, v160
	;; [unrolled: 1-line block ×3, first 2 shown]
	s_delay_alu instid0(VALU_DEP_4) | instskip(NEXT) | instid1(VALU_DEP_4)
	v_lshlrev_b32_e32 v163, 2, v162
	v_ashrrev_i32_e32 v158, 31, v157
	s_delay_alu instid0(VALU_DEP_4) | instskip(NEXT) | instid1(VALU_DEP_4)
	v_ashrrev_i32_e32 v160, 31, v159
	v_ashrrev_i32_e32 v162, 31, v161
	s_delay_alu instid0(VALU_DEP_4) | instskip(NEXT) | instid1(VALU_DEP_4)
	v_ashrrev_i32_e32 v164, 31, v163
	v_lshlrev_b64_e32 v[157:158], 3, v[157:158]
	s_delay_alu instid0(VALU_DEP_4) | instskip(NEXT) | instid1(VALU_DEP_4)
	v_lshlrev_b64_e32 v[159:160], 3, v[159:160]
	v_lshlrev_b64_e32 v[161:162], 3, v[161:162]
	s_delay_alu instid0(VALU_DEP_4) | instskip(SKIP_1) | instid1(VALU_DEP_4)
	v_lshlrev_b64_e32 v[163:164], 3, v[163:164]
	s_wait_kmcnt 0x0
	v_add_co_u32 v165, vcc_lo, s4, v157
	s_wait_alu 0xfffd
	v_add_co_ci_u32_e64 v166, null, s5, v158, vcc_lo
	v_add_co_u32 v169, vcc_lo, s4, v159
	s_wait_alu 0xfffd
	v_add_co_ci_u32_e64 v170, null, s5, v160, vcc_lo
	;; [unrolled: 3-line block ×4, first 2 shown]
	s_clause 0x2
	global_load_b128 v[157:160], v[165:166], off
	global_load_b128 v[161:164], v[165:166], off offset:16
	global_load_b128 v[165:168], v[169:170], off
	v_add_co_u32 v53, vcc_lo, 0x100, v53
	s_wait_alu 0xfffd
	v_add_co_ci_u32_e64 v54, null, 0, v54, vcc_lo
	v_add_co_u32 v51, vcc_lo, 0x8000, v51
	s_wait_alu 0xfffd
	v_add_co_ci_u32_e64 v52, null, 0, v52, vcc_lo
	;; [unrolled: 3-line block ×3, first 2 shown]
	v_cmp_ge_i64_e32 vcc_lo, v[53:54], v[45:46]
	s_wait_alu 0xfffe
	s_or_b32 s7, vcc_lo, s7
	s_wait_loadcnt 0x2
	v_fmac_f32_e32 v42, v70, v157
	v_fmac_f32_e32 v58, v78, v157
	;; [unrolled: 1-line block ×9, first 2 shown]
	s_delay_alu instid0(VALU_DEP_4) | instskip(NEXT) | instid1(VALU_DEP_4)
	v_dual_fmac_f32 v59, v85, v158 :: v_dual_fmac_f32 v42, v72, v159
	v_fma_f32 v41, -v78, v158, v63
	s_delay_alu instid0(VALU_DEP_4)
	v_fmac_f32_e32 v58, v80, v159
	v_fma_f32 v63, -v70, v158, v64
	v_fma_f32 v61, -v86, v158, v61
	v_fmac_f32_e32 v42, v71, v160
	v_fmac_f32_e32 v41, v79, v159
	;; [unrolled: 1-line block ×3, first 2 shown]
	v_dual_fmac_f32 v63, v71, v159 :: v_dual_fmac_f32 v62, v93, v157
	v_fmac_f32_e32 v61, v87, v159
	s_delay_alu instid0(VALU_DEP_4)
	v_fma_f32 v41, -v80, v160, v41
	global_load_b128 v[77:80], v[169:170], off offset:16
	v_fma_f32 v63, -v72, v160, v63
	s_clause 0x1
	global_load_b128 v[69:72], v[171:172], off
	global_load_b128 v[169:172], v[171:172], off offset:16
	v_fma_f32 v62, -v94, v158, v62
	v_dual_fmac_f32 v60, v93, v158 :: v_dual_fmac_f32 v59, v88, v159
	s_wait_loadcnt 0x4
	v_fmac_f32_e32 v41, v73, v161
	v_fma_f32 v61, -v88, v160, v61
	v_fmac_f32_e32 v62, v95, v159
	v_dual_fmac_f32 v60, v96, v159 :: v_dual_fmac_f32 v59, v87, v160
	global_load_b128 v[85:88], v[173:174], off offset:16
	v_fma_f32 v41, -v74, v162, v41
	v_fma_f32 v62, -v96, v160, v62
	v_dual_fmac_f32 v60, v95, v160 :: v_dual_fmac_f32 v63, v65, v161
	global_load_b128 v[93:96], v[173:174], off
	v_fmac_f32_e32 v59, v82, v161
	v_fmac_f32_e32 v58, v74, v161
	v_dual_fmac_f32 v42, v66, v161 :: v_dual_fmac_f32 v41, v75, v163
	v_fma_f32 v63, -v66, v162, v63
	s_delay_alu instid0(VALU_DEP_4) | instskip(NEXT) | instid1(VALU_DEP_4)
	v_fmac_f32_e32 v59, v81, v162
	v_fmac_f32_e32 v58, v73, v162
	;; [unrolled: 1-line block ×4, first 2 shown]
	v_fma_f32 v41, -v76, v164, v41
	v_fmac_f32_e32 v59, v84, v163
	v_fmac_f32_e32 v58, v76, v163
	v_fma_f32 v61, -v82, v162, v61
	v_fmac_f32_e32 v60, v90, v161
	v_dual_fmac_f32 v62, v89, v161 :: v_dual_fmac_f32 v63, v67, v163
	v_fmac_f32_e32 v59, v83, v164
	s_delay_alu instid0(VALU_DEP_3) | instskip(SKIP_2) | instid1(VALU_DEP_3)
	v_dual_fmac_f32 v61, v83, v163 :: v_dual_fmac_f32 v60, v89, v162
	s_wait_loadcnt 0x5
	v_dual_fmac_f32 v42, v68, v163 :: v_dual_fmac_f32 v41, v109, v165
	v_dual_fmac_f32 v58, v75, v164 :: v_dual_fmac_f32 v59, v118, v165
	v_fma_f32 v62, -v90, v162, v62
	v_fma_f32 v63, -v68, v164, v63
	s_delay_alu instid0(VALU_DEP_4)
	v_fmac_f32_e32 v42, v67, v164
	v_fma_f32 v61, -v84, v164, v61
	v_fmac_f32_e32 v60, v92, v163
	v_fma_f32 v41, -v110, v166, v41
	v_dual_fmac_f32 v59, v117, v166 :: v_dual_fmac_f32 v62, v91, v163
	v_fmac_f32_e32 v63, v101, v165
	s_delay_alu instid0(VALU_DEP_3) | instskip(SKIP_1) | instid1(VALU_DEP_4)
	v_dual_fmac_f32 v58, v110, v165 :: v_dual_fmac_f32 v41, v111, v167
	v_dual_fmac_f32 v61, v117, v165 :: v_dual_fmac_f32 v60, v91, v164
	v_fmac_f32_e32 v59, v120, v167
	s_delay_alu instid0(VALU_DEP_4) | instskip(NEXT) | instid1(VALU_DEP_4)
	v_fma_f32 v63, -v102, v166, v63
	v_fma_f32 v41, -v112, v168, v41
	;; [unrolled: 1-line block ×3, first 2 shown]
	s_delay_alu instid0(VALU_DEP_4) | instskip(SKIP_4) | instid1(VALU_DEP_3)
	v_dual_fmac_f32 v60, v126, v165 :: v_dual_fmac_f32 v59, v119, v168
	v_fmac_f32_e32 v58, v109, v166
	v_dual_fmac_f32 v42, v102, v165 :: v_dual_fmac_f32 v63, v103, v167
	v_fma_f32 v61, -v118, v166, v61
	v_fmac_f32_e32 v62, v125, v165
	v_fma_f32 v63, -v104, v168, v63
	s_delay_alu instid0(VALU_DEP_3) | instskip(NEXT) | instid1(VALU_DEP_3)
	v_fmac_f32_e32 v61, v119, v167
	v_fma_f32 v62, -v126, v166, v62
	s_delay_alu instid0(VALU_DEP_2) | instskip(SKIP_1) | instid1(VALU_DEP_1)
	v_fma_f32 v61, -v120, v168, v61
	s_wait_loadcnt 0x4
	v_dual_fmac_f32 v62, v127, v167 :: v_dual_fmac_f32 v61, v113, v77
	v_fmac_f32_e32 v41, v105, v77
	v_dual_fmac_f32 v59, v114, v77 :: v_dual_fmac_f32 v58, v112, v167
	v_fmac_f32_e32 v63, v97, v77
	s_delay_alu instid0(VALU_DEP_4) | instskip(NEXT) | instid1(VALU_DEP_4)
	v_fma_f32 v61, -v114, v78, v61
	v_fma_f32 v41, -v106, v78, v41
	v_fmac_f32_e32 v42, v101, v166
	v_fma_f32 v62, -v128, v168, v62
	v_fma_f32 v63, -v98, v78, v63
	s_delay_alu instid0(VALU_DEP_4) | instskip(NEXT) | instid1(VALU_DEP_4)
	v_dual_fmac_f32 v60, v125, v166 :: v_dual_fmac_f32 v41, v107, v79
	v_dual_fmac_f32 v42, v104, v167 :: v_dual_fmac_f32 v59, v113, v78
	v_fmac_f32_e32 v58, v111, v168
	s_delay_alu instid0(VALU_DEP_4) | instskip(NEXT) | instid1(VALU_DEP_4)
	v_fmac_f32_e32 v63, v99, v79
	v_fmac_f32_e32 v60, v128, v167
	;; [unrolled: 1-line block ×3, first 2 shown]
	s_delay_alu instid0(VALU_DEP_4) | instskip(SKIP_2) | instid1(VALU_DEP_4)
	v_dual_fmac_f32 v59, v116, v79 :: v_dual_fmac_f32 v58, v106, v77
	v_fma_f32 v41, -v108, v80, v41
	v_fmac_f32_e32 v42, v103, v168
	v_fma_f32 v61, -v116, v80, v61
	s_delay_alu instid0(VALU_DEP_4)
	v_dual_fmac_f32 v59, v115, v80 :: v_dual_fmac_f32 v58, v105, v78
	s_wait_loadcnt 0x3
	v_fmac_f32_e32 v41, v129, v69
	v_fmac_f32_e32 v42, v98, v77
	;; [unrolled: 1-line block ×3, first 2 shown]
	v_dual_fmac_f32 v59, v33, v69 :: v_dual_fmac_f32 v58, v108, v79
	v_fmac_f32_e32 v62, v121, v77
	v_fma_f32 v63, -v100, v80, v63
	s_delay_alu instid0(VALU_DEP_3) | instskip(SKIP_2) | instid1(VALU_DEP_4)
	v_dual_fmac_f32 v60, v127, v168 :: v_dual_fmac_f32 v59, v32, v70
	v_fmac_f32_e32 v42, v97, v78
	v_fma_f32 v41, -v130, v70, v41
	v_fmac_f32_e32 v63, v28, v69
	s_delay_alu instid0(VALU_DEP_4) | instskip(NEXT) | instid1(VALU_DEP_4)
	v_dual_fmac_f32 v60, v122, v77 :: v_dual_fmac_f32 v59, v35, v71
	v_fmac_f32_e32 v42, v100, v79
	v_fma_f32 v33, -v33, v70, v61
	s_delay_alu instid0(VALU_DEP_3) | instskip(NEXT) | instid1(VALU_DEP_4)
	v_dual_fmac_f32 v41, v131, v71 :: v_dual_fmac_f32 v60, v121, v78
	v_fmac_f32_e32 v59, v34, v72
	v_fma_f32 v62, -v122, v78, v62
	s_delay_alu instid0(VALU_DEP_4) | instskip(NEXT) | instid1(VALU_DEP_4)
	v_fmac_f32_e32 v33, v34, v71
	v_fma_f32 v32, -v132, v72, v41
	s_wait_loadcnt 0x2
	v_dual_fmac_f32 v60, v124, v79 :: v_dual_fmac_f32 v59, v13, v169
	v_fmac_f32_e32 v58, v107, v80
	s_delay_alu instid0(VALU_DEP_3) | instskip(NEXT) | instid1(VALU_DEP_2)
	v_fmac_f32_e32 v32, v16, v169
	v_dual_fmac_f32 v59, v12, v170 :: v_dual_fmac_f32 v58, v130, v69
	s_delay_alu instid0(VALU_DEP_1) | instskip(NEXT) | instid1(VALU_DEP_1)
	v_dual_fmac_f32 v59, v15, v171 :: v_dual_fmac_f32 v58, v129, v70
	v_dual_fmac_f32 v59, v14, v172 :: v_dual_fmac_f32 v58, v132, v71
	s_wait_loadcnt 0x0
	s_delay_alu instid0(VALU_DEP_1) | instskip(NEXT) | instid1(VALU_DEP_1)
	v_dual_fmac_f32 v59, v146, v93 :: v_dual_fmac_f32 v58, v131, v72
	v_fmac_f32_e32 v59, v145, v94
	s_delay_alu instid0(VALU_DEP_2) | instskip(SKIP_1) | instid1(VALU_DEP_3)
	v_fmac_f32_e32 v58, v17, v169
	v_fma_f32 v17, -v17, v170, v32
	v_dual_fmac_f32 v42, v99, v80 :: v_dual_fmac_f32 v59, v148, v95
	s_delay_alu instid0(VALU_DEP_2) | instskip(NEXT) | instid1(VALU_DEP_2)
	v_dual_fmac_f32 v58, v16, v170 :: v_dual_fmac_f32 v17, v18, v171
	v_fmac_f32_e32 v42, v29, v69
	v_fma_f32 v29, -v29, v70, v63
	s_delay_alu instid0(VALU_DEP_4) | instskip(NEXT) | instid1(VALU_DEP_4)
	v_fmac_f32_e32 v59, v147, v96
	v_fmac_f32_e32 v58, v19, v171
	s_delay_alu instid0(VALU_DEP_3) | instskip(NEXT) | instid1(VALU_DEP_3)
	v_dual_fmac_f32 v42, v28, v70 :: v_dual_fmac_f32 v29, v30, v71
	v_fmac_f32_e32 v59, v142, v85
	s_delay_alu instid0(VALU_DEP_3) | instskip(NEXT) | instid1(VALU_DEP_3)
	v_fmac_f32_e32 v58, v18, v172
	v_fmac_f32_e32 v42, v31, v71
	s_delay_alu instid0(VALU_DEP_4) | instskip(NEXT) | instid1(VALU_DEP_4)
	v_fma_f32 v29, -v31, v72, v29
	v_dual_fmac_f32 v62, v123, v79 :: v_dual_fmac_f32 v59, v141, v86
	s_delay_alu instid0(VALU_DEP_4) | instskip(NEXT) | instid1(VALU_DEP_3)
	v_fmac_f32_e32 v58, v138, v93
	v_dual_fmac_f32 v42, v30, v72 :: v_dual_fmac_f32 v29, v8, v169
	s_delay_alu instid0(VALU_DEP_3) | instskip(SKIP_1) | instid1(VALU_DEP_3)
	v_fma_f32 v62, -v124, v80, v62
	v_fma_f32 v30, -v35, v72, v33
	v_dual_fmac_f32 v59, v144, v87 :: v_dual_fmac_f32 v42, v9, v169
	s_delay_alu instid0(VALU_DEP_4) | instskip(NEXT) | instid1(VALU_DEP_4)
	v_fma_f32 v9, -v9, v170, v29
	v_fmac_f32_e32 v62, v133, v69
	v_fmac_f32_e32 v60, v123, v80
	;; [unrolled: 1-line block ×3, first 2 shown]
	v_fma_f32 v12, -v19, v172, v17
	v_dual_fmac_f32 v9, v10, v171 :: v_dual_fmac_f32 v42, v8, v170
	s_delay_alu instid0(VALU_DEP_4) | instskip(SKIP_1) | instid1(VALU_DEP_4)
	v_fmac_f32_e32 v60, v134, v69
	v_fma_f32 v28, -v134, v70, v62
	v_fmac_f32_e32 v12, v137, v93
	s_delay_alu instid0(VALU_DEP_4)
	v_fma_f32 v9, -v11, v172, v9
	v_fmac_f32_e32 v42, v11, v171
	v_fma_f32 v13, -v13, v170, v30
	v_fmac_f32_e32 v58, v137, v94
	v_fma_f32 v11, -v138, v94, v12
	v_dual_fmac_f32 v9, v20, v93 :: v_dual_fmac_f32 v60, v133, v70
	s_delay_alu instid0(VALU_DEP_4) | instskip(NEXT) | instid1(VALU_DEP_3)
	v_fmac_f32_e32 v13, v14, v171
	v_dual_fmac_f32 v42, v10, v172 :: v_dual_fmac_f32 v11, v139, v95
	s_delay_alu instid0(VALU_DEP_3) | instskip(NEXT) | instid1(VALU_DEP_4)
	v_fma_f32 v9, -v21, v94, v9
	v_fmac_f32_e32 v60, v136, v71
	s_delay_alu instid0(VALU_DEP_4) | instskip(NEXT) | instid1(VALU_DEP_4)
	v_fma_f32 v10, -v15, v172, v13
	v_fmac_f32_e32 v42, v21, v93
	v_fma_f32 v11, -v140, v96, v11
	s_delay_alu instid0(VALU_DEP_4) | instskip(NEXT) | instid1(VALU_DEP_4)
	v_dual_fmac_f32 v9, v22, v95 :: v_dual_fmac_f32 v60, v135, v72
	v_fmac_f32_e32 v10, v145, v93
	s_delay_alu instid0(VALU_DEP_4) | instskip(NEXT) | instid1(VALU_DEP_4)
	v_fmac_f32_e32 v42, v20, v94
	v_fmac_f32_e32 v11, v4, v85
	s_delay_alu instid0(VALU_DEP_4) | instskip(SKIP_3) | instid1(VALU_DEP_4)
	v_fma_f32 v9, -v23, v96, v9
	v_fmac_f32_e32 v28, v135, v71
	v_fmac_f32_e32 v60, v25, v169
	v_fma_f32 v10, -v146, v94, v10
	v_dual_fmac_f32 v42, v23, v95 :: v_dual_fmac_f32 v9, v0, v85
	s_delay_alu instid0(VALU_DEP_4) | instskip(NEXT) | instid1(VALU_DEP_4)
	v_fma_f32 v28, -v136, v72, v28
	v_fmac_f32_e32 v60, v24, v170
	v_fmac_f32_e32 v58, v140, v95
	;; [unrolled: 1-line block ×4, first 2 shown]
	v_dual_fmac_f32 v28, v24, v169 :: v_dual_fmac_f32 v59, v143, v88
	v_fmac_f32_e32 v60, v27, v171
	v_fmac_f32_e32 v58, v139, v96
	v_fma_f32 v10, -v148, v96, v10
	v_fmac_f32_e32 v42, v1, v85
	v_fma_f32 v1, -v1, v86, v9
	;; [unrolled: 2-line block ×3, first 2 shown]
	v_fmac_f32_e32 v58, v5, v85
	v_fmac_f32_e32 v10, v141, v85
	v_fma_f32 v5, -v5, v86, v11
	v_fmac_f32_e32 v60, v150, v93
	v_dual_fmac_f32 v42, v0, v86 :: v_dual_fmac_f32 v1, v2, v87
	v_fmac_f32_e32 v8, v26, v171
	v_fmac_f32_e32 v58, v4, v86
	s_delay_alu instid0(VALU_DEP_4)
	v_fmac_f32_e32 v60, v149, v94
	v_fma_f32 v4, -v142, v86, v10
	v_fmac_f32_e32 v5, v6, v87
	v_fmac_f32_e32 v42, v3, v87
	v_fma_f32 v64, -v3, v88, v1
	v_fma_f32 v8, -v27, v172, v8
	v_fmac_f32_e32 v60, v152, v95
	v_fmac_f32_e32 v58, v7, v87
	;; [unrolled: 1-line block ×3, first 2 shown]
	v_fma_f32 v63, -v7, v88, v5
	v_fmac_f32_e32 v8, v149, v93
	v_fmac_f32_e32 v60, v151, v96
	v_fmac_f32_e32 v58, v6, v88
	v_fmac_f32_e32 v42, v2, v88
	v_fma_f32 v61, -v144, v88, v4
	v_fma_f32 v8, -v150, v94, v8
	v_fmac_f32_e32 v60, v154, v85
	s_delay_alu instid0(VALU_DEP_2) | instskip(NEXT) | instid1(VALU_DEP_2)
	v_fmac_f32_e32 v8, v151, v95
	v_fmac_f32_e32 v60, v153, v86
	s_delay_alu instid0(VALU_DEP_2) | instskip(NEXT) | instid1(VALU_DEP_2)
	v_fma_f32 v8, -v152, v96, v8
	v_fmac_f32_e32 v60, v156, v87
	s_delay_alu instid0(VALU_DEP_2) | instskip(NEXT) | instid1(VALU_DEP_2)
	v_fmac_f32_e32 v8, v153, v85
	v_fmac_f32_e32 v60, v155, v88
	s_delay_alu instid0(VALU_DEP_2) | instskip(NEXT) | instid1(VALU_DEP_1)
	v_fma_f32 v0, -v154, v86, v8
	v_fmac_f32_e32 v0, v155, v87
	s_delay_alu instid0(VALU_DEP_1)
	v_fma_f32 v62, -v156, v88, v0
	s_wait_alu 0xfffe
	s_and_not1_b32 exec_lo, exec_lo, s7
	s_cbranch_execnz .LBB34_19
; %bb.20:
	s_or_b32 exec_lo, exec_lo, s7
.LBB34_21:
	s_wait_alu 0xfffe
	s_or_b32 exec_lo, exec_lo, s6
.LBB34_22:
	s_wait_alu 0xfffe
	s_or_b32 exec_lo, exec_lo, s3
	s_cbranch_execz .LBB34_24
	s_branch .LBB34_35
.LBB34_23:
                                        ; implicit-def: $vgpr58
                                        ; implicit-def: $vgpr63
                                        ; implicit-def: $vgpr61
                                        ; implicit-def: $vgpr59
                                        ; implicit-def: $vgpr62
                                        ; implicit-def: $vgpr60
                                        ; implicit-def: $vgpr64
                                        ; implicit-def: $vgpr42
.LBB34_24:
	v_dual_mov_b32 v58, 0 :: v_dual_mov_b32 v63, 0
	v_dual_mov_b32 v61, 0 :: v_dual_mov_b32 v62, 0
	;; [unrolled: 1-line block ×3, first 2 shown]
	v_mov_b32_e32 v64, 0
	v_mov_b32_e32 v42, 0
	s_and_saveexec_b32 s3, s2
	s_cbranch_execz .LBB34_34
; %bb.25:
	v_or_b32_e32 v0, 64, v57
	v_not_b32_e32 v3, v49
	v_not_b32_e32 v2, v50
	s_delay_alu instid0(VALU_DEP_3) | instskip(SKIP_3) | instid1(VALU_DEP_3)
	v_sub_co_u32 v0, s2, v0, s12
	s_wait_alu 0xf1ff
	v_sub_co_ci_u32_e64 v1, null, 0, 0, s2
	v_sub_co_u32 v4, s2, s12, v57
	v_add_co_u32 v0, vcc_lo, v0, v49
	s_wait_alu 0xfffd
	s_delay_alu instid0(VALU_DEP_3) | instskip(SKIP_3) | instid1(VALU_DEP_3)
	v_add_co_ci_u32_e64 v1, null, v1, v50, vcc_lo
	s_wait_alu 0xf1ff
	v_sub_co_ci_u32_e64 v5, null, 0, 0, s2
	v_add_co_u32 v3, s2, v4, v3
	v_cmp_gt_i64_e32 vcc_lo, v[0:1], v[45:46]
	s_wait_alu 0xf1ff
	s_delay_alu instid0(VALU_DEP_3) | instskip(SKIP_3) | instid1(VALU_DEP_1)
	v_add_co_ci_u32_e64 v2, null, v5, v2, s2
	s_mov_b32 s2, exec_lo
	s_wait_alu 0xfffd
	v_dual_cndmask_b32 v1, v46, v1 :: v_dual_cndmask_b32 v0, v45, v0
	v_add_co_u32 v0, vcc_lo, v3, v0
	v_mov_b32_e32 v42, 0
	s_wait_alu 0xfffd
	s_delay_alu instid0(VALU_DEP_3) | instskip(NEXT) | instid1(VALU_DEP_2)
	v_add_co_ci_u32_e64 v1, null, v2, v1, vcc_lo
	v_dual_mov_b32 v64, v42 :: v_dual_and_b32 v41, 0xc0, v0
	v_dual_mov_b32 v59, v42 :: v_dual_mov_b32 v60, v42
	v_dual_mov_b32 v61, v42 :: v_dual_mov_b32 v62, v42
	v_dual_mov_b32 v63, v42 :: v_dual_mov_b32 v58, v42
	s_delay_alu instid0(VALU_DEP_4)
	v_cmpx_ne_u64_e32 0xc0, v[41:42]
	s_cbranch_execz .LBB34_29
; %bb.26:
	v_lshrrev_b32_e32 v2, 6, v0
	v_dual_mov_b32 v58, 0 :: v_dual_mov_b32 v63, 0
	v_mov_b32_e32 v62, 0
	v_mov_b32_e32 v60, 0
	s_delay_alu instid0(VALU_DEP_4) | instskip(SKIP_2) | instid1(VALU_DEP_3)
	v_dual_mov_b32 v61, 0 :: v_dual_add_nc_u32 v4, 1, v2
	v_lshlrev_b64_e32 v[2:3], 2, v[43:44]
	v_dual_mov_b32 v59, 0 :: v_dual_mov_b32 v64, 0
	v_and_b32_e32 v4, 3, v4
	v_mov_b32_e32 v42, 0
	s_delay_alu instid0(VALU_DEP_4) | instskip(NEXT) | instid1(VALU_DEP_3)
	v_add_co_u32 v2, vcc_lo, s8, v2
	v_sub_co_u32 v4, s6, 0, v4
	s_wait_alu 0xfffd
	v_add_co_ci_u32_e64 v3, null, s9, v3, vcc_lo
	s_wait_alu 0xf1ff
	v_sub_co_ci_u32_e64 v5, null, 0, 0, s6
	s_mov_b32 s6, 0
.LBB34_27:                              ; =>This Inner Loop Header: Depth=1
	global_load_b32 v18, v[2:3], off
	s_clause 0x2
	global_load_b128 v[6:9], v[47:48], off offset:32
	global_load_b128 v[10:13], v[47:48], off offset:16
	global_load_b128 v[14:17], v[47:48], off
	s_wait_loadcnt 0x3
	v_subrev_nc_u32_e32 v18, s12, v18
	s_delay_alu instid0(VALU_DEP_1) | instskip(NEXT) | instid1(VALU_DEP_1)
	v_lshlrev_b32_e32 v18, 2, v18
	v_ashrrev_i32_e32 v19, 31, v18
	s_delay_alu instid0(VALU_DEP_1) | instskip(SKIP_1) | instid1(VALU_DEP_1)
	v_lshlrev_b64_e32 v[18:19], 3, v[18:19]
	s_wait_kmcnt 0x0
	v_add_co_u32 v22, vcc_lo, s4, v18
	s_wait_alu 0xfffd
	s_delay_alu instid0(VALU_DEP_2)
	v_add_co_ci_u32_e64 v23, null, s5, v19, vcc_lo
	s_clause 0x1
	global_load_b128 v[18:21], v[22:23], off
	global_load_b128 v[22:25], v[22:23], off offset:16
	s_clause 0x4
	global_load_b128 v[26:29], v[47:48], off offset:48
	global_load_b128 v[30:33], v[47:48], off offset:64
	;; [unrolled: 1-line block ×5, first 2 shown]
	v_add_co_u32 v47, vcc_lo, 0x2000, v47
	s_wait_alu 0xfffd
	v_add_co_ci_u32_e64 v48, null, 0, v48, vcc_lo
	v_add_co_u32 v43, vcc_lo, v43, 64
	s_wait_alu 0xfffd
	v_add_co_ci_u32_e64 v44, null, 0, v44, vcc_lo
	v_add_co_u32 v4, vcc_lo, v4, 1
	s_wait_alu 0xfffd
	v_add_co_ci_u32_e64 v5, null, 0, v5, vcc_lo
	v_add_co_u32 v2, vcc_lo, 0x100, v2
	s_wait_alu 0xfffd
	v_add_co_ci_u32_e64 v3, null, 0, v3, vcc_lo
	s_delay_alu instid0(VALU_DEP_3) | instskip(SKIP_4) | instid1(VALU_DEP_1)
	v_cmp_eq_u64_e32 vcc_lo, 0, v[4:5]
	s_wait_alu 0xfffe
	s_or_b32 s6, vcc_lo, s6
	s_wait_loadcnt 0x6
	v_fmac_f32_e32 v59, v13, v18
	v_dual_fmac_f32 v58, v15, v18 :: v_dual_fmac_f32 v59, v12, v19
	s_wait_loadcnt 0x4
	s_delay_alu instid0(VALU_DEP_1) | instskip(NEXT) | instid1(VALU_DEP_1)
	v_dual_fmac_f32 v62, v10, v18 :: v_dual_fmac_f32 v59, v29, v20
	v_dual_fmac_f32 v42, v17, v18 :: v_dual_fmac_f32 v59, v28, v21
	s_delay_alu instid0(VALU_DEP_1) | instskip(SKIP_1) | instid1(VALU_DEP_2)
	v_dual_fmac_f32 v63, v14, v18 :: v_dual_fmac_f32 v42, v16, v19
	s_wait_loadcnt 0x2
	v_fmac_f32_e32 v59, v52, v22
	s_delay_alu instid0(VALU_DEP_2) | instskip(NEXT) | instid1(VALU_DEP_2)
	v_fma_f32 v15, -v15, v19, v63
	v_dual_fmac_f32 v42, v9, v20 :: v_dual_fmac_f32 v59, v51, v23
	s_delay_alu instid0(VALU_DEP_2) | instskip(SKIP_1) | instid1(VALU_DEP_3)
	v_fmac_f32_e32 v15, v6, v20
	v_dual_fmac_f32 v61, v12, v18 :: v_dual_fmac_f32 v58, v14, v19
	v_fmac_f32_e32 v42, v8, v21
	s_wait_loadcnt 0x0
	v_fmac_f32_e32 v59, v68, v24
	s_delay_alu instid0(VALU_DEP_3) | instskip(SKIP_1) | instid1(VALU_DEP_3)
	v_fmac_f32_e32 v58, v7, v20
	v_fma_f32 v7, -v7, v21, v15
	v_dual_fmac_f32 v42, v33, v22 :: v_dual_fmac_f32 v59, v67, v25
	s_delay_alu instid0(VALU_DEP_2) | instskip(NEXT) | instid1(VALU_DEP_4)
	v_fmac_f32_e32 v7, v30, v22
	v_fmac_f32_e32 v58, v6, v21
	s_delay_alu instid0(VALU_DEP_3) | instskip(NEXT) | instid1(VALU_DEP_3)
	v_fmac_f32_e32 v42, v32, v23
	v_fma_f32 v7, -v31, v23, v7
	v_fmac_f32_e32 v60, v11, v18
	v_fma_f32 v11, -v11, v19, v62
	v_fmac_f32_e32 v64, v16, v18
	v_fmac_f32_e32 v42, v56, v24
	s_delay_alu instid0(VALU_DEP_4) | instskip(SKIP_3) | instid1(VALU_DEP_4)
	v_dual_fmac_f32 v7, v53, v24 :: v_dual_fmac_f32 v60, v10, v19
	v_fma_f32 v10, -v13, v19, v61
	v_fmac_f32_e32 v11, v26, v20
	v_fma_f32 v14, -v17, v19, v64
	v_fma_f32 v63, -v54, v25, v7
	v_fmac_f32_e32 v60, v27, v20
	v_fmac_f32_e32 v10, v28, v20
	;; [unrolled: 1-line block ×4, first 2 shown]
	v_fma_f32 v8, -v27, v21, v11
	v_fmac_f32_e32 v60, v26, v21
	s_delay_alu instid0(VALU_DEP_3) | instskip(SKIP_1) | instid1(VALU_DEP_4)
	v_fma_f32 v6, -v9, v21, v14
	v_fma_f32 v9, -v29, v21, v10
	v_fmac_f32_e32 v8, v49, v22
	s_delay_alu instid0(VALU_DEP_4) | instskip(NEXT) | instid1(VALU_DEP_4)
	v_fmac_f32_e32 v60, v50, v22
	v_fmac_f32_e32 v6, v32, v22
	s_delay_alu instid0(VALU_DEP_4) | instskip(NEXT) | instid1(VALU_DEP_4)
	v_fmac_f32_e32 v9, v51, v22
	v_fma_f32 v8, -v50, v23, v8
	s_delay_alu instid0(VALU_DEP_4) | instskip(NEXT) | instid1(VALU_DEP_4)
	v_fmac_f32_e32 v60, v49, v23
	v_fma_f32 v6, -v33, v23, v6
	s_delay_alu instid0(VALU_DEP_4) | instskip(NEXT) | instid1(VALU_DEP_4)
	v_fma_f32 v9, -v52, v23, v9
	v_fmac_f32_e32 v8, v65, v24
	s_delay_alu instid0(VALU_DEP_4) | instskip(NEXT) | instid1(VALU_DEP_4)
	v_fmac_f32_e32 v60, v66, v24
	v_fmac_f32_e32 v6, v55, v24
	s_delay_alu instid0(VALU_DEP_4)
	v_fmac_f32_e32 v9, v67, v24
	v_fmac_f32_e32 v58, v31, v22
	v_fma_f32 v62, -v66, v25, v8
	v_fmac_f32_e32 v60, v65, v25
	v_fma_f32 v64, -v56, v25, v6
	v_fma_f32 v61, -v68, v25, v9
	v_fmac_f32_e32 v58, v30, v23
	s_delay_alu instid0(VALU_DEP_1) | instskip(NEXT) | instid1(VALU_DEP_1)
	v_fmac_f32_e32 v58, v54, v24
	v_fmac_f32_e32 v58, v53, v25
	s_wait_alu 0xfffe
	s_and_not1_b32 exec_lo, exec_lo, s6
	s_cbranch_execnz .LBB34_27
; %bb.28:
	s_or_b32 exec_lo, exec_lo, s6
.LBB34_29:
	s_wait_alu 0xfffe
	s_or_b32 exec_lo, exec_lo, s2
	s_delay_alu instid0(SALU_CYCLE_1)
	s_mov_b32 s2, exec_lo
	v_cmpx_lt_u64_e32 0xbf, v[0:1]
	s_cbranch_execz .LBB34_33
; %bb.30:
	v_lshlrev_b64_e32 v[0:1], 2, v[43:44]
	s_mov_b32 s6, 0
	s_delay_alu instid0(VALU_DEP_1) | instskip(SKIP_1) | instid1(VALU_DEP_2)
	v_add_co_u32 v0, vcc_lo, s8, v0
	s_wait_alu 0xfffd
	v_add_co_ci_u32_e64 v1, null, s9, v1, vcc_lo
	s_delay_alu instid0(VALU_DEP_2) | instskip(SKIP_1) | instid1(VALU_DEP_2)
	v_add_co_u32 v4, vcc_lo, 0x200, v0
	s_wait_alu 0xfffd
	v_add_co_ci_u32_e64 v5, null, 0, v1, vcc_lo
.LBB34_31:                              ; =>This Inner Loop Header: Depth=1
	s_clause 0x3
	global_load_b32 v6, v[4:5], off offset:-512
	global_load_b32 v35, v[4:5], off offset:-256
	global_load_b32 v41, v[4:5], off
	global_load_b32 v133, v[4:5], off offset:256
	s_clause 0x1a
	global_load_b128 v[7:10], v[47:48], off offset:48
	global_load_b128 v[11:14], v[47:48], off offset:32
	;; [unrolled: 1-line block ×3, first 2 shown]
	global_load_b128 v[19:22], v[47:48], off
	global_load_b128 v[23:26], v[47:48], off offset:112
	global_load_b128 v[27:30], v[47:48], off offset:96
	;; [unrolled: 1-line block ×23, first 2 shown]
	s_wait_loadcnt 0x1e
	v_subrev_nc_u32_e32 v6, s12, v6
	s_wait_loadcnt 0x1d
	v_subrev_nc_u32_e32 v35, s12, v35
	s_wait_loadcnt 0x1c
	v_subrev_nc_u32_e32 v41, s12, v41
	s_wait_loadcnt 0x1b
	v_subrev_nc_u32_e32 v134, s12, v133
	v_lshlrev_b32_e32 v133, 2, v6
	v_lshlrev_b32_e32 v135, 2, v35
	;; [unrolled: 1-line block ×3, first 2 shown]
	s_delay_alu instid0(VALU_DEP_4) | instskip(NEXT) | instid1(VALU_DEP_4)
	v_lshlrev_b32_e32 v139, 2, v134
	v_ashrrev_i32_e32 v134, 31, v133
	s_delay_alu instid0(VALU_DEP_4) | instskip(NEXT) | instid1(VALU_DEP_4)
	v_ashrrev_i32_e32 v136, 31, v135
	v_ashrrev_i32_e32 v138, 31, v137
	s_delay_alu instid0(VALU_DEP_4) | instskip(NEXT) | instid1(VALU_DEP_4)
	v_ashrrev_i32_e32 v140, 31, v139
	v_lshlrev_b64_e32 v[133:134], 3, v[133:134]
	s_delay_alu instid0(VALU_DEP_4) | instskip(NEXT) | instid1(VALU_DEP_4)
	v_lshlrev_b64_e32 v[135:136], 3, v[135:136]
	v_lshlrev_b64_e32 v[137:138], 3, v[137:138]
	s_delay_alu instid0(VALU_DEP_4) | instskip(SKIP_1) | instid1(VALU_DEP_4)
	v_lshlrev_b64_e32 v[139:140], 3, v[139:140]
	s_wait_kmcnt 0x0
	v_add_co_u32 v141, vcc_lo, s4, v133
	s_wait_alu 0xfffd
	v_add_co_ci_u32_e64 v142, null, s5, v134, vcc_lo
	v_add_co_u32 v143, vcc_lo, s4, v135
	s_wait_alu 0xfffd
	v_add_co_ci_u32_e64 v144, null, s5, v136, vcc_lo
	;; [unrolled: 3-line block ×4, first 2 shown]
	s_clause 0x1
	global_load_b128 v[133:136], v[141:142], off
	global_load_b128 v[137:140], v[141:142], off offset:16
	s_wait_loadcnt 0x1
	v_fmac_f32_e32 v58, v20, v133
	v_fmac_f32_e32 v64, v21, v133
	s_delay_alu instid0(VALU_DEP_2) | instskip(NEXT) | instid1(VALU_DEP_2)
	v_dual_fmac_f32 v58, v19, v134 :: v_dual_fmac_f32 v59, v18, v133
	v_fma_f32 v35, -v22, v134, v64
	v_fmac_f32_e32 v62, v15, v133
	s_delay_alu instid0(VALU_DEP_3) | instskip(NEXT) | instid1(VALU_DEP_4)
	v_fmac_f32_e32 v58, v12, v135
	v_dual_fmac_f32 v42, v22, v133 :: v_dual_fmac_f32 v59, v17, v134
	v_fmac_f32_e32 v63, v19, v133
	v_fmac_f32_e32 v35, v13, v135
	v_fma_f32 v41, -v16, v134, v62
	s_delay_alu instid0(VALU_DEP_4)
	v_fmac_f32_e32 v42, v21, v134
	v_fmac_f32_e32 v60, v16, v133
	v_fma_f32 v6, -v20, v134, v63
	global_load_b128 v[19:22], v[47:48], off offset:24576
	v_fmac_f32_e32 v41, v7, v135
	v_dual_fmac_f32 v61, v17, v133 :: v_dual_fmac_f32 v60, v15, v134
	v_fmac_f32_e32 v6, v11, v135
	v_fma_f32 v35, -v14, v136, v35
	s_delay_alu instid0(VALU_DEP_4) | instskip(NEXT) | instid1(VALU_DEP_4)
	v_fma_f32 v41, -v8, v136, v41
	v_fma_f32 v61, -v18, v134, v61
	v_fmac_f32_e32 v58, v11, v136
	v_fma_f32 v133, -v12, v136, v6
	v_fmac_f32_e32 v60, v8, v135
	global_load_b128 v[15:18], v[47:48], off offset:24656
	v_fmac_f32_e32 v61, v9, v135
	s_wait_loadcnt 0x2
	v_fmac_f32_e32 v35, v51, v137
	v_fmac_f32_e32 v133, v49, v137
	v_dual_fmac_f32 v59, v10, v135 :: v_dual_fmac_f32 v60, v7, v136
	v_fmac_f32_e32 v42, v14, v135
	v_fma_f32 v10, -v10, v136, v61
	s_delay_alu instid0(VALU_DEP_4) | instskip(NEXT) | instid1(VALU_DEP_4)
	v_fma_f32 v141, -v50, v138, v133
	v_fmac_f32_e32 v59, v9, v136
	v_fma_f32 v35, -v52, v138, v35
	v_fmac_f32_e32 v42, v13, v136
	global_load_b128 v[11:14], v[47:48], off offset:24640
	s_clause 0x1
	global_load_b128 v[6:9], v[143:144], off
	global_load_b128 v[61:64], v[143:144], off offset:16
	v_fmac_f32_e32 v59, v34, v137
	v_fmac_f32_e32 v58, v50, v137
	v_dual_fmac_f32 v42, v52, v137 :: v_dual_fmac_f32 v141, v27, v139
	v_fmac_f32_e32 v41, v31, v137
	s_delay_alu instid0(VALU_DEP_4) | instskip(NEXT) | instid1(VALU_DEP_4)
	v_fmac_f32_e32 v59, v33, v138
	v_fmac_f32_e32 v58, v49, v138
	s_delay_alu instid0(VALU_DEP_4)
	v_fmac_f32_e32 v42, v51, v138
	s_clause 0x1
	global_load_b128 v[49:52], v[145:146], off
	global_load_b128 v[133:136], v[145:146], off offset:16
	v_dual_fmac_f32 v60, v32, v137 :: v_dual_fmac_f32 v35, v29, v139
	v_fma_f32 v41, -v32, v138, v41
	v_dual_fmac_f32 v10, v33, v137 :: v_dual_fmac_f32 v59, v26, v139
	s_delay_alu instid0(VALU_DEP_3) | instskip(SKIP_1) | instid1(VALU_DEP_4)
	v_fmac_f32_e32 v60, v31, v138
	v_fmac_f32_e32 v58, v28, v139
	;; [unrolled: 1-line block ×3, first 2 shown]
	s_delay_alu instid0(VALU_DEP_4)
	v_fma_f32 v10, -v34, v138, v10
	global_load_b128 v[31:34], v[147:148], off
	v_fmac_f32_e32 v59, v25, v140
	v_fma_f32 v141, -v28, v140, v141
	v_fmac_f32_e32 v42, v30, v139
	v_fma_f32 v35, -v30, v140, v35
	;; [unrolled: 2-line block ×3, first 2 shown]
	s_wait_loadcnt 0x4
	s_delay_alu instid0(VALU_DEP_1)
	v_dual_fmac_f32 v58, v27, v140 :: v_dual_fmac_f32 v41, v69, v6
	v_fmac_f32_e32 v59, v72, v6
	v_fma_f32 v10, -v26, v140, v10
	v_fmac_f32_e32 v141, v73, v6
	v_dual_fmac_f32 v42, v29, v140 :: v_dual_fmac_f32 v35, v75, v6
	global_load_b128 v[27:30], v[147:148], off offset:16
	v_dual_fmac_f32 v58, v74, v6 :: v_dual_fmac_f32 v59, v71, v7
	v_fmac_f32_e32 v10, v71, v6
	v_fma_f32 v35, -v76, v7, v35
	v_fmac_f32_e32 v60, v24, v139
	v_fma_f32 v41, -v70, v7, v41
	v_dual_fmac_f32 v59, v56, v8 :: v_dual_fmac_f32 v58, v73, v7
	s_delay_alu instid0(VALU_DEP_4) | instskip(NEXT) | instid1(VALU_DEP_3)
	v_dual_fmac_f32 v35, v67, v8 :: v_dual_fmac_f32 v42, v76, v6
	v_fmac_f32_e32 v41, v53, v8
	s_delay_alu instid0(VALU_DEP_3)
	v_fmac_f32_e32 v59, v55, v9
	v_fmac_f32_e32 v60, v23, v140
	s_clause 0x1
	global_load_b128 v[23:26], v[47:48], off offset:24672
	global_load_b128 v[137:140], v[47:48], off offset:24688
	v_fmac_f32_e32 v58, v66, v8
	v_fma_f32 v10, -v72, v7, v10
	s_wait_loadcnt 0x6
	v_dual_fmac_f32 v59, v88, v61 :: v_dual_fmac_f32 v60, v70, v6
	v_fma_f32 v6, -v74, v7, v141
	v_add_co_u32 v47, vcc_lo, 0x8000, v47
	s_delay_alu instid0(VALU_DEP_3) | instskip(SKIP_3) | instid1(VALU_DEP_3)
	v_dual_fmac_f32 v59, v87, v62 :: v_dual_fmac_f32 v60, v69, v7
	s_wait_alu 0xfffd
	v_add_co_ci_u32_e64 v48, null, 0, v48, vcc_lo
	v_add_co_u32 v43, vcc_lo, 0x100, v43
	v_dual_fmac_f32 v60, v54, v8 :: v_dual_fmac_f32 v59, v80, v63
	v_fmac_f32_e32 v58, v65, v9
	s_wait_alu 0xfffd
	v_add_co_ci_u32_e64 v44, null, 0, v44, vcc_lo
	v_add_co_u32 v4, vcc_lo, 0x400, v4
	v_fmac_f32_e32 v59, v79, v64
	v_fmac_f32_e32 v42, v75, v7
	v_fma_f32 v7, -v68, v9, v35
	s_wait_alu 0xfffd
	v_add_co_ci_u32_e64 v5, null, 0, v5, vcc_lo
	s_wait_loadcnt 0x5
	v_fmac_f32_e32 v59, v104, v49
	v_fmac_f32_e32 v60, v53, v9
	;; [unrolled: 1-line block ×3, first 2 shown]
	v_cmp_ge_i64_e32 vcc_lo, v[43:44], v[45:46]
	s_delay_alu instid0(VALU_DEP_4) | instskip(SKIP_1) | instid1(VALU_DEP_4)
	v_fmac_f32_e32 v59, v103, v50
	v_fmac_f32_e32 v10, v55, v8
	v_fma_f32 v7, -v92, v62, v7
	v_fmac_f32_e32 v6, v65, v8
	s_wait_alu 0xfffe
	s_or_b32 s6, vcc_lo, s6
	v_fmac_f32_e32 v59, v96, v51
	v_fma_f32 v10, -v56, v9, v10
	v_fmac_f32_e32 v7, v83, v63
	v_fma_f32 v6, -v66, v9, v6
	s_delay_alu instid0(VALU_DEP_4) | instskip(NEXT) | instid1(VALU_DEP_4)
	v_fmac_f32_e32 v59, v95, v52
	v_fmac_f32_e32 v10, v87, v61
	s_delay_alu instid0(VALU_DEP_4)
	v_fma_f32 v7, -v84, v64, v7
	v_fmac_f32_e32 v42, v68, v8
	v_fma_f32 v8, -v54, v9, v41
	s_wait_loadcnt 0x4
	v_fmac_f32_e32 v59, v116, v133
	v_fmac_f32_e32 v7, v107, v49
	v_fmac_f32_e32 v42, v67, v9
	v_fma_f32 v9, -v88, v62, v10
	s_delay_alu instid0(VALU_DEP_4) | instskip(NEXT) | instid1(VALU_DEP_4)
	v_dual_fmac_f32 v8, v85, v61 :: v_dual_fmac_f32 v59, v115, v134
	v_fma_f32 v7, -v108, v50, v7
	s_delay_alu instid0(VALU_DEP_3) | instskip(NEXT) | instid1(VALU_DEP_3)
	v_dual_fmac_f32 v6, v89, v61 :: v_dual_fmac_f32 v9, v79, v63
	v_fma_f32 v8, -v86, v62, v8
	s_delay_alu instid0(VALU_DEP_4) | instskip(NEXT) | instid1(VALU_DEP_4)
	v_fmac_f32_e32 v59, v3, v135
	v_fmac_f32_e32 v7, v99, v51
	s_delay_alu instid0(VALU_DEP_4) | instskip(SKIP_1) | instid1(VALU_DEP_4)
	v_fma_f32 v6, -v90, v62, v6
	v_fma_f32 v9, -v80, v64, v9
	v_fmac_f32_e32 v59, v2, v136
	s_delay_alu instid0(VALU_DEP_4) | instskip(NEXT) | instid1(VALU_DEP_3)
	v_fma_f32 v7, -v100, v52, v7
	v_dual_fmac_f32 v6, v81, v63 :: v_dual_fmac_f32 v9, v103, v49
	s_wait_loadcnt 0x3
	s_delay_alu instid0(VALU_DEP_3) | instskip(NEXT) | instid1(VALU_DEP_3)
	v_fmac_f32_e32 v59, v132, v31
	v_fmac_f32_e32 v7, v119, v133
	s_delay_alu instid0(VALU_DEP_3) | instskip(SKIP_1) | instid1(VALU_DEP_4)
	v_fma_f32 v6, -v82, v64, v6
	v_fma_f32 v9, -v104, v50, v9
	v_dual_fmac_f32 v58, v90, v61 :: v_dual_fmac_f32 v59, v131, v32
	s_delay_alu instid0(VALU_DEP_4) | instskip(NEXT) | instid1(VALU_DEP_3)
	v_fma_f32 v7, -v120, v134, v7
	v_dual_fmac_f32 v60, v86, v61 :: v_dual_fmac_f32 v9, v95, v51
	s_delay_alu instid0(VALU_DEP_3) | instskip(NEXT) | instid1(VALU_DEP_3)
	v_fmac_f32_e32 v58, v89, v62
	v_dual_fmac_f32 v6, v105, v49 :: v_dual_fmac_f32 v7, v111, v135
	v_dual_fmac_f32 v8, v77, v63 :: v_dual_fmac_f32 v59, v124, v33
	s_delay_alu instid0(VALU_DEP_4) | instskip(SKIP_2) | instid1(VALU_DEP_4)
	v_fma_f32 v9, -v96, v52, v9
	v_fmac_f32_e32 v60, v85, v62
	v_fmac_f32_e32 v58, v82, v63
	v_fma_f32 v8, -v78, v64, v8
	v_fma_f32 v7, -v112, v136, v7
	s_delay_alu instid0(VALU_DEP_4) | instskip(NEXT) | instid1(VALU_DEP_4)
	v_dual_fmac_f32 v9, v115, v133 :: v_dual_fmac_f32 v60, v78, v63
	v_dual_fmac_f32 v58, v81, v64 :: v_dual_fmac_f32 v59, v123, v34
	s_delay_alu instid0(VALU_DEP_4) | instskip(NEXT) | instid1(VALU_DEP_3)
	v_fmac_f32_e32 v8, v101, v49
	v_fma_f32 v9, -v116, v134, v9
	s_delay_alu instid0(VALU_DEP_4) | instskip(NEXT) | instid1(VALU_DEP_4)
	v_fmac_f32_e32 v60, v77, v64
	v_dual_fmac_f32 v58, v106, v49 :: v_dual_fmac_f32 v7, v21, v31
	v_fma_f32 v6, -v106, v50, v6
	s_delay_alu instid0(VALU_DEP_4) | instskip(NEXT) | instid1(VALU_DEP_3)
	v_dual_fmac_f32 v9, v2, v135 :: v_dual_fmac_f32 v42, v92, v61
	v_fmac_f32_e32 v58, v105, v50
	v_fma_f32 v8, -v102, v50, v8
	s_delay_alu instid0(VALU_DEP_3) | instskip(NEXT) | instid1(VALU_DEP_2)
	v_fmac_f32_e32 v42, v91, v62
	v_fmac_f32_e32 v8, v93, v51
	s_delay_alu instid0(VALU_DEP_1) | instskip(NEXT) | instid1(VALU_DEP_1)
	v_fma_f32 v8, -v94, v52, v8
	v_fmac_f32_e32 v8, v113, v133
	s_delay_alu instid0(VALU_DEP_1) | instskip(NEXT) | instid1(VALU_DEP_1)
	v_fma_f32 v8, -v114, v134, v8
	v_fmac_f32_e32 v8, v0, v135
	s_wait_loadcnt 0x2
	v_fmac_f32_e32 v59, v18, v27
	s_delay_alu instid0(VALU_DEP_1) | instskip(SKIP_1) | instid1(VALU_DEP_1)
	v_dual_fmac_f32 v60, v102, v49 :: v_dual_fmac_f32 v59, v17, v28
	s_wait_loadcnt 0x0
	v_dual_fmac_f32 v60, v101, v50 :: v_dual_fmac_f32 v59, v140, v29
	s_delay_alu instid0(VALU_DEP_1) | instskip(NEXT) | instid1(VALU_DEP_2)
	v_fmac_f32_e32 v60, v94, v51
	v_dual_fmac_f32 v6, v97, v51 :: v_dual_fmac_f32 v59, v139, v30
	s_delay_alu instid0(VALU_DEP_2) | instskip(NEXT) | instid1(VALU_DEP_2)
	v_fmac_f32_e32 v60, v93, v52
	v_fma_f32 v6, -v98, v52, v6
	s_delay_alu instid0(VALU_DEP_2) | instskip(NEXT) | instid1(VALU_DEP_2)
	v_fmac_f32_e32 v60, v114, v133
	v_fmac_f32_e32 v6, v117, v133
	s_delay_alu instid0(VALU_DEP_2) | instskip(NEXT) | instid1(VALU_DEP_2)
	v_fmac_f32_e32 v60, v113, v134
	v_fma_f32 v6, -v118, v134, v6
	s_delay_alu instid0(VALU_DEP_2) | instskip(SKIP_1) | instid1(VALU_DEP_3)
	v_fmac_f32_e32 v60, v1, v135
	v_fma_f32 v1, -v1, v136, v8
	v_fmac_f32_e32 v6, v109, v135
	s_delay_alu instid0(VALU_DEP_3)
	v_fmac_f32_e32 v60, v0, v136
	v_fma_f32 v0, -v3, v136, v9
	v_fma_f32 v3, -v22, v32, v7
	v_fmac_f32_e32 v42, v84, v63
	v_fmac_f32_e32 v1, v129, v31
	v_fma_f32 v6, -v110, v136, v6
	s_delay_alu instid0(VALU_DEP_4) | instskip(NEXT) | instid1(VALU_DEP_4)
	v_dual_fmac_f32 v60, v130, v31 :: v_dual_fmac_f32 v3, v127, v33
	v_fmac_f32_e32 v42, v83, v64
	s_delay_alu instid0(VALU_DEP_4) | instskip(NEXT) | instid1(VALU_DEP_4)
	v_fma_f32 v1, -v130, v32, v1
	v_fmac_f32_e32 v6, v19, v31
	v_fmac_f32_e32 v0, v131, v31
	v_fma_f32 v3, -v128, v34, v3
	v_fmac_f32_e32 v42, v108, v49
	v_fmac_f32_e32 v1, v121, v33
	;; [unrolled: 3-line block ×3, first 2 shown]
	v_fma_f32 v0, -v132, v32, v0
	v_fma_f32 v1, -v122, v34, v1
	v_fmac_f32_e32 v2, v125, v33
	v_fmac_f32_e32 v60, v122, v33
	v_fma_f32 v3, -v14, v28, v3
	v_fmac_f32_e32 v42, v107, v50
	v_fmac_f32_e32 v1, v15, v27
	;; [unrolled: 1-line block ×3, first 2 shown]
	v_fma_f32 v2, -v126, v34, v2
	s_delay_alu instid0(VALU_DEP_4) | instskip(NEXT) | instid1(VALU_DEP_4)
	v_dual_fmac_f32 v3, v25, v29 :: v_dual_fmac_f32 v42, v100, v51
	v_fma_f32 v1, -v16, v28, v1
	v_fmac_f32_e32 v58, v98, v51
	v_fmac_f32_e32 v60, v121, v34
	v_fma_f32 v0, -v124, v34, v0
	s_delay_alu instid0(VALU_DEP_4) | instskip(NEXT) | instid1(VALU_DEP_4)
	v_dual_fmac_f32 v42, v99, v52 :: v_dual_fmac_f32 v1, v137, v29
	v_fmac_f32_e32 v58, v97, v52
	v_fmac_f32_e32 v2, v11, v27
	;; [unrolled: 1-line block ×3, first 2 shown]
	s_delay_alu instid0(VALU_DEP_4)
	v_fmac_f32_e32 v42, v120, v133
	v_fmac_f32_e32 v0, v17, v27
	;; [unrolled: 1-line block ×3, first 2 shown]
	v_fma_f32 v2, -v12, v28, v2
	v_fmac_f32_e32 v60, v15, v28
	v_fmac_f32_e32 v42, v119, v134
	v_fma_f32 v0, -v18, v28, v0
	v_fmac_f32_e32 v58, v117, v134
	v_fmac_f32_e32 v2, v23, v29
	;; [unrolled: 1-line block ×6, first 2 shown]
	v_fma_f32 v63, -v24, v30, v2
	v_fma_f32 v64, -v26, v30, v3
	v_fmac_f32_e32 v42, v111, v136
	v_fma_f32 v62, -v138, v30, v1
	v_fmac_f32_e32 v58, v109, v136
	v_fmac_f32_e32 v60, v137, v30
	v_fma_f32 v61, -v140, v30, v0
	v_fmac_f32_e32 v42, v22, v31
	s_delay_alu instid0(VALU_DEP_4) | instskip(NEXT) | instid1(VALU_DEP_2)
	v_fmac_f32_e32 v58, v20, v31
	v_fmac_f32_e32 v42, v21, v32
	s_delay_alu instid0(VALU_DEP_2) | instskip(NEXT) | instid1(VALU_DEP_2)
	v_fmac_f32_e32 v58, v19, v32
	v_fmac_f32_e32 v42, v128, v33
	s_delay_alu instid0(VALU_DEP_2) | instskip(NEXT) | instid1(VALU_DEP_2)
	;; [unrolled: 3-line block ×6, first 2 shown]
	v_fmac_f32_e32 v58, v24, v29
	v_fmac_f32_e32 v42, v25, v30
	s_delay_alu instid0(VALU_DEP_2)
	v_fmac_f32_e32 v58, v23, v30
	s_wait_alu 0xfffe
	s_and_not1_b32 exec_lo, exec_lo, s6
	s_cbranch_execnz .LBB34_31
; %bb.32:
	s_or_b32 exec_lo, exec_lo, s6
.LBB34_33:
	s_wait_alu 0xfffe
	s_or_b32 exec_lo, exec_lo, s2
.LBB34_34:
	s_wait_alu 0xfffe
	s_or_b32 exec_lo, exec_lo, s3
.LBB34_35:
	v_mbcnt_lo_u32_b32 v0, -1, 0
	s_delay_alu instid0(VALU_DEP_1) | instskip(SKIP_2) | instid1(VALU_DEP_3)
	v_or_b32_e32 v1, 32, v0
	v_xor_b32_e32 v9, 16, v0
	v_xor_b32_e32 v17, 8, v0
	v_cmp_gt_i32_e32 vcc_lo, 32, v1
	s_wait_alu 0xfffd
	v_cndmask_b32_e32 v1, v0, v1, vcc_lo
	v_cmp_gt_i32_e32 vcc_lo, 32, v9
	s_delay_alu instid0(VALU_DEP_2)
	v_lshlrev_b32_e32 v1, 2, v1
	ds_bpermute_b32 v4, v1, v64
	s_wait_dscnt 0x0
	v_add_f32_e32 v4, v64, v4
	ds_bpermute_b32 v6, v1, v62
	ds_bpermute_b32 v8, v1, v61
	s_wait_alu 0xfffd
	v_cndmask_b32_e32 v9, v0, v9, vcc_lo
	ds_bpermute_b32 v2, v1, v63
	ds_bpermute_b32 v3, v1, v58
	;; [unrolled: 1-line block ×5, first 2 shown]
	v_cmp_gt_i32_e32 vcc_lo, 32, v17
	s_wait_dscnt 0x6
	s_wait_alu 0xfffd
	v_dual_cndmask_b32 v17, v0, v17 :: v_dual_add_f32 v6, v62, v6
	s_wait_dscnt 0x5
	v_dual_add_f32 v8, v61, v8 :: v_dual_lshlrev_b32 v9, 2, v9
	s_wait_dscnt 0x4
	v_add_f32_e32 v2, v63, v2
	ds_bpermute_b32 v12, v9, v4
	s_wait_dscnt 0x4
	v_add_f32_e32 v3, v58, v3
	ds_bpermute_b32 v10, v9, v2
	ds_bpermute_b32 v14, v9, v6
	;; [unrolled: 1-line block ×3, first 2 shown]
	s_wait_dscnt 0x6
	v_add_f32_e32 v5, v42, v5
	s_wait_dscnt 0x5
	v_add_f32_e32 v7, v60, v7
	s_wait_dscnt 0x3
	v_dual_add_f32 v1, v59, v1 :: v_dual_add_f32 v4, v4, v12
	ds_bpermute_b32 v11, v9, v3
	s_wait_dscnt 0x3
	v_dual_add_f32 v2, v2, v10 :: v_dual_lshlrev_b32 v17, 2, v17
	ds_bpermute_b32 v15, v9, v7
	s_wait_dscnt 0x3
	v_add_f32_e32 v6, v6, v14
	s_wait_dscnt 0x2
	v_add_f32_e32 v8, v8, v16
	ds_bpermute_b32 v13, v9, v5
	ds_bpermute_b32 v9, v9, v1
	s_wait_dscnt 0x3
	v_add_f32_e32 v3, v3, v11
	ds_bpermute_b32 v11, v17, v4
	s_wait_dscnt 0x3
	v_add_f32_e32 v7, v7, v15
	s_wait_dscnt 0x0
	v_dual_add_f32 v4, v4, v11 :: v_dual_add_f32 v1, v1, v9
	ds_bpermute_b32 v9, v17, v2
	ds_bpermute_b32 v15, v17, v8
	v_add_f32_e32 v5, v5, v13
	ds_bpermute_b32 v13, v17, v6
	ds_bpermute_b32 v16, v17, v1
	s_wait_dscnt 0x3
	v_add_f32_e32 v2, v2, v9
	ds_bpermute_b32 v10, v17, v3
	s_wait_dscnt 0x3
	v_add_f32_e32 v8, v8, v15
	;; [unrolled: 3-line block ×3, first 2 shown]
	ds_bpermute_b32 v14, v17, v7
	v_xor_b32_e32 v17, 4, v0
	s_delay_alu instid0(VALU_DEP_1) | instskip(SKIP_2) | instid1(VALU_DEP_1)
	v_cmp_gt_i32_e32 vcc_lo, 32, v17
	s_wait_alu 0xfffd
	v_cndmask_b32_e32 v17, v0, v17, vcc_lo
	v_lshlrev_b32_e32 v17, 2, v17
	s_wait_dscnt 0x0
	v_add_f32_e32 v7, v7, v14
	ds_bpermute_b32 v15, v17, v8
	s_wait_dscnt 0x0
	v_add_f32_e32 v8, v8, v15
	ds_bpermute_b32 v11, v17, v4
	ds_bpermute_b32 v9, v17, v2
	;; [unrolled: 1-line block ×3, first 2 shown]
	v_add_f32_e32 v3, v3, v10
	v_add_f32_e32 v5, v5, v12
	ds_bpermute_b32 v14, v17, v7
	s_wait_dscnt 0x3
	v_dual_add_f32 v4, v4, v11 :: v_dual_add_f32 v1, v1, v16
	s_wait_dscnt 0x2
	v_add_f32_e32 v2, v2, v9
	ds_bpermute_b32 v10, v17, v3
	s_wait_dscnt 0x2
	v_add_f32_e32 v6, v6, v13
	ds_bpermute_b32 v12, v17, v5
	ds_bpermute_b32 v16, v17, v1
	v_xor_b32_e32 v17, 2, v0
	s_wait_dscnt 0x3
	v_add_f32_e32 v7, v7, v14
	s_delay_alu instid0(VALU_DEP_2) | instskip(SKIP_2) | instid1(VALU_DEP_1)
	v_cmp_gt_i32_e32 vcc_lo, 32, v17
	s_wait_alu 0xfffd
	v_cndmask_b32_e32 v17, v0, v17, vcc_lo
	v_lshlrev_b32_e32 v17, 2, v17
	s_wait_dscnt 0x0
	v_add_f32_e32 v9, v1, v16
	ds_bpermute_b32 v1, v17, v2
	v_add_f32_e32 v3, v3, v10
	ds_bpermute_b32 v13, v17, v6
	;; [unrolled: 2-line block ×3, first 2 shown]
	ds_bpermute_b32 v14, v17, v7
	ds_bpermute_b32 v10, v17, v3
	;; [unrolled: 1-line block ×5, first 2 shown]
	v_xor_b32_e32 v17, 1, v0
	s_delay_alu instid0(VALU_DEP_1) | instskip(SKIP_4) | instid1(VALU_DEP_2)
	v_cmp_gt_i32_e32 vcc_lo, 32, v17
	s_wait_alu 0xfffd
	v_cndmask_b32_e32 v0, v0, v17, vcc_lo
	v_cmp_eq_u32_e32 vcc_lo, 63, v57
	s_wait_dscnt 0x7
	v_dual_add_f32 v0, v2, v1 :: v_dual_lshlrev_b32 v17, 2, v0
	s_wait_dscnt 0x3
	v_dual_add_f32 v1, v3, v10 :: v_dual_add_f32 v2, v4, v11
	s_wait_dscnt 0x1
	v_dual_add_f32 v4, v6, v13 :: v_dual_add_f32 v3, v5, v12
	v_dual_add_f32 v5, v7, v14 :: v_dual_add_f32 v6, v8, v15
	s_wait_dscnt 0x0
	v_add_f32_e32 v7, v9, v16
	ds_bpermute_b32 v8, v17, v0
	ds_bpermute_b32 v9, v17, v1
	;; [unrolled: 1-line block ×8, first 2 shown]
	s_and_b32 exec_lo, exec_lo, vcc_lo
	s_cbranch_execz .LBB34_8
; %bb.36:
	s_load_b64 s[2:3], s[0:1], 0x50
	s_wait_dscnt 0x7
	v_add_f32_e32 v8, v0, v8
	s_wait_dscnt 0x4
	v_dual_add_f32 v0, v1, v9 :: v_dual_add_f32 v1, v3, v11
	s_wait_dscnt 0x2
	v_dual_add_f32 v9, v2, v10 :: v_dual_add_f32 v2, v5, v13
	;; [unrolled: 2-line block ×3, first 2 shown]
	v_add_f32_e32 v11, v6, v14
	v_mul_f32_e64 v4, v0, -v39
	v_mul_f32_e32 v5, v38, v0
	v_mul_f32_e64 v6, v1, -v39
	v_mul_f32_e32 v7, v38, v1
	;; [unrolled: 2-line block ×4, first 2 shown]
	v_cmp_eq_f32_e32 vcc_lo, 0, v36
	v_cmp_eq_f32_e64 s0, 0, v37
	v_fmac_f32_e32 v4, v38, v8
	v_dual_fmac_f32 v5, v39, v8 :: v_dual_fmac_f32 v6, v38, v9
	v_dual_fmac_f32 v7, v39, v9 :: v_dual_lshlrev_b32 v8, 2, v40
	v_dual_fmac_f32 v0, v38, v10 :: v_dual_fmac_f32 v3, v39, v11
	v_dual_fmac_f32 v1, v39, v10 :: v_dual_fmac_f32 v2, v38, v11
	s_and_b32 s0, vcc_lo, s0
	s_wait_alu 0xfffe
	s_and_saveexec_b32 s1, s0
	s_wait_alu 0xfffe
	s_xor_b32 s0, exec_lo, s1
	s_cbranch_execz .LBB34_38
; %bb.37:
	v_ashrrev_i32_e32 v9, 31, v8
                                        ; implicit-def: $vgpr36_vgpr37
	s_delay_alu instid0(VALU_DEP_1) | instskip(SKIP_1) | instid1(VALU_DEP_1)
	v_lshlrev_b64_e32 v[8:9], 3, v[8:9]
	s_wait_kmcnt 0x0
	v_add_co_u32 v8, vcc_lo, s2, v8
	s_wait_alu 0xfffd
	s_delay_alu instid0(VALU_DEP_2)
	v_add_co_ci_u32_e64 v9, null, s3, v9, vcc_lo
	s_clause 0x1
	global_store_b128 v[8:9], v[4:7], off
	global_store_b128 v[8:9], v[0:3], off offset:16
                                        ; implicit-def: $vgpr4
                                        ; implicit-def: $vgpr8
                                        ; implicit-def: $vgpr0
.LBB34_38:
	s_wait_alu 0xfffe
	s_and_not1_saveexec_b32 s0, s0
	s_cbranch_execz .LBB34_8
; %bb.39:
	v_ashrrev_i32_e32 v9, 31, v8
	s_delay_alu instid0(VALU_DEP_1) | instskip(SKIP_1) | instid1(VALU_DEP_1)
	v_lshlrev_b64_e32 v[8:9], 3, v[8:9]
	s_wait_kmcnt 0x0
	v_add_co_u32 v16, vcc_lo, s2, v8
	s_wait_alu 0xfffd
	s_delay_alu instid0(VALU_DEP_2)
	v_add_co_ci_u32_e64 v17, null, s3, v9, vcc_lo
	s_clause 0x1
	global_load_b128 v[8:11], v[16:17], off
	global_load_b128 v[12:15], v[16:17], off offset:16
	s_wait_loadcnt 0x1
	v_dual_fmac_f32 v4, v36, v8 :: v_dual_fmac_f32 v7, v37, v10
	v_dual_fmac_f32 v5, v37, v8 :: v_dual_fmac_f32 v6, v36, v10
	s_wait_loadcnt 0x0
	v_dual_fmac_f32 v0, v36, v12 :: v_dual_fmac_f32 v3, v37, v14
	v_dual_fmac_f32 v1, v37, v12 :: v_dual_fmac_f32 v2, v36, v14
	v_fma_f32 v4, -v37, v9, v4
	v_fmac_f32_e32 v5, v36, v9
	v_fma_f32 v6, -v37, v11, v6
	v_fmac_f32_e32 v7, v36, v11
	;; [unrolled: 2-line block ×4, first 2 shown]
	s_clause 0x1
	global_store_b128 v[16:17], v[4:7], off
	global_store_b128 v[16:17], v[0:3], off offset:16
	s_nop 0
	s_sendmsg sendmsg(MSG_DEALLOC_VGPRS)
	s_endpgm
	.section	.rodata,"a",@progbits
	.p2align	6, 0x0
	.amdhsa_kernel _ZN9rocsparseL18bsrxmvn_4x4_kernelILj128ELj64E21rocsparse_complex_numIfEliS2_S2_S2_EEvT3_20rocsparse_direction_NS_24const_host_device_scalarIT1_EES3_PKS3_PKT2_SC_S9_PKT4_PKT5_S7_PT6_21rocsparse_index_base_b
		.amdhsa_group_segment_fixed_size 0
		.amdhsa_private_segment_fixed_size 0
		.amdhsa_kernarg_size 96
		.amdhsa_user_sgpr_count 2
		.amdhsa_user_sgpr_dispatch_ptr 0
		.amdhsa_user_sgpr_queue_ptr 0
		.amdhsa_user_sgpr_kernarg_segment_ptr 1
		.amdhsa_user_sgpr_dispatch_id 0
		.amdhsa_user_sgpr_private_segment_size 0
		.amdhsa_wavefront_size32 1
		.amdhsa_uses_dynamic_stack 0
		.amdhsa_enable_private_segment 0
		.amdhsa_system_sgpr_workgroup_id_x 1
		.amdhsa_system_sgpr_workgroup_id_y 0
		.amdhsa_system_sgpr_workgroup_id_z 0
		.amdhsa_system_sgpr_workgroup_info 0
		.amdhsa_system_vgpr_workitem_id 0
		.amdhsa_next_free_vgpr 175
		.amdhsa_next_free_sgpr 14
		.amdhsa_reserve_vcc 1
		.amdhsa_float_round_mode_32 0
		.amdhsa_float_round_mode_16_64 0
		.amdhsa_float_denorm_mode_32 3
		.amdhsa_float_denorm_mode_16_64 3
		.amdhsa_fp16_overflow 0
		.amdhsa_workgroup_processor_mode 1
		.amdhsa_memory_ordered 1
		.amdhsa_forward_progress 1
		.amdhsa_inst_pref_size 71
		.amdhsa_round_robin_scheduling 0
		.amdhsa_exception_fp_ieee_invalid_op 0
		.amdhsa_exception_fp_denorm_src 0
		.amdhsa_exception_fp_ieee_div_zero 0
		.amdhsa_exception_fp_ieee_overflow 0
		.amdhsa_exception_fp_ieee_underflow 0
		.amdhsa_exception_fp_ieee_inexact 0
		.amdhsa_exception_int_div_zero 0
	.end_amdhsa_kernel
	.section	.text._ZN9rocsparseL18bsrxmvn_4x4_kernelILj128ELj64E21rocsparse_complex_numIfEliS2_S2_S2_EEvT3_20rocsparse_direction_NS_24const_host_device_scalarIT1_EES3_PKS3_PKT2_SC_S9_PKT4_PKT5_S7_PT6_21rocsparse_index_base_b,"axG",@progbits,_ZN9rocsparseL18bsrxmvn_4x4_kernelILj128ELj64E21rocsparse_complex_numIfEliS2_S2_S2_EEvT3_20rocsparse_direction_NS_24const_host_device_scalarIT1_EES3_PKS3_PKT2_SC_S9_PKT4_PKT5_S7_PT6_21rocsparse_index_base_b,comdat
.Lfunc_end34:
	.size	_ZN9rocsparseL18bsrxmvn_4x4_kernelILj128ELj64E21rocsparse_complex_numIfEliS2_S2_S2_EEvT3_20rocsparse_direction_NS_24const_host_device_scalarIT1_EES3_PKS3_PKT2_SC_S9_PKT4_PKT5_S7_PT6_21rocsparse_index_base_b, .Lfunc_end34-_ZN9rocsparseL18bsrxmvn_4x4_kernelILj128ELj64E21rocsparse_complex_numIfEliS2_S2_S2_EEvT3_20rocsparse_direction_NS_24const_host_device_scalarIT1_EES3_PKS3_PKT2_SC_S9_PKT4_PKT5_S7_PT6_21rocsparse_index_base_b
                                        ; -- End function
	.set _ZN9rocsparseL18bsrxmvn_4x4_kernelILj128ELj64E21rocsparse_complex_numIfEliS2_S2_S2_EEvT3_20rocsparse_direction_NS_24const_host_device_scalarIT1_EES3_PKS3_PKT2_SC_S9_PKT4_PKT5_S7_PT6_21rocsparse_index_base_b.num_vgpr, 175
	.set _ZN9rocsparseL18bsrxmvn_4x4_kernelILj128ELj64E21rocsparse_complex_numIfEliS2_S2_S2_EEvT3_20rocsparse_direction_NS_24const_host_device_scalarIT1_EES3_PKS3_PKT2_SC_S9_PKT4_PKT5_S7_PT6_21rocsparse_index_base_b.num_agpr, 0
	.set _ZN9rocsparseL18bsrxmvn_4x4_kernelILj128ELj64E21rocsparse_complex_numIfEliS2_S2_S2_EEvT3_20rocsparse_direction_NS_24const_host_device_scalarIT1_EES3_PKS3_PKT2_SC_S9_PKT4_PKT5_S7_PT6_21rocsparse_index_base_b.numbered_sgpr, 14
	.set _ZN9rocsparseL18bsrxmvn_4x4_kernelILj128ELj64E21rocsparse_complex_numIfEliS2_S2_S2_EEvT3_20rocsparse_direction_NS_24const_host_device_scalarIT1_EES3_PKS3_PKT2_SC_S9_PKT4_PKT5_S7_PT6_21rocsparse_index_base_b.num_named_barrier, 0
	.set _ZN9rocsparseL18bsrxmvn_4x4_kernelILj128ELj64E21rocsparse_complex_numIfEliS2_S2_S2_EEvT3_20rocsparse_direction_NS_24const_host_device_scalarIT1_EES3_PKS3_PKT2_SC_S9_PKT4_PKT5_S7_PT6_21rocsparse_index_base_b.private_seg_size, 0
	.set _ZN9rocsparseL18bsrxmvn_4x4_kernelILj128ELj64E21rocsparse_complex_numIfEliS2_S2_S2_EEvT3_20rocsparse_direction_NS_24const_host_device_scalarIT1_EES3_PKS3_PKT2_SC_S9_PKT4_PKT5_S7_PT6_21rocsparse_index_base_b.uses_vcc, 1
	.set _ZN9rocsparseL18bsrxmvn_4x4_kernelILj128ELj64E21rocsparse_complex_numIfEliS2_S2_S2_EEvT3_20rocsparse_direction_NS_24const_host_device_scalarIT1_EES3_PKS3_PKT2_SC_S9_PKT4_PKT5_S7_PT6_21rocsparse_index_base_b.uses_flat_scratch, 0
	.set _ZN9rocsparseL18bsrxmvn_4x4_kernelILj128ELj64E21rocsparse_complex_numIfEliS2_S2_S2_EEvT3_20rocsparse_direction_NS_24const_host_device_scalarIT1_EES3_PKS3_PKT2_SC_S9_PKT4_PKT5_S7_PT6_21rocsparse_index_base_b.has_dyn_sized_stack, 0
	.set _ZN9rocsparseL18bsrxmvn_4x4_kernelILj128ELj64E21rocsparse_complex_numIfEliS2_S2_S2_EEvT3_20rocsparse_direction_NS_24const_host_device_scalarIT1_EES3_PKS3_PKT2_SC_S9_PKT4_PKT5_S7_PT6_21rocsparse_index_base_b.has_recursion, 0
	.set _ZN9rocsparseL18bsrxmvn_4x4_kernelILj128ELj64E21rocsparse_complex_numIfEliS2_S2_S2_EEvT3_20rocsparse_direction_NS_24const_host_device_scalarIT1_EES3_PKS3_PKT2_SC_S9_PKT4_PKT5_S7_PT6_21rocsparse_index_base_b.has_indirect_call, 0
	.section	.AMDGPU.csdata,"",@progbits
; Kernel info:
; codeLenInByte = 8964
; TotalNumSgprs: 16
; NumVgprs: 175
; ScratchSize: 0
; MemoryBound: 0
; FloatMode: 240
; IeeeMode: 1
; LDSByteSize: 0 bytes/workgroup (compile time only)
; SGPRBlocks: 0
; VGPRBlocks: 21
; NumSGPRsForWavesPerEU: 16
; NumVGPRsForWavesPerEU: 175
; Occupancy: 8
; WaveLimiterHint : 1
; COMPUTE_PGM_RSRC2:SCRATCH_EN: 0
; COMPUTE_PGM_RSRC2:USER_SGPR: 2
; COMPUTE_PGM_RSRC2:TRAP_HANDLER: 0
; COMPUTE_PGM_RSRC2:TGID_X_EN: 1
; COMPUTE_PGM_RSRC2:TGID_Y_EN: 0
; COMPUTE_PGM_RSRC2:TGID_Z_EN: 0
; COMPUTE_PGM_RSRC2:TIDIG_COMP_CNT: 0
	.section	.text._ZN9rocsparseL18bsrxmvn_4x4_kernelILj128ELj4E21rocsparse_complex_numIdEliS2_S2_S2_EEvT3_20rocsparse_direction_NS_24const_host_device_scalarIT1_EES3_PKS3_PKT2_SC_S9_PKT4_PKT5_S7_PT6_21rocsparse_index_base_b,"axG",@progbits,_ZN9rocsparseL18bsrxmvn_4x4_kernelILj128ELj4E21rocsparse_complex_numIdEliS2_S2_S2_EEvT3_20rocsparse_direction_NS_24const_host_device_scalarIT1_EES3_PKS3_PKT2_SC_S9_PKT4_PKT5_S7_PT6_21rocsparse_index_base_b,comdat
	.globl	_ZN9rocsparseL18bsrxmvn_4x4_kernelILj128ELj4E21rocsparse_complex_numIdEliS2_S2_S2_EEvT3_20rocsparse_direction_NS_24const_host_device_scalarIT1_EES3_PKS3_PKT2_SC_S9_PKT4_PKT5_S7_PT6_21rocsparse_index_base_b ; -- Begin function _ZN9rocsparseL18bsrxmvn_4x4_kernelILj128ELj4E21rocsparse_complex_numIdEliS2_S2_S2_EEvT3_20rocsparse_direction_NS_24const_host_device_scalarIT1_EES3_PKS3_PKT2_SC_S9_PKT4_PKT5_S7_PT6_21rocsparse_index_base_b
	.p2align	8
	.type	_ZN9rocsparseL18bsrxmvn_4x4_kernelILj128ELj4E21rocsparse_complex_numIdEliS2_S2_S2_EEvT3_20rocsparse_direction_NS_24const_host_device_scalarIT1_EES3_PKS3_PKT2_SC_S9_PKT4_PKT5_S7_PT6_21rocsparse_index_base_b,@function
_ZN9rocsparseL18bsrxmvn_4x4_kernelILj128ELj4E21rocsparse_complex_numIdEliS2_S2_S2_EEvT3_20rocsparse_direction_NS_24const_host_device_scalarIT1_EES3_PKS3_PKT2_SC_S9_PKT4_PKT5_S7_PT6_21rocsparse_index_base_b: ; @_ZN9rocsparseL18bsrxmvn_4x4_kernelILj128ELj4E21rocsparse_complex_numIdEliS2_S2_S2_EEvT3_20rocsparse_direction_NS_24const_host_device_scalarIT1_EES3_PKS3_PKT2_SC_S9_PKT4_PKT5_S7_PT6_21rocsparse_index_base_b
; %bb.0:
	s_clause 0x1
	s_load_b64 s[12:13], s[0:1], 0x68
	s_load_b64 s[2:3], s[0:1], 0x8
	s_add_nc_u64 s[4:5], s[0:1], 8
	s_load_b64 s[6:7], s[0:1], 0x50
	s_wait_kmcnt 0x0
	s_bitcmp1_b32 s13, 0
	s_cselect_b32 s2, s4, s2
	s_cselect_b32 s3, s5, s3
	s_delay_alu instid0(SALU_CYCLE_1)
	v_dual_mov_b32 v1, s2 :: v_dual_mov_b32 v2, s3
	s_add_nc_u64 s[2:3], s[0:1], 0x50
	s_wait_alu 0xfffe
	s_cselect_b32 s2, s2, s6
	s_cselect_b32 s3, s3, s7
	flat_load_b128 v[5:8], v[1:2]
	s_wait_alu 0xfffe
	v_dual_mov_b32 v1, s2 :: v_dual_mov_b32 v2, s3
	flat_load_b128 v[1:4], v[1:2]
	s_wait_loadcnt_dscnt 0x101
	v_cmp_eq_f64_e32 vcc_lo, 0, v[5:6]
	v_cmp_eq_f64_e64 s2, 0, v[7:8]
	s_and_b32 s4, vcc_lo, s2
	s_mov_b32 s2, -1
	s_and_saveexec_b32 s3, s4
	s_cbranch_execz .LBB35_2
; %bb.1:
	s_wait_loadcnt_dscnt 0x0
	v_cmp_neq_f64_e32 vcc_lo, 1.0, v[1:2]
	v_cmp_neq_f64_e64 s2, 0, v[3:4]
	s_wait_alu 0xfffe
	s_or_b32 s2, vcc_lo, s2
	s_wait_alu 0xfffe
	s_or_not1_b32 s2, s2, exec_lo
.LBB35_2:
	s_wait_alu 0xfffe
	s_or_b32 exec_lo, exec_lo, s3
	s_and_saveexec_b32 s3, s2
	s_cbranch_execz .LBB35_8
; %bb.3:
	s_clause 0x1
	s_load_b64 s[4:5], s[0:1], 0x20
	s_load_b64 s[2:3], s[0:1], 0x0
	v_lshrrev_b32_e32 v9, 2, v0
	s_delay_alu instid0(VALU_DEP_1)
	v_lshl_or_b32 v25, ttmp9, 5, v9
	s_wait_kmcnt 0x0
	s_cmp_lg_u64 s[4:5], 0
	s_cbranch_scc0 .LBB35_9
; %bb.4:
	s_load_b32 s6, s[0:1], 0x18
	s_mov_b32 s7, 0
                                        ; implicit-def: $vgpr9
	s_wait_kmcnt 0x0
	v_cmp_gt_i32_e32 vcc_lo, s6, v25
	s_mov_b32 s6, 0
	s_and_saveexec_b32 s8, vcc_lo
	s_delay_alu instid0(SALU_CYCLE_1)
	s_xor_b32 s8, exec_lo, s8
	s_cbranch_execz .LBB35_6
; %bb.5:
	v_ashrrev_i32_e32 v26, 31, v25
	s_mov_b32 s6, exec_lo
	s_delay_alu instid0(VALU_DEP_1) | instskip(NEXT) | instid1(VALU_DEP_1)
	v_lshlrev_b64_e32 v[9:10], 2, v[25:26]
	v_add_co_u32 v9, vcc_lo, s4, v9
	s_delay_alu instid0(VALU_DEP_1)
	v_add_co_ci_u32_e64 v10, null, s5, v10, vcc_lo
	global_load_b32 v9, v[9:10], off
	s_wait_loadcnt 0x0
	v_subrev_nc_u32_e32 v9, s12, v9
.LBB35_6:
	s_or_b32 exec_lo, exec_lo, s8
	s_delay_alu instid0(SALU_CYCLE_1)
	s_and_b32 vcc_lo, exec_lo, s7
	s_wait_alu 0xfffe
	s_cbranch_vccz .LBB35_10
.LBB35_7:
	v_cmp_gt_i32_e32 vcc_lo, s2, v25
	s_and_not1_b32 s2, s6, exec_lo
	s_and_b32 s4, vcc_lo, exec_lo
	s_wait_alu 0xfffe
	s_or_b32 s6, s2, s4
	s_wait_alu 0xfffe
	s_and_b32 exec_lo, exec_lo, s6
	s_cbranch_execnz .LBB35_11
.LBB35_8:
	s_nop 0
	s_sendmsg sendmsg(MSG_DEALLOC_VGPRS)
	s_endpgm
.LBB35_9:
	s_mov_b32 s6, 0
                                        ; implicit-def: $vgpr9
	s_cbranch_execnz .LBB35_7
.LBB35_10:
	v_mov_b32_e32 v25, v9
	s_and_b32 exec_lo, exec_lo, s6
	s_cbranch_execz .LBB35_8
.LBB35_11:
	s_load_b256 s[4:11], s[0:1], 0x28
	s_delay_alu instid0(VALU_DEP_1) | instskip(SKIP_1) | instid1(VALU_DEP_2)
	v_ashrrev_i32_e32 v26, 31, v25
	v_and_b32_e32 v0, 3, v0
	v_lshlrev_b64_e32 v[9:10], 3, v[25:26]
	s_wait_kmcnt 0x0
	s_delay_alu instid0(VALU_DEP_1) | instskip(SKIP_1) | instid1(VALU_DEP_2)
	v_add_co_u32 v11, vcc_lo, s4, v9
	s_wait_alu 0xfffd
	v_add_co_ci_u32_e64 v12, null, s5, v10, vcc_lo
	v_add_co_u32 v9, vcc_lo, s6, v9
	s_wait_alu 0xfffd
	v_add_co_ci_u32_e64 v10, null, s7, v10, vcc_lo
	;; [unrolled: 3-line block ×3, first 2 shown]
	global_load_b64 v[48:49], v[11:12], off
	s_cmp_eq_u64 s[6:7], 0
	s_load_b64 s[4:5], s[0:1], 0x48
	s_cselect_b32 vcc_lo, -1, 0
	s_cmp_eq_u32 s3, 1
	s_wait_alu 0xfffe
	v_dual_cndmask_b32 v10, v10, v14 :: v_dual_cndmask_b32 v9, v9, v13
	global_load_b64 v[9:10], v[9:10], off
	s_wait_loadcnt 0x1
	v_sub_co_u32 v11, vcc_lo, v48, s12
	s_wait_alu 0xfffd
	v_subrev_co_ci_u32_e64 v12, null, 0, v49, vcc_lo
	s_delay_alu instid0(VALU_DEP_2) | instskip(SKIP_1) | instid1(VALU_DEP_2)
	v_add_co_u32 v26, vcc_lo, v11, v0
	s_wait_alu 0xfffd
	v_add_co_ci_u32_e64 v27, null, 0, v12, vcc_lo
	s_wait_loadcnt 0x0
	v_sub_co_u32 v28, vcc_lo, v9, s12
	s_wait_alu 0xfffd
	v_subrev_co_ci_u32_e64 v29, null, 0, v10, vcc_lo
	v_lshlrev_b64_e32 v[9:10], 8, v[26:27]
	s_delay_alu instid0(VALU_DEP_2) | instskip(NEXT) | instid1(VALU_DEP_2)
	v_cmp_lt_i64_e64 s2, v[26:27], v[28:29]
	v_add_co_u32 v30, vcc_lo, s10, v9
	s_wait_alu 0xfffd
	s_delay_alu instid0(VALU_DEP_3)
	v_add_co_ci_u32_e64 v31, null, s11, v10, vcc_lo
	s_cbranch_scc1 .LBB35_23
; %bb.12:
	v_mov_b32_e32 v34, 0
	v_mov_b32_e32 v32, 0
	v_mov_b32_e32 v44, 0
	v_dual_mov_b32 v46, 0 :: v_dual_mov_b32 v35, 0
	v_dual_mov_b32 v40, 0 :: v_dual_mov_b32 v33, 0
	;; [unrolled: 1-line block ×5, first 2 shown]
	v_mov_b32_e32 v37, 0
	v_mov_b32_e32 v43, 0
	;; [unrolled: 1-line block ×3, first 2 shown]
	s_and_saveexec_b32 s6, s2
	s_cbranch_execz .LBB35_22
; %bb.13:
	v_or_b32_e32 v9, 4, v0
	v_not_b32_e32 v13, v48
	v_not_b32_e32 v11, v49
	v_mov_b32_e32 v36, 0
	v_mov_b32_e32 v40, 0
	v_sub_co_u32 v9, s3, v9, s12
	s_wait_alu 0xf1ff
	v_sub_co_ci_u32_e64 v10, null, 0, 0, s3
	v_sub_co_u32 v14, s3, s12, v0
	s_delay_alu instid0(VALU_DEP_3) | instskip(SKIP_1) | instid1(VALU_DEP_3)
	v_add_co_u32 v9, vcc_lo, v9, v48
	s_wait_alu 0xfffd
	v_add_co_ci_u32_e64 v10, null, v10, v49, vcc_lo
	s_wait_alu 0xf1ff
	v_sub_co_ci_u32_e64 v15, null, 0, 0, s3
	v_add_co_u32 v13, s3, v14, v13
	s_delay_alu instid0(VALU_DEP_3)
	v_cmp_gt_i64_e32 vcc_lo, v[9:10], v[28:29]
	v_mov_b32_e32 v38, 0
	s_wait_alu 0xf1ff
	v_add_co_ci_u32_e64 v11, null, v15, v11, s3
	v_mov_b32_e32 v46, 0
	s_wait_alu 0xfffd
	v_dual_mov_b32 v42, 0 :: v_dual_cndmask_b32 v9, v28, v9
	v_dual_cndmask_b32 v10, v29, v10 :: v_dual_mov_b32 v47, 0
	v_dual_mov_b32 v37, 0 :: v_dual_mov_b32 v32, 0
	s_delay_alu instid0(VALU_DEP_3)
	v_add_co_u32 v9, vcc_lo, v13, v9
	v_dual_mov_b32 v44, 0 :: v_dual_mov_b32 v41, 0
	v_mov_b32_e32 v34, 0
	v_dual_mov_b32 v12, 0 :: v_dual_mov_b32 v39, 0
	v_mov_b32_e32 v43, 0
	v_mov_b32_e32 v45, 0
	s_wait_alu 0xfffd
	v_add_co_ci_u32_e64 v10, null, v11, v10, vcc_lo
	v_and_b32_e32 v11, 12, v9
	v_mov_b32_e32 v33, 0
	v_mov_b32_e32 v35, 0
	v_dual_mov_b32 v53, v31 :: v_dual_mov_b32 v52, v30
	v_dual_mov_b32 v51, v27 :: v_dual_mov_b32 v50, v26
	s_mov_b32 s7, exec_lo
	v_cmpx_ne_u64_e32 12, v[11:12]
	s_cbranch_execz .LBB35_17
; %bb.14:
	v_lshrrev_b32_e32 v13, 2, v9
	v_lshlrev_b64_e32 v[11:12], 2, v[26:27]
	v_dual_mov_b32 v51, v27 :: v_dual_mov_b32 v40, 0
	v_dual_mov_b32 v41, 0 :: v_dual_mov_b32 v32, 0
	s_delay_alu instid0(VALU_DEP_4) | instskip(SKIP_2) | instid1(VALU_DEP_3)
	v_dual_mov_b32 v34, 0 :: v_dual_add_nc_u32 v13, 1, v13
	v_dual_mov_b32 v33, 0 :: v_dual_mov_b32 v36, 0
	v_add_co_u32 v11, vcc_lo, s8, v11
	v_dual_mov_b32 v44, 0 :: v_dual_and_b32 v13, 3, v13
	v_dual_mov_b32 v37, 0 :: v_dual_mov_b32 v42, 0
	v_dual_mov_b32 v45, 0 :: v_dual_mov_b32 v46, 0
	s_delay_alu instid0(VALU_DEP_3)
	v_sub_co_u32 v13, s3, 0, v13
	v_dual_mov_b32 v43, 0 :: v_dual_mov_b32 v38, 0
	v_mov_b32_e32 v53, v31
	v_dual_mov_b32 v35, 0 :: v_dual_mov_b32 v50, v26
	s_wait_alu 0xfffd
	v_add_co_ci_u32_e64 v12, null, s9, v12, vcc_lo
	s_wait_alu 0xf1ff
	v_sub_co_ci_u32_e64 v14, null, 0, 0, s3
	v_dual_mov_b32 v47, 0 :: v_dual_mov_b32 v52, v30
	v_mov_b32_e32 v39, 0
	s_mov_b32 s10, 0
.LBB35_15:                              ; =>This Inner Loop Header: Depth=1
	global_load_b32 v23, v[11:12], off
	s_clause 0x7
	global_load_b128 v[15:18], v[52:53], off offset:16
	global_load_b128 v[19:22], v[52:53], off
	global_load_b128 v[54:57], v[52:53], off offset:80
	global_load_b128 v[58:61], v[52:53], off offset:64
	;; [unrolled: 1-line block ×6, first 2 shown]
	v_add_co_u32 v11, s3, v11, 16
	s_wait_alu 0xf1ff
	v_add_co_ci_u32_e64 v12, null, 0, v12, s3
	s_wait_loadcnt 0x8
	v_subrev_nc_u32_e32 v23, s12, v23
	s_delay_alu instid0(VALU_DEP_1) | instskip(NEXT) | instid1(VALU_DEP_1)
	v_lshlrev_b32_e32 v23, 2, v23
	v_ashrrev_i32_e32 v24, 31, v23
	s_delay_alu instid0(VALU_DEP_1) | instskip(SKIP_1) | instid1(VALU_DEP_1)
	v_lshlrev_b64_e32 v[23:24], 4, v[23:24]
	s_wait_kmcnt 0x0
	v_add_co_u32 v23, vcc_lo, s4, v23
	s_wait_alu 0xfffd
	s_delay_alu instid0(VALU_DEP_2)
	v_add_co_ci_u32_e64 v24, null, s5, v24, vcc_lo
	s_clause 0x1
	global_load_b128 v[78:81], v[23:24], off
	global_load_b128 v[82:85], v[23:24], off offset:16
	s_clause 0x7
	global_load_b128 v[86:89], v[52:53], off offset:48
	global_load_b128 v[90:93], v[52:53], off offset:32
	;; [unrolled: 1-line block ×8, first 2 shown]
	s_clause 0x1
	global_load_b128 v[118:121], v[23:24], off offset:32
	global_load_b128 v[122:125], v[23:24], off offset:48
	v_add_co_u32 v52, vcc_lo, 0x400, v52
	s_wait_alu 0xfffd
	v_add_co_ci_u32_e64 v53, null, 0, v53, vcc_lo
	v_add_co_u32 v13, vcc_lo, v13, 1
	s_wait_alu 0xfffd
	v_add_co_ci_u32_e64 v14, null, 0, v14, vcc_lo
	;; [unrolled: 3-line block ×3, first 2 shown]
	s_delay_alu instid0(VALU_DEP_3)
	v_cmp_eq_u64_e32 vcc_lo, 0, v[13:14]
	s_wait_alu 0xfffe
	s_or_b32 s10, vcc_lo, s10
	s_wait_loadcnt 0xb
	v_fma_f64 v[23:24], v[19:20], v[78:79], v[40:41]
	v_fma_f64 v[34:35], v[21:22], v[78:79], v[34:35]
	v_fma_f64 v[40:41], v[58:59], v[78:79], v[46:47]
	v_fma_f64 v[38:39], v[60:61], v[78:79], v[38:39]
	v_fma_f64 v[44:45], v[66:67], v[78:79], v[44:45]
	v_fma_f64 v[42:43], v[68:69], v[78:79], v[42:43]
	v_fma_f64 v[32:33], v[74:75], v[78:79], v[32:33]
	v_fma_f64 v[36:37], v[76:77], v[78:79], v[36:37]
	v_fma_f64 v[21:22], -v[21:22], v[80:81], v[23:24]
	v_fma_f64 v[19:20], v[19:20], v[80:81], v[34:35]
	v_fma_f64 v[23:24], -v[60:61], v[80:81], v[40:41]
	v_fma_f64 v[34:35], v[58:59], v[80:81], v[38:39]
	v_fma_f64 v[38:39], -v[68:69], v[80:81], v[44:45]
	v_fma_f64 v[40:41], v[66:67], v[80:81], v[42:43]
	v_fma_f64 v[32:33], -v[76:77], v[80:81], v[32:33]
	v_fma_f64 v[36:37], v[74:75], v[80:81], v[36:37]
	s_wait_loadcnt 0xa
	v_fma_f64 v[21:22], v[15:16], v[82:83], v[21:22]
	v_fma_f64 v[19:20], v[17:18], v[82:83], v[19:20]
	v_fma_f64 v[23:24], v[54:55], v[82:83], v[23:24]
	v_fma_f64 v[34:35], v[56:57], v[82:83], v[34:35]
	v_fma_f64 v[38:39], v[62:63], v[82:83], v[38:39]
	v_fma_f64 v[40:41], v[64:65], v[82:83], v[40:41]
	v_fma_f64 v[32:33], v[70:71], v[82:83], v[32:33]
	v_fma_f64 v[36:37], v[72:73], v[82:83], v[36:37]
	v_fma_f64 v[17:18], -v[17:18], v[84:85], v[21:22]
	v_fma_f64 v[15:16], v[15:16], v[84:85], v[19:20]
	v_fma_f64 v[19:20], -v[56:57], v[84:85], v[23:24]
	v_fma_f64 v[21:22], v[54:55], v[84:85], v[34:35]
	v_fma_f64 v[23:24], -v[64:65], v[84:85], v[38:39]
	v_fma_f64 v[34:35], v[62:63], v[84:85], v[40:41]
	v_fma_f64 v[32:33], -v[72:73], v[84:85], v[32:33]
	v_fma_f64 v[36:37], v[70:71], v[84:85], v[36:37]
	;; [unrolled: 17-line block ×4, first 2 shown]
	s_wait_alu 0xfffe
	s_and_not1_b32 exec_lo, exec_lo, s10
	s_cbranch_execnz .LBB35_15
; %bb.16:
	s_or_b32 exec_lo, exec_lo, s10
.LBB35_17:
	s_wait_alu 0xfffe
	s_or_b32 exec_lo, exec_lo, s7
	s_delay_alu instid0(SALU_CYCLE_1)
	s_mov_b32 s7, exec_lo
	v_cmpx_lt_u64_e32 11, v[9:10]
	s_cbranch_execz .LBB35_21
; %bb.18:
	v_lshlrev_b64_e32 v[9:10], 2, v[50:51]
	s_mov_b32 s10, 0
	s_delay_alu instid0(VALU_DEP_1) | instskip(SKIP_1) | instid1(VALU_DEP_2)
	v_add_co_u32 v9, vcc_lo, s8, v9
	s_wait_alu 0xfffd
	v_add_co_ci_u32_e64 v10, null, s9, v10, vcc_lo
	s_delay_alu instid0(VALU_DEP_2) | instskip(SKIP_1) | instid1(VALU_DEP_2)
	v_add_co_u32 v54, vcc_lo, v9, 32
	s_wait_alu 0xfffd
	v_add_co_ci_u32_e64 v55, null, 0, v10, vcc_lo
.LBB35_19:                              ; =>This Inner Loop Header: Depth=1
	s_clause 0x1
	global_load_b32 v56, v[54:55], off offset:-32
	global_load_b32 v57, v[54:55], off offset:-16
	s_clause 0x3
	global_load_b128 v[21:24], v[52:53], off
	global_load_b128 v[17:20], v[52:53], off offset:64
	global_load_b128 v[13:16], v[52:53], off offset:128
	global_load_b128 v[9:12], v[52:53], off offset:192
	s_clause 0x1
	global_load_b32 v154, v[54:55], off
	global_load_b32 v156, v[54:55], off offset:16
	v_add_co_u32 v54, s3, v54, 64
	s_wait_alu 0xf1ff
	v_add_co_ci_u32_e64 v55, null, 0, v55, s3
	s_wait_loadcnt 0x7
	v_subrev_nc_u32_e32 v56, s12, v56
	s_delay_alu instid0(VALU_DEP_1)
	v_lshlrev_b32_e32 v58, 2, v56
	s_wait_loadcnt 0x6
	v_subrev_nc_u32_e32 v56, s12, v57
	s_wait_loadcnt 0x1
	v_subrev_nc_u32_e32 v154, s12, v154
	v_ashrrev_i32_e32 v59, 31, v58
	s_delay_alu instid0(VALU_DEP_3) | instskip(NEXT) | instid1(VALU_DEP_3)
	v_lshlrev_b32_e32 v56, 2, v56
	v_lshlrev_b32_e32 v154, 2, v154
	s_delay_alu instid0(VALU_DEP_3) | instskip(NEXT) | instid1(VALU_DEP_3)
	v_lshlrev_b64_e32 v[58:59], 4, v[58:59]
	v_ashrrev_i32_e32 v57, 31, v56
	s_delay_alu instid0(VALU_DEP_3) | instskip(NEXT) | instid1(VALU_DEP_2)
	v_ashrrev_i32_e32 v155, 31, v154
	v_lshlrev_b64_e32 v[56:57], 4, v[56:57]
	s_wait_kmcnt 0x0
	s_delay_alu instid0(VALU_DEP_4)
	v_add_co_u32 v118, vcc_lo, s4, v58
	s_wait_alu 0xfffd
	v_add_co_ci_u32_e64 v119, null, s5, v59, vcc_lo
	global_load_b128 v[58:61], v[118:119], off
	s_clause 0x3
	global_load_b128 v[62:65], v[52:53], off offset:16
	global_load_b128 v[66:69], v[52:53], off offset:80
	global_load_b128 v[70:73], v[52:53], off offset:144
	global_load_b128 v[74:77], v[52:53], off offset:208
	global_load_b128 v[78:81], v[118:119], off offset:16
	s_clause 0x3
	global_load_b128 v[82:85], v[52:53], off offset:32
	global_load_b128 v[86:89], v[52:53], off offset:96
	global_load_b128 v[90:93], v[52:53], off offset:160
	global_load_b128 v[94:97], v[52:53], off offset:224
	global_load_b128 v[98:101], v[118:119], off offset:32
	;; [unrolled: 6-line block ×3, first 2 shown]
	s_clause 0x3
	global_load_b128 v[122:125], v[52:53], off offset:1024
	global_load_b128 v[126:129], v[52:53], off offset:1088
	;; [unrolled: 1-line block ×4, first 2 shown]
	v_add_co_u32 v142, vcc_lo, s4, v56
	s_wait_alu 0xfffd
	v_add_co_ci_u32_e64 v143, null, s5, v57, vcc_lo
	global_load_b128 v[138:141], v[142:143], off
	s_wait_loadcnt 0x14
	v_fma_f64 v[40:41], v[21:22], v[58:59], v[40:41]
	v_fma_f64 v[34:35], v[23:24], v[58:59], v[34:35]
	v_fma_f64 v[46:47], v[17:18], v[58:59], v[46:47]
	v_fma_f64 v[38:39], v[19:20], v[58:59], v[38:39]
	v_fma_f64 v[44:45], v[13:14], v[58:59], v[44:45]
	v_fma_f64 v[42:43], v[15:16], v[58:59], v[42:43]
	v_fma_f64 v[32:33], v[9:10], v[58:59], v[32:33]
	v_fma_f64 v[36:37], v[11:12], v[58:59], v[36:37]
	v_fma_f64 v[40:41], -v[23:24], v[60:61], v[40:41]
	v_fma_f64 v[56:57], v[21:22], v[60:61], v[34:35]
	v_fma_f64 v[46:47], -v[19:20], v[60:61], v[46:47]
	v_fma_f64 v[38:39], v[17:18], v[60:61], v[38:39]
	v_fma_f64 v[44:45], -v[15:16], v[60:61], v[44:45]
	v_fma_f64 v[42:43], v[13:14], v[60:61], v[42:43]
	v_fma_f64 v[58:59], -v[11:12], v[60:61], v[32:33]
	v_fma_f64 v[36:37], v[9:10], v[60:61], v[36:37]
	s_clause 0x3
	global_load_b128 v[9:12], v[52:53], off offset:1040
	global_load_b128 v[13:16], v[52:53], off offset:1104
	global_load_b128 v[17:20], v[52:53], off offset:1168
	global_load_b128 v[21:24], v[52:53], off offset:1232
	global_load_b128 v[32:35], v[142:143], off offset:16
	s_wait_loadcnt 0x14
	v_fma_f64 v[40:41], v[62:63], v[78:79], v[40:41]
	v_fma_f64 v[56:57], v[64:65], v[78:79], v[56:57]
	v_fma_f64 v[46:47], v[66:67], v[78:79], v[46:47]
	v_fma_f64 v[38:39], v[68:69], v[78:79], v[38:39]
	v_fma_f64 v[44:45], v[70:71], v[78:79], v[44:45]
	v_fma_f64 v[42:43], v[72:73], v[78:79], v[42:43]
	v_fma_f64 v[58:59], v[74:75], v[78:79], v[58:59]
	v_fma_f64 v[36:37], v[76:77], v[78:79], v[36:37]
	v_fma_f64 v[64:65], -v[64:65], v[80:81], v[40:41]
	v_fma_f64 v[78:79], v[62:63], v[80:81], v[56:57]
	v_fma_f64 v[68:69], -v[68:69], v[80:81], v[46:47]
	v_fma_f64 v[66:67], v[66:67], v[80:81], v[38:39]
	v_fma_f64 v[72:73], -v[72:73], v[80:81], v[44:45]
	v_fma_f64 v[70:71], v[70:71], v[80:81], v[42:43]
	v_fma_f64 v[76:77], -v[76:77], v[80:81], v[58:59]
	v_fma_f64 v[74:75], v[74:75], v[80:81], v[36:37]
	s_clause 0x3
	global_load_b128 v[36:39], v[52:53], off offset:1056
	global_load_b128 v[40:43], v[52:53], off offset:1120
	global_load_b128 v[44:47], v[52:53], off offset:1184
	global_load_b128 v[56:59], v[52:53], off offset:1248
	global_load_b128 v[60:63], v[142:143], off offset:32
	;; [unrolled: 23-line block ×3, first 2 shown]
	s_wait_loadcnt 0x14
	v_fma_f64 v[100:101], v[102:103], v[118:119], v[84:85]
	v_fma_f64 v[142:143], v[104:105], v[118:119], v[98:99]
	;; [unrolled: 1-line block ×8, first 2 shown]
	s_clause 0x3
	global_load_b128 v[84:87], v[52:53], off offset:2048
	global_load_b128 v[88:91], v[52:53], off offset:2112
	;; [unrolled: 1-line block ×4, first 2 shown]
	v_fma_f64 v[104:105], -v[104:105], v[120:121], v[100:101]
	v_fma_f64 v[142:143], v[102:103], v[120:121], v[142:143]
	v_fma_f64 v[108:109], -v[108:109], v[120:121], v[144:145]
	v_fma_f64 v[106:107], v[106:107], v[120:121], v[146:147]
	v_fma_f64 v[112:113], -v[112:113], v[120:121], v[148:149]
	v_fma_f64 v[110:111], v[110:111], v[120:121], v[150:151]
	v_fma_f64 v[116:117], -v[116:117], v[120:121], v[152:153]
	v_fma_f64 v[114:115], v[114:115], v[120:121], v[118:119]
	v_lshlrev_b64_e32 v[100:101], 4, v[154:155]
	v_subrev_nc_u32_e32 v154, s12, v156
	s_delay_alu instid0(VALU_DEP_2) | instskip(SKIP_1) | instid1(VALU_DEP_3)
	v_add_co_u32 v144, vcc_lo, s4, v100
	s_wait_alu 0xfffd
	v_add_co_ci_u32_e64 v145, null, s5, v101, vcc_lo
	s_delay_alu instid0(VALU_DEP_3)
	v_lshlrev_b32_e32 v154, 2, v154
	global_load_b128 v[100:103], v[144:145], off
	v_ashrrev_i32_e32 v155, 31, v154
	s_wait_loadcnt 0x14
	v_fma_f64 v[104:105], v[122:123], v[138:139], v[104:105]
	v_fma_f64 v[118:119], v[124:125], v[138:139], v[142:143]
	v_fma_f64 v[108:109], v[126:127], v[138:139], v[108:109]
	v_fma_f64 v[106:107], v[128:129], v[138:139], v[106:107]
	v_fma_f64 v[112:113], v[130:131], v[138:139], v[112:113]
	v_fma_f64 v[110:111], v[132:133], v[138:139], v[110:111]
	v_fma_f64 v[116:117], v[134:135], v[138:139], v[116:117]
	v_fma_f64 v[114:115], v[136:137], v[138:139], v[114:115]
	v_fma_f64 v[124:125], -v[124:125], v[140:141], v[104:105]
	v_fma_f64 v[138:139], v[122:123], v[140:141], v[118:119]
	v_fma_f64 v[128:129], -v[128:129], v[140:141], v[108:109]
	v_fma_f64 v[126:127], v[126:127], v[140:141], v[106:107]
	v_fma_f64 v[132:133], -v[132:133], v[140:141], v[112:113]
	v_fma_f64 v[130:131], v[130:131], v[140:141], v[110:111]
	v_fma_f64 v[136:137], -v[136:137], v[140:141], v[116:117]
	v_fma_f64 v[134:135], v[134:135], v[140:141], v[114:115]
	s_clause 0x3
	global_load_b128 v[104:107], v[52:53], off offset:2064
	global_load_b128 v[108:111], v[52:53], off offset:2128
	global_load_b128 v[112:115], v[52:53], off offset:2192
	global_load_b128 v[116:119], v[52:53], off offset:2256
	global_load_b128 v[120:123], v[144:145], off offset:16
	s_wait_loadcnt 0x14
	v_fma_f64 v[124:125], v[9:10], v[32:33], v[124:125]
	v_fma_f64 v[138:139], v[11:12], v[32:33], v[138:139]
	v_fma_f64 v[128:129], v[13:14], v[32:33], v[128:129]
	v_fma_f64 v[126:127], v[15:16], v[32:33], v[126:127]
	v_fma_f64 v[132:133], v[17:18], v[32:33], v[132:133]
	v_fma_f64 v[130:131], v[19:20], v[32:33], v[130:131]
	v_fma_f64 v[136:137], v[21:22], v[32:33], v[136:137]
	v_fma_f64 v[32:33], v[23:24], v[32:33], v[134:135]
	v_fma_f64 v[124:125], -v[11:12], v[34:35], v[124:125]
	v_fma_f64 v[134:135], v[9:10], v[34:35], v[138:139]
	v_fma_f64 v[128:129], -v[15:16], v[34:35], v[128:129]
	v_fma_f64 v[126:127], v[13:14], v[34:35], v[126:127]
	v_fma_f64 v[132:133], -v[19:20], v[34:35], v[132:133]
	v_fma_f64 v[130:131], v[17:18], v[34:35], v[130:131]
	v_fma_f64 v[136:137], -v[23:24], v[34:35], v[136:137]
	v_fma_f64 v[138:139], v[21:22], v[34:35], v[32:33]
	s_clause 0x3
	global_load_b128 v[9:12], v[52:53], off offset:2080
	global_load_b128 v[13:16], v[52:53], off offset:2144
	global_load_b128 v[17:20], v[52:53], off offset:2208
	global_load_b128 v[21:24], v[52:53], off offset:2272
	global_load_b128 v[32:35], v[144:145], off offset:32
	;; [unrolled: 23-line block ×3, first 2 shown]
	s_wait_loadcnt 0x14
	v_fma_f64 v[140:141], v[64:65], v[80:81], v[124:125]
	v_fma_f64 v[142:143], v[66:67], v[80:81], v[134:135]
	;; [unrolled: 1-line block ×8, first 2 shown]
	s_clause 0x3
	global_load_b128 v[124:127], v[52:53], off offset:3072
	global_load_b128 v[128:131], v[52:53], off offset:3136
	;; [unrolled: 1-line block ×4, first 2 shown]
	v_fma_f64 v[140:141], -v[66:67], v[82:83], v[140:141]
	v_fma_f64 v[142:143], v[64:65], v[82:83], v[142:143]
	v_fma_f64 v[70:71], -v[70:71], v[82:83], v[144:145]
	v_fma_f64 v[68:69], v[68:69], v[82:83], v[146:147]
	;; [unrolled: 2-line block ×4, first 2 shown]
	v_lshlrev_b64_e32 v[64:65], 4, v[154:155]
	s_delay_alu instid0(VALU_DEP_1) | instskip(SKIP_1) | instid1(VALU_DEP_2)
	v_add_co_u32 v144, vcc_lo, s4, v64
	s_wait_alu 0xfffd
	v_add_co_ci_u32_e64 v145, null, s5, v65, vcc_lo
	v_add_co_u32 v50, vcc_lo, v50, 16
	s_wait_alu 0xfffd
	v_add_co_ci_u32_e64 v51, null, 0, v51, vcc_lo
	global_load_b128 v[64:67], v[144:145], off
	s_wait_loadcnt 0x14
	v_fma_f64 v[80:81], v[84:85], v[100:101], v[140:141]
	v_fma_f64 v[82:83], v[86:87], v[100:101], v[142:143]
	v_fma_f64 v[70:71], v[88:89], v[100:101], v[70:71]
	v_fma_f64 v[68:69], v[90:91], v[100:101], v[68:69]
	v_fma_f64 v[74:75], v[92:93], v[100:101], v[74:75]
	v_fma_f64 v[72:73], v[94:95], v[100:101], v[72:73]
	v_fma_f64 v[78:79], v[96:97], v[100:101], v[78:79]
	v_fma_f64 v[76:77], v[98:99], v[100:101], v[76:77]
	v_fma_f64 v[100:101], -v[86:87], v[102:103], v[80:81]
	v_fma_f64 v[140:141], v[84:85], v[102:103], v[82:83]
	v_fma_f64 v[90:91], -v[90:91], v[102:103], v[70:71]
	v_fma_f64 v[88:89], v[88:89], v[102:103], v[68:69]
	v_fma_f64 v[94:95], -v[94:95], v[102:103], v[74:75]
	v_fma_f64 v[92:93], v[92:93], v[102:103], v[72:73]
	v_fma_f64 v[98:99], -v[98:99], v[102:103], v[78:79]
	v_fma_f64 v[96:97], v[96:97], v[102:103], v[76:77]
	s_clause 0x3
	global_load_b128 v[68:71], v[52:53], off offset:3088
	global_load_b128 v[72:75], v[52:53], off offset:3152
	global_load_b128 v[76:79], v[52:53], off offset:3216
	global_load_b128 v[80:83], v[52:53], off offset:3280
	global_load_b128 v[84:87], v[144:145], off offset:16
	s_wait_loadcnt 0x14
	v_fma_f64 v[100:101], v[104:105], v[120:121], v[100:101]
	v_fma_f64 v[102:103], v[106:107], v[120:121], v[140:141]
	v_fma_f64 v[90:91], v[108:109], v[120:121], v[90:91]
	v_fma_f64 v[88:89], v[110:111], v[120:121], v[88:89]
	v_fma_f64 v[94:95], v[112:113], v[120:121], v[94:95]
	v_fma_f64 v[92:93], v[114:115], v[120:121], v[92:93]
	v_fma_f64 v[98:99], v[116:117], v[120:121], v[98:99]
	v_fma_f64 v[96:97], v[118:119], v[120:121], v[96:97]
	v_fma_f64 v[120:121], -v[106:107], v[122:123], v[100:101]
	v_fma_f64 v[140:141], v[104:105], v[122:123], v[102:103]
	v_fma_f64 v[110:111], -v[110:111], v[122:123], v[90:91]
	v_fma_f64 v[108:109], v[108:109], v[122:123], v[88:89]
	v_fma_f64 v[114:115], -v[114:115], v[122:123], v[94:95]
	v_fma_f64 v[112:113], v[112:113], v[122:123], v[92:93]
	v_fma_f64 v[118:119], -v[118:119], v[122:123], v[98:99]
	v_fma_f64 v[116:117], v[116:117], v[122:123], v[96:97]
	s_clause 0x3
	global_load_b128 v[88:91], v[52:53], off offset:3104
	global_load_b128 v[92:95], v[52:53], off offset:3168
	global_load_b128 v[96:99], v[52:53], off offset:3232
	global_load_b128 v[100:103], v[52:53], off offset:3296
	global_load_b128 v[104:107], v[144:145], off offset:32
	;; [unrolled: 23-line block ×3, first 2 shown]
	v_add_co_u32 v52, vcc_lo, 0x1000, v52
	s_wait_alu 0xfffd
	v_add_co_ci_u32_e64 v53, null, 0, v53, vcc_lo
	v_cmp_ge_i64_e32 vcc_lo, v[50:51], v[28:29]
	s_wait_alu 0xfffe
	s_or_b32 s10, vcc_lo, s10
	s_wait_loadcnt 0x14
	v_fma_f64 v[34:35], v[36:37], v[60:61], v[116:117]
	v_fma_f64 v[116:117], v[38:39], v[60:61], v[120:121]
	v_fma_f64 v[120:121], v[40:41], v[60:61], v[122:123]
	v_fma_f64 v[122:123], v[42:43], v[60:61], v[140:141]
	v_fma_f64 v[114:115], v[44:45], v[60:61], v[114:115]
	v_fma_f64 v[112:113], v[46:47], v[60:61], v[112:113]
	v_fma_f64 v[118:119], v[56:57], v[60:61], v[118:119]
	v_fma_f64 v[32:33], v[58:59], v[60:61], v[32:33]
	v_fma_f64 v[34:35], -v[38:39], v[62:63], v[34:35]
	v_fma_f64 v[36:37], v[36:37], v[62:63], v[116:117]
	v_fma_f64 v[38:39], -v[42:43], v[62:63], v[120:121]
	v_fma_f64 v[40:41], v[40:41], v[62:63], v[122:123]
	v_fma_f64 v[42:43], -v[46:47], v[62:63], v[114:115]
	v_fma_f64 v[44:45], v[44:45], v[62:63], v[112:113]
	v_fma_f64 v[46:47], -v[58:59], v[62:63], v[118:119]
	v_fma_f64 v[32:33], v[56:57], v[62:63], v[32:33]
	s_wait_loadcnt 0xf
	v_fma_f64 v[34:35], v[124:125], v[64:65], v[34:35]
	v_fma_f64 v[36:37], v[126:127], v[64:65], v[36:37]
	v_fma_f64 v[38:39], v[128:129], v[64:65], v[38:39]
	v_fma_f64 v[40:41], v[130:131], v[64:65], v[40:41]
	v_fma_f64 v[42:43], v[132:133], v[64:65], v[42:43]
	v_fma_f64 v[44:45], v[134:135], v[64:65], v[44:45]
	v_fma_f64 v[46:47], v[136:137], v[64:65], v[46:47]
	v_fma_f64 v[32:33], v[138:139], v[64:65], v[32:33]
	v_fma_f64 v[34:35], -v[126:127], v[66:67], v[34:35]
	v_fma_f64 v[36:37], v[124:125], v[66:67], v[36:37]
	v_fma_f64 v[38:39], -v[130:131], v[66:67], v[38:39]
	v_fma_f64 v[40:41], v[128:129], v[66:67], v[40:41]
	v_fma_f64 v[42:43], -v[134:135], v[66:67], v[42:43]
	v_fma_f64 v[44:45], v[132:133], v[66:67], v[44:45]
	v_fma_f64 v[46:47], -v[138:139], v[66:67], v[46:47]
	v_fma_f64 v[32:33], v[136:137], v[66:67], v[32:33]
	;; [unrolled: 17-line block ×5, first 2 shown]
	s_wait_alu 0xfffe
	s_and_not1_b32 exec_lo, exec_lo, s10
	s_cbranch_execnz .LBB35_19
; %bb.20:
	s_or_b32 exec_lo, exec_lo, s10
.LBB35_21:
	s_wait_alu 0xfffe
	s_or_b32 exec_lo, exec_lo, s7
.LBB35_22:
	s_wait_alu 0xfffe
	s_or_b32 exec_lo, exec_lo, s6
	s_cbranch_execz .LBB35_24
	s_branch .LBB35_35
.LBB35_23:
                                        ; implicit-def: $vgpr34_vgpr35
                                        ; implicit-def: $vgpr40_vgpr41
                                        ; implicit-def: $vgpr32_vgpr33
                                        ; implicit-def: $vgpr36_vgpr37
                                        ; implicit-def: $vgpr44_vgpr45
                                        ; implicit-def: $vgpr42_vgpr43
                                        ; implicit-def: $vgpr46_vgpr47
                                        ; implicit-def: $vgpr38_vgpr39
.LBB35_24:
	v_mov_b32_e32 v34, 0
	v_mov_b32_e32 v32, 0
	;; [unrolled: 1-line block ×3, first 2 shown]
	v_dual_mov_b32 v46, 0 :: v_dual_mov_b32 v35, 0
	v_dual_mov_b32 v40, 0 :: v_dual_mov_b32 v33, 0
	v_dual_mov_b32 v36, 0 :: v_dual_mov_b32 v45, 0
	v_dual_mov_b32 v42, 0 :: v_dual_mov_b32 v47, 0
	v_dual_mov_b32 v38, 0 :: v_dual_mov_b32 v41, 0
	v_mov_b32_e32 v37, 0
	v_mov_b32_e32 v43, 0
	;; [unrolled: 1-line block ×3, first 2 shown]
	s_and_saveexec_b32 s3, s2
	s_cbranch_execz .LBB35_34
; %bb.25:
	v_or_b32_e32 v9, 4, v0
	v_not_b32_e32 v13, v48
	v_not_b32_e32 v11, v49
	v_mov_b32_e32 v44, 0
	v_mov_b32_e32 v32, 0
	v_sub_co_u32 v9, s2, v9, s12
	s_wait_alu 0xf1ff
	v_sub_co_ci_u32_e64 v10, null, 0, 0, s2
	v_sub_co_u32 v14, s2, s12, v0
	s_delay_alu instid0(VALU_DEP_3) | instskip(SKIP_1) | instid1(VALU_DEP_3)
	v_add_co_u32 v9, vcc_lo, v9, v48
	s_wait_alu 0xfffd
	v_add_co_ci_u32_e64 v10, null, v10, v49, vcc_lo
	s_wait_alu 0xf1ff
	v_sub_co_ci_u32_e64 v15, null, 0, 0, s2
	v_add_co_u32 v13, s2, v14, v13
	s_delay_alu instid0(VALU_DEP_3)
	v_cmp_gt_i64_e32 vcc_lo, v[9:10], v[28:29]
	v_mov_b32_e32 v12, 0
	s_wait_alu 0xf1ff
	v_add_co_ci_u32_e64 v11, null, v15, v11, s2
	v_mov_b32_e32 v38, 0
	s_wait_alu 0xfffd
	v_dual_mov_b32 v46, 0 :: v_dual_cndmask_b32 v9, v28, v9
	v_dual_cndmask_b32 v10, v29, v10 :: v_dual_mov_b32 v39, 0
	v_dual_mov_b32 v45, 0 :: v_dual_mov_b32 v36, 0
	s_delay_alu instid0(VALU_DEP_3)
	v_add_co_u32 v9, vcc_lo, v13, v9
	v_dual_mov_b32 v42, 0 :: v_dual_mov_b32 v33, 0
	v_mov_b32_e32 v40, 0
	v_dual_mov_b32 v34, 0 :: v_dual_mov_b32 v47, 0
	v_mov_b32_e32 v43, 0
	s_wait_alu 0xfffd
	v_add_co_ci_u32_e64 v10, null, v11, v10, vcc_lo
	v_and_b32_e32 v11, 12, v9
	v_mov_b32_e32 v37, 0
	v_mov_b32_e32 v41, 0
	;; [unrolled: 1-line block ×3, first 2 shown]
	s_mov_b32 s6, exec_lo
	v_cmpx_ne_u64_e32 12, v[11:12]
	s_cbranch_execz .LBB35_29
; %bb.26:
	v_lshrrev_b32_e32 v13, 2, v9
	v_mov_b32_e32 v32, 0
	v_lshlrev_b64_e32 v[11:12], 2, v[26:27]
	v_dual_mov_b32 v33, 0 :: v_dual_mov_b32 v36, 0
	s_delay_alu instid0(VALU_DEP_4) | instskip(SKIP_1) | instid1(VALU_DEP_4)
	v_dual_mov_b32 v34, 0 :: v_dual_add_nc_u32 v13, 1, v13
	v_dual_mov_b32 v37, 0 :: v_dual_mov_b32 v42, 0
	v_add_co_u32 v11, vcc_lo, s8, v11
	s_delay_alu instid0(VALU_DEP_3) | instskip(SKIP_2) | instid1(VALU_DEP_3)
	v_dual_mov_b32 v44, 0 :: v_dual_and_b32 v13, 3, v13
	v_dual_mov_b32 v35, 0 :: v_dual_mov_b32 v40, 0
	v_dual_mov_b32 v45, 0 :: v_dual_mov_b32 v46, 0
	v_sub_co_u32 v13, s2, 0, v13
	v_dual_mov_b32 v43, 0 :: v_dual_mov_b32 v38, 0
	v_mov_b32_e32 v41, 0
	s_wait_alu 0xfffd
	v_add_co_ci_u32_e64 v12, null, s9, v12, vcc_lo
	v_mov_b32_e32 v47, 0
	v_mov_b32_e32 v39, 0
	s_wait_alu 0xf1ff
	v_sub_co_ci_u32_e64 v14, null, 0, 0, s2
	s_mov_b32 s7, 0
.LBB35_27:                              ; =>This Inner Loop Header: Depth=1
	global_load_b32 v23, v[11:12], off
	s_clause 0x3
	global_load_b128 v[15:18], v[30:31], off offset:48
	global_load_b128 v[19:22], v[30:31], off offset:32
	;; [unrolled: 1-line block ×3, first 2 shown]
	global_load_b128 v[52:55], v[30:31], off
	v_add_co_u32 v11, s2, v11, 16
	s_wait_alu 0xf1ff
	v_add_co_ci_u32_e64 v12, null, 0, v12, s2
	s_wait_loadcnt 0x4
	v_subrev_nc_u32_e32 v23, s12, v23
	s_delay_alu instid0(VALU_DEP_1) | instskip(NEXT) | instid1(VALU_DEP_1)
	v_lshlrev_b32_e32 v23, 2, v23
	v_ashrrev_i32_e32 v24, 31, v23
	s_delay_alu instid0(VALU_DEP_1) | instskip(SKIP_1) | instid1(VALU_DEP_1)
	v_lshlrev_b64_e32 v[23:24], 4, v[23:24]
	s_wait_kmcnt 0x0
	v_add_co_u32 v23, vcc_lo, s4, v23
	s_wait_alu 0xfffd
	s_delay_alu instid0(VALU_DEP_2)
	v_add_co_ci_u32_e64 v24, null, s5, v24, vcc_lo
	s_clause 0x1
	global_load_b128 v[56:59], v[23:24], off
	global_load_b128 v[60:63], v[23:24], off offset:16
	s_clause 0x7
	global_load_b128 v[64:67], v[30:31], off offset:64
	global_load_b128 v[68:71], v[30:31], off offset:80
	global_load_b128 v[72:75], v[30:31], off offset:96
	global_load_b128 v[76:79], v[30:31], off offset:112
	global_load_b128 v[80:83], v[30:31], off offset:176
	global_load_b128 v[84:87], v[30:31], off offset:160
	global_load_b128 v[88:91], v[30:31], off offset:144
	global_load_b128 v[92:95], v[30:31], off offset:128
	s_clause 0x1
	global_load_b128 v[96:99], v[23:24], off offset:32
	global_load_b128 v[100:103], v[23:24], off offset:48
	s_clause 0x3
	global_load_b128 v[104:107], v[30:31], off offset:192
	global_load_b128 v[108:111], v[30:31], off offset:208
	global_load_b128 v[112:115], v[30:31], off offset:224
	global_load_b128 v[116:119], v[30:31], off offset:240
	v_add_co_u32 v30, vcc_lo, 0x400, v30
	s_wait_alu 0xfffd
	v_add_co_ci_u32_e64 v31, null, 0, v31, vcc_lo
	v_add_co_u32 v13, vcc_lo, v13, 1
	s_wait_alu 0xfffd
	v_add_co_ci_u32_e64 v14, null, 0, v14, vcc_lo
	;; [unrolled: 3-line block ×3, first 2 shown]
	s_delay_alu instid0(VALU_DEP_3)
	v_cmp_eq_u64_e32 vcc_lo, 0, v[13:14]
	s_wait_alu 0xfffe
	s_or_b32 s7, vcc_lo, s7
	s_wait_loadcnt 0xf
	v_fma_f64 v[23:24], v[52:53], v[56:57], v[40:41]
	v_fma_f64 v[34:35], v[54:55], v[56:57], v[34:35]
	v_fma_f64 v[40:41], v[48:49], v[56:57], v[46:47]
	v_fma_f64 v[38:39], v[50:51], v[56:57], v[38:39]
	v_fma_f64 v[44:45], v[19:20], v[56:57], v[44:45]
	v_fma_f64 v[42:43], v[21:22], v[56:57], v[42:43]
	v_fma_f64 v[32:33], v[15:16], v[56:57], v[32:33]
	v_fma_f64 v[36:37], v[17:18], v[56:57], v[36:37]
	v_fma_f64 v[23:24], -v[54:55], v[58:59], v[23:24]
	v_fma_f64 v[34:35], v[52:53], v[58:59], v[34:35]
	v_fma_f64 v[40:41], -v[50:51], v[58:59], v[40:41]
	v_fma_f64 v[38:39], v[48:49], v[58:59], v[38:39]
	;; [unrolled: 2-line block ×4, first 2 shown]
	s_wait_loadcnt 0xd
	v_fma_f64 v[23:24], v[64:65], v[60:61], v[23:24]
	v_fma_f64 v[32:33], v[66:67], v[60:61], v[34:35]
	s_wait_loadcnt 0xc
	v_fma_f64 v[34:35], v[68:69], v[60:61], v[40:41]
	v_fma_f64 v[36:37], v[70:71], v[60:61], v[38:39]
	;; [unrolled: 3-line block ×4, first 2 shown]
	v_fma_f64 v[23:24], -v[66:67], v[62:63], v[23:24]
	v_fma_f64 v[32:33], v[64:65], v[62:63], v[32:33]
	v_fma_f64 v[34:35], -v[70:71], v[62:63], v[34:35]
	v_fma_f64 v[36:37], v[68:69], v[62:63], v[36:37]
	;; [unrolled: 2-line block ×4, first 2 shown]
	s_wait_loadcnt 0x5
	v_fma_f64 v[23:24], v[92:93], v[96:97], v[23:24]
	v_fma_f64 v[32:33], v[94:95], v[96:97], v[32:33]
	;; [unrolled: 1-line block ×8, first 2 shown]
	v_fma_f64 v[23:24], -v[94:95], v[98:99], v[23:24]
	v_fma_f64 v[32:33], v[92:93], v[98:99], v[32:33]
	v_fma_f64 v[34:35], -v[90:91], v[98:99], v[34:35]
	v_fma_f64 v[36:37], v[88:89], v[98:99], v[36:37]
	;; [unrolled: 2-line block ×4, first 2 shown]
	s_wait_loadcnt 0x3
	v_fma_f64 v[23:24], v[104:105], v[100:101], v[23:24]
	v_fma_f64 v[32:33], v[106:107], v[100:101], v[32:33]
	s_wait_loadcnt 0x2
	v_fma_f64 v[38:39], v[108:109], v[100:101], v[34:35]
	v_fma_f64 v[36:37], v[110:111], v[100:101], v[36:37]
	;; [unrolled: 3-line block ×4, first 2 shown]
	v_fma_f64 v[40:41], -v[106:107], v[102:103], v[23:24]
	v_fma_f64 v[34:35], v[104:105], v[102:103], v[32:33]
	v_fma_f64 v[46:47], -v[110:111], v[102:103], v[38:39]
	v_fma_f64 v[38:39], v[108:109], v[102:103], v[36:37]
	;; [unrolled: 2-line block ×4, first 2 shown]
	s_wait_alu 0xfffe
	s_and_not1_b32 exec_lo, exec_lo, s7
	s_cbranch_execnz .LBB35_27
; %bb.28:
	s_or_b32 exec_lo, exec_lo, s7
.LBB35_29:
	s_wait_alu 0xfffe
	s_or_b32 exec_lo, exec_lo, s6
	s_delay_alu instid0(SALU_CYCLE_1)
	s_mov_b32 s6, exec_lo
	v_cmpx_lt_u64_e32 11, v[9:10]
	s_cbranch_execz .LBB35_33
; %bb.30:
	v_lshlrev_b64_e32 v[9:10], 2, v[26:27]
	s_mov_b32 s7, 0
	s_delay_alu instid0(VALU_DEP_1) | instskip(SKIP_1) | instid1(VALU_DEP_2)
	v_add_co_u32 v9, vcc_lo, s8, v9
	s_wait_alu 0xfffd
	v_add_co_ci_u32_e64 v10, null, s9, v10, vcc_lo
	s_delay_alu instid0(VALU_DEP_2) | instskip(SKIP_1) | instid1(VALU_DEP_2)
	v_add_co_u32 v9, vcc_lo, v9, 32
	s_wait_alu 0xfffd
	v_add_co_ci_u32_e64 v10, null, 0, v10, vcc_lo
.LBB35_31:                              ; =>This Inner Loop Header: Depth=1
	s_clause 0x1
	global_load_b32 v11, v[9:10], off offset:-32
	global_load_b32 v24, v[9:10], off offset:-16
	s_clause 0x3
	global_load_b128 v[12:15], v[30:31], off offset:48
	global_load_b128 v[16:19], v[30:31], off offset:32
	;; [unrolled: 1-line block ×3, first 2 shown]
	global_load_b128 v[48:51], v[30:31], off
	s_clause 0x1
	global_load_b32 v148, v[9:10], off
	global_load_b32 v150, v[9:10], off offset:16
	v_add_co_u32 v9, s2, v9, 64
	s_wait_alu 0xf1ff
	v_add_co_ci_u32_e64 v10, null, 0, v10, s2
	s_wait_loadcnt 0x7
	v_subrev_nc_u32_e32 v11, s12, v11
	s_delay_alu instid0(VALU_DEP_1)
	v_lshlrev_b32_e32 v52, 2, v11
	s_wait_loadcnt 0x6
	v_subrev_nc_u32_e32 v11, s12, v24
	s_wait_loadcnt 0x1
	v_subrev_nc_u32_e32 v148, s12, v148
	v_ashrrev_i32_e32 v53, 31, v52
	s_delay_alu instid0(VALU_DEP_3) | instskip(NEXT) | instid1(VALU_DEP_3)
	v_lshlrev_b32_e32 v132, 2, v11
	v_lshlrev_b32_e32 v148, 2, v148
	s_delay_alu instid0(VALU_DEP_3) | instskip(NEXT) | instid1(VALU_DEP_3)
	v_lshlrev_b64_e32 v[52:53], 4, v[52:53]
	v_ashrrev_i32_e32 v133, 31, v132
	s_delay_alu instid0(VALU_DEP_3) | instskip(NEXT) | instid1(VALU_DEP_2)
	v_ashrrev_i32_e32 v149, 31, v148
	v_lshlrev_b64_e32 v[132:133], 4, v[132:133]
	s_wait_kmcnt 0x0
	s_delay_alu instid0(VALU_DEP_4)
	v_add_co_u32 v112, vcc_lo, s4, v52
	s_wait_alu 0xfffd
	v_add_co_ci_u32_e64 v113, null, s5, v53, vcc_lo
	global_load_b128 v[52:55], v[112:113], off
	s_clause 0x3
	global_load_b128 v[56:59], v[30:31], off offset:112
	global_load_b128 v[60:63], v[30:31], off offset:96
	global_load_b128 v[64:67], v[30:31], off offset:80
	global_load_b128 v[68:71], v[30:31], off offset:64
	global_load_b128 v[72:75], v[112:113], off offset:16
	s_clause 0x3
	global_load_b128 v[76:79], v[30:31], off offset:176
	global_load_b128 v[80:83], v[30:31], off offset:160
	global_load_b128 v[84:87], v[30:31], off offset:144
	global_load_b128 v[88:91], v[30:31], off offset:128
	global_load_b128 v[92:95], v[112:113], off offset:32
	;; [unrolled: 6-line block ×3, first 2 shown]
	s_clause 0x3
	global_load_b128 v[116:119], v[30:31], off offset:1072
	global_load_b128 v[120:123], v[30:31], off offset:1056
	;; [unrolled: 1-line block ×4, first 2 shown]
	v_add_co_u32 v136, vcc_lo, s4, v132
	s_wait_alu 0xfffd
	v_add_co_ci_u32_e64 v137, null, s5, v133, vcc_lo
	global_load_b128 v[132:135], v[136:137], off
	s_wait_loadcnt 0x14
	v_fma_f64 v[40:41], v[48:49], v[52:53], v[40:41]
	v_fma_f64 v[34:35], v[50:51], v[52:53], v[34:35]
	v_fma_f64 v[46:47], v[20:21], v[52:53], v[46:47]
	v_fma_f64 v[38:39], v[22:23], v[52:53], v[38:39]
	v_fma_f64 v[44:45], v[16:17], v[52:53], v[44:45]
	v_fma_f64 v[42:43], v[18:19], v[52:53], v[42:43]
	v_fma_f64 v[32:33], v[12:13], v[52:53], v[32:33]
	v_fma_f64 v[36:37], v[14:15], v[52:53], v[36:37]
	v_fma_f64 v[40:41], -v[50:51], v[54:55], v[40:41]
	v_fma_f64 v[48:49], v[48:49], v[54:55], v[34:35]
	v_fma_f64 v[23:24], -v[22:23], v[54:55], v[46:47]
	v_fma_f64 v[46:47], v[20:21], v[54:55], v[38:39]
	v_fma_f64 v[44:45], -v[18:19], v[54:55], v[44:45]
	v_fma_f64 v[42:43], v[16:17], v[54:55], v[42:43]
	v_fma_f64 v[50:51], -v[14:15], v[54:55], v[32:33]
	v_fma_f64 v[52:53], v[12:13], v[54:55], v[36:37]
	s_clause 0x3
	global_load_b128 v[11:14], v[30:31], off offset:1136
	global_load_b128 v[15:18], v[30:31], off offset:1120
	global_load_b128 v[19:22], v[30:31], off offset:1104
	global_load_b128 v[32:35], v[30:31], off offset:1088
	global_load_b128 v[36:39], v[136:137], off offset:16
	s_wait_loadcnt 0x14
	v_fma_f64 v[40:41], v[68:69], v[72:73], v[40:41]
	v_fma_f64 v[48:49], v[70:71], v[72:73], v[48:49]
	v_fma_f64 v[23:24], v[64:65], v[72:73], v[23:24]
	v_fma_f64 v[46:47], v[66:67], v[72:73], v[46:47]
	v_fma_f64 v[44:45], v[60:61], v[72:73], v[44:45]
	v_fma_f64 v[42:43], v[62:63], v[72:73], v[42:43]
	v_fma_f64 v[50:51], v[56:57], v[72:73], v[50:51]
	v_fma_f64 v[52:53], v[58:59], v[72:73], v[52:53]
	v_fma_f64 v[70:71], -v[70:71], v[74:75], v[40:41]
	v_fma_f64 v[68:69], v[68:69], v[74:75], v[48:49]
	v_fma_f64 v[23:24], -v[66:67], v[74:75], v[23:24]
	v_fma_f64 v[64:65], v[64:65], v[74:75], v[46:47]
	v_fma_f64 v[62:63], -v[62:63], v[74:75], v[44:45]
	v_fma_f64 v[60:61], v[60:61], v[74:75], v[42:43]
	v_fma_f64 v[66:67], -v[58:59], v[74:75], v[50:51]
	v_fma_f64 v[72:73], v[56:57], v[74:75], v[52:53]
	s_clause 0x3
	global_load_b128 v[40:43], v[30:31], off offset:1200
	global_load_b128 v[44:47], v[30:31], off offset:1184
	global_load_b128 v[48:51], v[30:31], off offset:1168
	global_load_b128 v[52:55], v[30:31], off offset:1152
	global_load_b128 v[56:59], v[136:137], off offset:32
	;; [unrolled: 23-line block ×3, first 2 shown]
	s_wait_loadcnt 0x14
	v_fma_f64 v[136:137], v[108:109], v[112:113], v[90:91]
	v_fma_f64 v[138:139], v[110:111], v[112:113], v[88:89]
	;; [unrolled: 1-line block ×8, first 2 shown]
	s_clause 0x3
	global_load_b128 v[80:83], v[30:31], off offset:2096
	global_load_b128 v[84:87], v[30:31], off offset:2080
	global_load_b128 v[88:91], v[30:31], off offset:2064
	global_load_b128 v[92:95], v[30:31], off offset:2048
	v_fma_f64 v[110:111], -v[110:111], v[114:115], v[136:137]
	v_fma_f64 v[108:109], v[108:109], v[114:115], v[138:139]
	v_fma_f64 v[23:24], -v[106:107], v[114:115], v[23:24]
	v_fma_f64 v[104:105], v[104:105], v[114:115], v[140:141]
	;; [unrolled: 2-line block ×4, first 2 shown]
	v_lshlrev_b64_e32 v[96:97], 4, v[148:149]
	v_subrev_nc_u32_e32 v148, s12, v150
	s_delay_alu instid0(VALU_DEP_2) | instskip(SKIP_1) | instid1(VALU_DEP_3)
	v_add_co_u32 v136, vcc_lo, s4, v96
	s_wait_alu 0xfffd
	v_add_co_ci_u32_e64 v137, null, s5, v97, vcc_lo
	s_delay_alu instid0(VALU_DEP_3)
	v_lshlrev_b32_e32 v148, 2, v148
	global_load_b128 v[96:99], v[136:137], off
	v_ashrrev_i32_e32 v149, 31, v148
	s_wait_loadcnt 0x14
	v_fma_f64 v[110:111], v[128:129], v[132:133], v[110:111]
	v_fma_f64 v[108:109], v[130:131], v[132:133], v[108:109]
	v_fma_f64 v[23:24], v[124:125], v[132:133], v[23:24]
	v_fma_f64 v[104:105], v[126:127], v[132:133], v[104:105]
	v_fma_f64 v[102:103], v[120:121], v[132:133], v[102:103]
	v_fma_f64 v[100:101], v[122:123], v[132:133], v[100:101]
	v_fma_f64 v[106:107], v[116:117], v[132:133], v[106:107]
	v_fma_f64 v[112:113], v[118:119], v[132:133], v[112:113]
	v_fma_f64 v[130:131], -v[130:131], v[134:135], v[110:111]
	v_fma_f64 v[128:129], v[128:129], v[134:135], v[108:109]
	v_fma_f64 v[23:24], -v[126:127], v[134:135], v[23:24]
	v_fma_f64 v[124:125], v[124:125], v[134:135], v[104:105]
	v_fma_f64 v[122:123], -v[122:123], v[134:135], v[102:103]
	v_fma_f64 v[120:121], v[120:121], v[134:135], v[100:101]
	v_fma_f64 v[126:127], -v[118:119], v[134:135], v[106:107]
	v_fma_f64 v[132:133], v[116:117], v[134:135], v[112:113]
	s_clause 0x3
	global_load_b128 v[100:103], v[30:31], off offset:2160
	global_load_b128 v[104:107], v[30:31], off offset:2144
	global_load_b128 v[108:111], v[30:31], off offset:2128
	global_load_b128 v[112:115], v[30:31], off offset:2112
	global_load_b128 v[116:119], v[136:137], off offset:16
	s_wait_loadcnt 0x14
	v_fma_f64 v[130:131], v[32:33], v[36:37], v[130:131]
	v_fma_f64 v[128:129], v[34:35], v[36:37], v[128:129]
	v_fma_f64 v[23:24], v[19:20], v[36:37], v[23:24]
	v_fma_f64 v[124:125], v[21:22], v[36:37], v[124:125]
	v_fma_f64 v[122:123], v[15:16], v[36:37], v[122:123]
	v_fma_f64 v[120:121], v[17:18], v[36:37], v[120:121]
	v_fma_f64 v[126:127], v[11:12], v[36:37], v[126:127]
	v_fma_f64 v[36:37], v[13:14], v[36:37], v[132:133]
	v_fma_f64 v[130:131], -v[34:35], v[38:39], v[130:131]
	v_fma_f64 v[128:129], v[32:33], v[38:39], v[128:129]
	v_fma_f64 v[23:24], -v[21:22], v[38:39], v[23:24]
	v_fma_f64 v[124:125], v[19:20], v[38:39], v[124:125]
	v_fma_f64 v[122:123], -v[17:18], v[38:39], v[122:123]
	v_fma_f64 v[120:121], v[15:16], v[38:39], v[120:121]
	v_fma_f64 v[126:127], -v[13:14], v[38:39], v[126:127]
	v_fma_f64 v[132:133], v[11:12], v[38:39], v[36:37]
	s_clause 0x3
	global_load_b128 v[11:14], v[30:31], off offset:2224
	global_load_b128 v[15:18], v[30:31], off offset:2208
	global_load_b128 v[19:22], v[30:31], off offset:2192
	global_load_b128 v[32:35], v[30:31], off offset:2176
	global_load_b128 v[36:39], v[136:137], off offset:32
	;; [unrolled: 23-line block ×3, first 2 shown]
	s_wait_loadcnt 0x14
	v_fma_f64 v[136:137], v[72:73], v[76:77], v[130:131]
	v_fma_f64 v[138:139], v[74:75], v[76:77], v[128:129]
	;; [unrolled: 1-line block ×8, first 2 shown]
	s_clause 0x3
	global_load_b128 v[120:123], v[30:31], off offset:3120
	global_load_b128 v[124:127], v[30:31], off offset:3104
	;; [unrolled: 1-line block ×4, first 2 shown]
	v_fma_f64 v[74:75], -v[74:75], v[78:79], v[136:137]
	v_fma_f64 v[72:73], v[72:73], v[78:79], v[138:139]
	v_fma_f64 v[23:24], -v[70:71], v[78:79], v[23:24]
	v_fma_f64 v[68:69], v[68:69], v[78:79], v[140:141]
	v_fma_f64 v[70:71], -v[66:67], v[78:79], v[142:143]
	v_fma_f64 v[136:137], v[64:65], v[78:79], v[144:145]
	v_fma_f64 v[138:139], -v[62:63], v[78:79], v[146:147]
	v_fma_f64 v[76:77], v[60:61], v[78:79], v[76:77]
	v_lshlrev_b64_e32 v[60:61], 4, v[148:149]
	s_delay_alu instid0(VALU_DEP_1) | instskip(SKIP_1) | instid1(VALU_DEP_2)
	v_add_co_u32 v140, vcc_lo, s4, v60
	s_wait_alu 0xfffd
	v_add_co_ci_u32_e64 v141, null, s5, v61, vcc_lo
	s_clause 0x1
	global_load_b128 v[60:63], v[140:141], off
	global_load_b128 v[64:67], v[140:141], off offset:16
	v_add_co_u32 v26, vcc_lo, v26, 16
	s_wait_alu 0xfffd
	v_add_co_ci_u32_e64 v27, null, 0, v27, vcc_lo
	s_wait_loadcnt 0x15
	v_fma_f64 v[74:75], v[92:93], v[96:97], v[74:75]
	v_fma_f64 v[72:73], v[94:95], v[96:97], v[72:73]
	;; [unrolled: 1-line block ×8, first 2 shown]
	v_fma_f64 v[94:95], -v[94:95], v[98:99], v[74:75]
	v_fma_f64 v[92:93], v[92:93], v[98:99], v[72:73]
	v_fma_f64 v[23:24], -v[90:91], v[98:99], v[23:24]
	v_fma_f64 v[88:89], v[88:89], v[98:99], v[68:69]
	;; [unrolled: 2-line block ×4, first 2 shown]
	s_clause 0x3
	global_load_b128 v[68:71], v[30:31], off offset:3136
	global_load_b128 v[72:75], v[30:31], off offset:3152
	;; [unrolled: 1-line block ×4, first 2 shown]
	s_wait_loadcnt 0x14
	v_fma_f64 v[94:95], v[112:113], v[116:117], v[94:95]
	v_fma_f64 v[92:93], v[114:115], v[116:117], v[92:93]
	;; [unrolled: 1-line block ×8, first 2 shown]
	v_fma_f64 v[114:115], -v[114:115], v[118:119], v[94:95]
	v_fma_f64 v[112:113], v[112:113], v[118:119], v[92:93]
	v_fma_f64 v[23:24], -v[110:111], v[118:119], v[23:24]
	v_fma_f64 v[108:109], v[108:109], v[118:119], v[88:89]
	v_fma_f64 v[110:111], -v[106:107], v[118:119], v[86:87]
	v_fma_f64 v[116:117], v[104:105], v[118:119], v[84:85]
	v_fma_f64 v[136:137], -v[102:103], v[118:119], v[90:91]
	v_fma_f64 v[118:119], v[100:101], v[118:119], v[96:97]
	s_clause 0x3
	global_load_b128 v[84:87], v[30:31], off offset:3248
	global_load_b128 v[88:91], v[30:31], off offset:3232
	;; [unrolled: 1-line block ×4, first 2 shown]
	s_clause 0x1
	global_load_b128 v[100:103], v[140:141], off offset:32
	global_load_b128 v[104:107], v[140:141], off offset:48
	s_wait_loadcnt 0x15
	v_fma_f64 v[114:115], v[32:33], v[36:37], v[114:115]
	v_fma_f64 v[112:113], v[34:35], v[36:37], v[112:113]
	;; [unrolled: 1-line block ×8, first 2 shown]
	v_fma_f64 v[34:35], -v[34:35], v[38:39], v[114:115]
	v_fma_f64 v[32:33], v[32:33], v[38:39], v[112:113]
	v_fma_f64 v[23:24], -v[21:22], v[38:39], v[23:24]
	v_fma_f64 v[112:113], v[19:20], v[38:39], v[108:109]
	;; [unrolled: 2-line block ×4, first 2 shown]
	s_clause 0x3
	global_load_b128 v[11:14], v[30:31], off offset:3264
	global_load_b128 v[15:18], v[30:31], off offset:3280
	;; [unrolled: 1-line block ×4, first 2 shown]
	v_add_co_u32 v30, vcc_lo, 0x1000, v30
	s_wait_alu 0xfffd
	v_add_co_ci_u32_e64 v31, null, 0, v31, vcc_lo
	v_cmp_ge_i64_e32 vcc_lo, v[26:27], v[28:29]
	s_wait_alu 0xfffe
	s_or_b32 s7, vcc_lo, s7
	s_wait_loadcnt 0x14
	v_fma_f64 v[34:35], v[52:53], v[56:57], v[34:35]
	v_fma_f64 v[32:33], v[54:55], v[56:57], v[32:33]
	;; [unrolled: 1-line block ×8, first 2 shown]
	v_fma_f64 v[34:35], -v[54:55], v[58:59], v[34:35]
	v_fma_f64 v[32:33], v[52:53], v[58:59], v[32:33]
	v_fma_f64 v[23:24], -v[50:51], v[58:59], v[23:24]
	v_fma_f64 v[38:39], v[48:49], v[58:59], v[38:39]
	;; [unrolled: 2-line block ×4, first 2 shown]
	s_wait_loadcnt 0xf
	v_fma_f64 v[34:35], v[132:133], v[60:61], v[34:35]
	v_fma_f64 v[32:33], v[134:135], v[60:61], v[32:33]
	;; [unrolled: 1-line block ×8, first 2 shown]
	v_fma_f64 v[34:35], -v[134:135], v[62:63], v[34:35]
	v_fma_f64 v[32:33], v[132:133], v[62:63], v[32:33]
	v_fma_f64 v[23:24], -v[130:131], v[62:63], v[23:24]
	v_fma_f64 v[38:39], v[128:129], v[62:63], v[38:39]
	;; [unrolled: 2-line block ×4, first 2 shown]
	s_wait_loadcnt 0xd
	v_fma_f64 v[34:35], v[68:69], v[64:65], v[34:35]
	v_fma_f64 v[32:33], v[70:71], v[64:65], v[32:33]
	s_wait_loadcnt 0xc
	v_fma_f64 v[23:24], v[72:73], v[64:65], v[23:24]
	v_fma_f64 v[38:39], v[74:75], v[64:65], v[38:39]
	;; [unrolled: 3-line block ×4, first 2 shown]
	v_fma_f64 v[34:35], -v[70:71], v[66:67], v[34:35]
	v_fma_f64 v[32:33], v[68:69], v[66:67], v[32:33]
	v_fma_f64 v[23:24], -v[74:75], v[66:67], v[23:24]
	v_fma_f64 v[38:39], v[72:73], v[66:67], v[38:39]
	;; [unrolled: 2-line block ×4, first 2 shown]
	s_wait_loadcnt 0x5
	v_fma_f64 v[34:35], v[96:97], v[100:101], v[34:35]
	v_fma_f64 v[32:33], v[98:99], v[100:101], v[32:33]
	;; [unrolled: 1-line block ×8, first 2 shown]
	v_fma_f64 v[34:35], -v[98:99], v[102:103], v[34:35]
	v_fma_f64 v[32:33], v[96:97], v[102:103], v[32:33]
	v_fma_f64 v[23:24], -v[94:95], v[102:103], v[23:24]
	v_fma_f64 v[38:39], v[92:93], v[102:103], v[38:39]
	;; [unrolled: 2-line block ×4, first 2 shown]
	s_wait_loadcnt 0x3
	v_fma_f64 v[34:35], v[11:12], v[104:105], v[34:35]
	v_fma_f64 v[32:33], v[13:14], v[104:105], v[32:33]
	s_wait_loadcnt 0x2
	v_fma_f64 v[23:24], v[15:16], v[104:105], v[23:24]
	v_fma_f64 v[38:39], v[17:18], v[104:105], v[38:39]
	;; [unrolled: 3-line block ×4, first 2 shown]
	v_fma_f64 v[40:41], -v[13:14], v[106:107], v[34:35]
	v_fma_f64 v[34:35], v[11:12], v[106:107], v[32:33]
	v_fma_f64 v[46:47], -v[17:18], v[106:107], v[23:24]
	v_fma_f64 v[38:39], v[15:16], v[106:107], v[38:39]
	;; [unrolled: 2-line block ×4, first 2 shown]
	s_wait_alu 0xfffe
	s_and_not1_b32 exec_lo, exec_lo, s7
	s_cbranch_execnz .LBB35_31
; %bb.32:
	s_or_b32 exec_lo, exec_lo, s7
.LBB35_33:
	s_wait_alu 0xfffe
	s_or_b32 exec_lo, exec_lo, s6
.LBB35_34:
	s_wait_alu 0xfffe
	s_or_b32 exec_lo, exec_lo, s3
.LBB35_35:
	v_mbcnt_lo_u32_b32 v30, -1, 0
	s_delay_alu instid0(VALU_DEP_1) | instskip(NEXT) | instid1(VALU_DEP_1)
	v_xor_b32_e32 v9, 2, v30
	v_cmp_gt_i32_e32 vcc_lo, 32, v9
	s_wait_alu 0xfffd
	v_cndmask_b32_e32 v9, v30, v9, vcc_lo
	s_delay_alu instid0(VALU_DEP_1)
	v_lshlrev_b32_e32 v23, 2, v9
	ds_bpermute_b32 v9, v23, v40
	ds_bpermute_b32 v10, v23, v41
	;; [unrolled: 1-line block ×16, first 2 shown]
	s_wait_dscnt 0xe
	v_add_f64_e32 v[9:10], v[40:41], v[9:10]
	s_wait_dscnt 0xc
	v_add_f64_e32 v[28:29], v[34:35], v[11:12]
	;; [unrolled: 2-line block ×7, first 2 shown]
	v_xor_b32_e32 v21, 1, v30
	s_wait_dscnt 0x0
	v_add_f64_e32 v[17:18], v[36:37], v[26:27]
	s_delay_alu instid0(VALU_DEP_2) | instskip(SKIP_3) | instid1(VALU_DEP_2)
	v_cmp_gt_i32_e32 vcc_lo, 32, v21
	s_wait_alu 0xfffd
	v_cndmask_b32_e32 v21, v30, v21, vcc_lo
	v_cmp_eq_u32_e32 vcc_lo, 3, v0
	v_lshlrev_b32_e32 v35, 2, v21
	ds_bpermute_b32 v21, v35, v9
	ds_bpermute_b32 v22, v35, v10
	;; [unrolled: 1-line block ×16, first 2 shown]
	s_and_b32 exec_lo, exec_lo, vcc_lo
	s_cbranch_execz .LBB35_8
; %bb.36:
	s_wait_dscnt 0xc
	v_add_f64_e32 v[28:29], v[28:29], v[40:41]
	s_wait_dscnt 0x8
	v_add_f64_e32 v[23:24], v[23:24], v[38:39]
	;; [unrolled: 2-line block ×4, first 2 shown]
	v_add_f64_e32 v[9:10], v[9:10], v[21:22]
	v_add_f64_e32 v[11:12], v[11:12], v[26:27]
	;; [unrolled: 1-line block ×4, first 2 shown]
	v_cmp_eq_f64_e32 vcc_lo, 0, v[1:2]
	v_cmp_eq_f64_e64 s2, 0, v[3:4]
	s_load_b64 s[0:1], s[0:1], 0x60
	v_mul_f64_e64 v[13:14], v[28:29], -v[7:8]
	v_mul_f64_e32 v[15:16], v[5:6], v[28:29]
	v_mul_f64_e64 v[28:29], v[23:24], -v[7:8]
	v_mul_f64_e32 v[23:24], v[5:6], v[23:24]
	;; [unrolled: 2-line block ×4, first 2 shown]
	s_and_b32 s2, vcc_lo, s2
	v_fma_f64 v[17:18], v[5:6], v[9:10], v[13:14]
	v_fma_f64 v[19:20], v[7:8], v[9:10], v[15:16]
	v_fma_f64 v[13:14], v[5:6], v[11:12], v[28:29]
	v_fma_f64 v[15:16], v[7:8], v[11:12], v[23:24]
	v_fma_f64 v[9:10], v[5:6], v[21:22], v[30:31]
	v_fma_f64 v[11:12], v[7:8], v[21:22], v[32:33]
	v_fma_f64 v[5:6], v[5:6], v[26:27], v[34:35]
	v_fma_f64 v[7:8], v[7:8], v[26:27], v[36:37]
	v_lshlrev_b32_e32 v21, 2, v25
	s_wait_alu 0xfffe
	s_and_saveexec_b32 s3, s2
	s_wait_alu 0xfffe
	s_xor_b32 s2, exec_lo, s3
	s_cbranch_execz .LBB35_38
; %bb.37:
	v_ashrrev_i32_e32 v22, 31, v21
	s_delay_alu instid0(VALU_DEP_1) | instskip(SKIP_1) | instid1(VALU_DEP_1)
	v_lshlrev_b64_e32 v[0:1], 4, v[21:22]
                                        ; implicit-def: $vgpr21
	s_wait_kmcnt 0x0
	v_add_co_u32 v0, vcc_lo, s0, v0
	s_wait_alu 0xfffd
	s_delay_alu instid0(VALU_DEP_2)
	v_add_co_ci_u32_e64 v1, null, s1, v1, vcc_lo
	s_clause 0x3
	global_store_b128 v[0:1], v[17:20], off
	global_store_b128 v[0:1], v[13:16], off offset:16
	global_store_b128 v[0:1], v[9:12], off offset:32
	;; [unrolled: 1-line block ×3, first 2 shown]
                                        ; implicit-def: $vgpr3_vgpr4
                                        ; implicit-def: $vgpr17_vgpr18
                                        ; implicit-def: $vgpr13_vgpr14
                                        ; implicit-def: $vgpr9_vgpr10
                                        ; implicit-def: $vgpr5_vgpr6
.LBB35_38:
	s_wait_alu 0xfffe
	s_and_not1_saveexec_b32 s2, s2
	s_cbranch_execz .LBB35_8
; %bb.39:
	v_ashrrev_i32_e32 v22, 31, v21
	s_delay_alu instid0(VALU_DEP_1) | instskip(SKIP_1) | instid1(VALU_DEP_1)
	v_lshlrev_b64_e32 v[21:22], 4, v[21:22]
	s_wait_kmcnt 0x0
	v_add_co_u32 v37, vcc_lo, s0, v21
	s_wait_alu 0xfffd
	s_delay_alu instid0(VALU_DEP_2)
	v_add_co_ci_u32_e64 v38, null, s1, v22, vcc_lo
	s_clause 0x3
	global_load_b128 v[21:24], v[37:38], off
	global_load_b128 v[25:28], v[37:38], off offset:16
	global_load_b128 v[29:32], v[37:38], off offset:32
	;; [unrolled: 1-line block ×3, first 2 shown]
	s_wait_loadcnt 0x3
	v_fma_f64 v[17:18], v[1:2], v[21:22], v[17:18]
	v_fma_f64 v[19:20], v[3:4], v[21:22], v[19:20]
	s_wait_loadcnt 0x2
	v_fma_f64 v[13:14], v[1:2], v[25:26], v[13:14]
	v_fma_f64 v[15:16], v[3:4], v[25:26], v[15:16]
	;; [unrolled: 3-line block ×4, first 2 shown]
	v_fma_f64 v[5:6], -v[3:4], v[23:24], v[17:18]
	v_fma_f64 v[7:8], v[1:2], v[23:24], v[19:20]
	v_fma_f64 v[9:10], -v[3:4], v[27:28], v[13:14]
	v_fma_f64 v[11:12], v[1:2], v[27:28], v[15:16]
	;; [unrolled: 2-line block ×4, first 2 shown]
	s_clause 0x3
	global_store_b128 v[37:38], v[5:8], off
	global_store_b128 v[37:38], v[9:12], off offset:16
	global_store_b128 v[37:38], v[13:16], off offset:32
	;; [unrolled: 1-line block ×3, first 2 shown]
	s_nop 0
	s_sendmsg sendmsg(MSG_DEALLOC_VGPRS)
	s_endpgm
	.section	.rodata,"a",@progbits
	.p2align	6, 0x0
	.amdhsa_kernel _ZN9rocsparseL18bsrxmvn_4x4_kernelILj128ELj4E21rocsparse_complex_numIdEliS2_S2_S2_EEvT3_20rocsparse_direction_NS_24const_host_device_scalarIT1_EES3_PKS3_PKT2_SC_S9_PKT4_PKT5_S7_PT6_21rocsparse_index_base_b
		.amdhsa_group_segment_fixed_size 0
		.amdhsa_private_segment_fixed_size 0
		.amdhsa_kernarg_size 112
		.amdhsa_user_sgpr_count 2
		.amdhsa_user_sgpr_dispatch_ptr 0
		.amdhsa_user_sgpr_queue_ptr 0
		.amdhsa_user_sgpr_kernarg_segment_ptr 1
		.amdhsa_user_sgpr_dispatch_id 0
		.amdhsa_user_sgpr_private_segment_size 0
		.amdhsa_wavefront_size32 1
		.amdhsa_uses_dynamic_stack 0
		.amdhsa_enable_private_segment 0
		.amdhsa_system_sgpr_workgroup_id_x 1
		.amdhsa_system_sgpr_workgroup_id_y 0
		.amdhsa_system_sgpr_workgroup_id_z 0
		.amdhsa_system_sgpr_workgroup_info 0
		.amdhsa_system_vgpr_workitem_id 0
		.amdhsa_next_free_vgpr 157
		.amdhsa_next_free_sgpr 14
		.amdhsa_reserve_vcc 1
		.amdhsa_float_round_mode_32 0
		.amdhsa_float_round_mode_16_64 0
		.amdhsa_float_denorm_mode_32 3
		.amdhsa_float_denorm_mode_16_64 3
		.amdhsa_fp16_overflow 0
		.amdhsa_workgroup_processor_mode 1
		.amdhsa_memory_ordered 1
		.amdhsa_forward_progress 1
		.amdhsa_inst_pref_size 92
		.amdhsa_round_robin_scheduling 0
		.amdhsa_exception_fp_ieee_invalid_op 0
		.amdhsa_exception_fp_denorm_src 0
		.amdhsa_exception_fp_ieee_div_zero 0
		.amdhsa_exception_fp_ieee_overflow 0
		.amdhsa_exception_fp_ieee_underflow 0
		.amdhsa_exception_fp_ieee_inexact 0
		.amdhsa_exception_int_div_zero 0
	.end_amdhsa_kernel
	.section	.text._ZN9rocsparseL18bsrxmvn_4x4_kernelILj128ELj4E21rocsparse_complex_numIdEliS2_S2_S2_EEvT3_20rocsparse_direction_NS_24const_host_device_scalarIT1_EES3_PKS3_PKT2_SC_S9_PKT4_PKT5_S7_PT6_21rocsparse_index_base_b,"axG",@progbits,_ZN9rocsparseL18bsrxmvn_4x4_kernelILj128ELj4E21rocsparse_complex_numIdEliS2_S2_S2_EEvT3_20rocsparse_direction_NS_24const_host_device_scalarIT1_EES3_PKS3_PKT2_SC_S9_PKT4_PKT5_S7_PT6_21rocsparse_index_base_b,comdat
.Lfunc_end35:
	.size	_ZN9rocsparseL18bsrxmvn_4x4_kernelILj128ELj4E21rocsparse_complex_numIdEliS2_S2_S2_EEvT3_20rocsparse_direction_NS_24const_host_device_scalarIT1_EES3_PKS3_PKT2_SC_S9_PKT4_PKT5_S7_PT6_21rocsparse_index_base_b, .Lfunc_end35-_ZN9rocsparseL18bsrxmvn_4x4_kernelILj128ELj4E21rocsparse_complex_numIdEliS2_S2_S2_EEvT3_20rocsparse_direction_NS_24const_host_device_scalarIT1_EES3_PKS3_PKT2_SC_S9_PKT4_PKT5_S7_PT6_21rocsparse_index_base_b
                                        ; -- End function
	.set _ZN9rocsparseL18bsrxmvn_4x4_kernelILj128ELj4E21rocsparse_complex_numIdEliS2_S2_S2_EEvT3_20rocsparse_direction_NS_24const_host_device_scalarIT1_EES3_PKS3_PKT2_SC_S9_PKT4_PKT5_S7_PT6_21rocsparse_index_base_b.num_vgpr, 157
	.set _ZN9rocsparseL18bsrxmvn_4x4_kernelILj128ELj4E21rocsparse_complex_numIdEliS2_S2_S2_EEvT3_20rocsparse_direction_NS_24const_host_device_scalarIT1_EES3_PKS3_PKT2_SC_S9_PKT4_PKT5_S7_PT6_21rocsparse_index_base_b.num_agpr, 0
	.set _ZN9rocsparseL18bsrxmvn_4x4_kernelILj128ELj4E21rocsparse_complex_numIdEliS2_S2_S2_EEvT3_20rocsparse_direction_NS_24const_host_device_scalarIT1_EES3_PKS3_PKT2_SC_S9_PKT4_PKT5_S7_PT6_21rocsparse_index_base_b.numbered_sgpr, 14
	.set _ZN9rocsparseL18bsrxmvn_4x4_kernelILj128ELj4E21rocsparse_complex_numIdEliS2_S2_S2_EEvT3_20rocsparse_direction_NS_24const_host_device_scalarIT1_EES3_PKS3_PKT2_SC_S9_PKT4_PKT5_S7_PT6_21rocsparse_index_base_b.num_named_barrier, 0
	.set _ZN9rocsparseL18bsrxmvn_4x4_kernelILj128ELj4E21rocsparse_complex_numIdEliS2_S2_S2_EEvT3_20rocsparse_direction_NS_24const_host_device_scalarIT1_EES3_PKS3_PKT2_SC_S9_PKT4_PKT5_S7_PT6_21rocsparse_index_base_b.private_seg_size, 0
	.set _ZN9rocsparseL18bsrxmvn_4x4_kernelILj128ELj4E21rocsparse_complex_numIdEliS2_S2_S2_EEvT3_20rocsparse_direction_NS_24const_host_device_scalarIT1_EES3_PKS3_PKT2_SC_S9_PKT4_PKT5_S7_PT6_21rocsparse_index_base_b.uses_vcc, 1
	.set _ZN9rocsparseL18bsrxmvn_4x4_kernelILj128ELj4E21rocsparse_complex_numIdEliS2_S2_S2_EEvT3_20rocsparse_direction_NS_24const_host_device_scalarIT1_EES3_PKS3_PKT2_SC_S9_PKT4_PKT5_S7_PT6_21rocsparse_index_base_b.uses_flat_scratch, 0
	.set _ZN9rocsparseL18bsrxmvn_4x4_kernelILj128ELj4E21rocsparse_complex_numIdEliS2_S2_S2_EEvT3_20rocsparse_direction_NS_24const_host_device_scalarIT1_EES3_PKS3_PKT2_SC_S9_PKT4_PKT5_S7_PT6_21rocsparse_index_base_b.has_dyn_sized_stack, 0
	.set _ZN9rocsparseL18bsrxmvn_4x4_kernelILj128ELj4E21rocsparse_complex_numIdEliS2_S2_S2_EEvT3_20rocsparse_direction_NS_24const_host_device_scalarIT1_EES3_PKS3_PKT2_SC_S9_PKT4_PKT5_S7_PT6_21rocsparse_index_base_b.has_recursion, 0
	.set _ZN9rocsparseL18bsrxmvn_4x4_kernelILj128ELj4E21rocsparse_complex_numIdEliS2_S2_S2_EEvT3_20rocsparse_direction_NS_24const_host_device_scalarIT1_EES3_PKS3_PKT2_SC_S9_PKT4_PKT5_S7_PT6_21rocsparse_index_base_b.has_indirect_call, 0
	.section	.AMDGPU.csdata,"",@progbits
; Kernel info:
; codeLenInByte = 11728
; TotalNumSgprs: 16
; NumVgprs: 157
; ScratchSize: 0
; MemoryBound: 1
; FloatMode: 240
; IeeeMode: 1
; LDSByteSize: 0 bytes/workgroup (compile time only)
; SGPRBlocks: 0
; VGPRBlocks: 19
; NumSGPRsForWavesPerEU: 16
; NumVGPRsForWavesPerEU: 157
; Occupancy: 9
; WaveLimiterHint : 1
; COMPUTE_PGM_RSRC2:SCRATCH_EN: 0
; COMPUTE_PGM_RSRC2:USER_SGPR: 2
; COMPUTE_PGM_RSRC2:TRAP_HANDLER: 0
; COMPUTE_PGM_RSRC2:TGID_X_EN: 1
; COMPUTE_PGM_RSRC2:TGID_Y_EN: 0
; COMPUTE_PGM_RSRC2:TGID_Z_EN: 0
; COMPUTE_PGM_RSRC2:TIDIG_COMP_CNT: 0
	.section	.text._ZN9rocsparseL18bsrxmvn_4x4_kernelILj128ELj8E21rocsparse_complex_numIdEliS2_S2_S2_EEvT3_20rocsparse_direction_NS_24const_host_device_scalarIT1_EES3_PKS3_PKT2_SC_S9_PKT4_PKT5_S7_PT6_21rocsparse_index_base_b,"axG",@progbits,_ZN9rocsparseL18bsrxmvn_4x4_kernelILj128ELj8E21rocsparse_complex_numIdEliS2_S2_S2_EEvT3_20rocsparse_direction_NS_24const_host_device_scalarIT1_EES3_PKS3_PKT2_SC_S9_PKT4_PKT5_S7_PT6_21rocsparse_index_base_b,comdat
	.globl	_ZN9rocsparseL18bsrxmvn_4x4_kernelILj128ELj8E21rocsparse_complex_numIdEliS2_S2_S2_EEvT3_20rocsparse_direction_NS_24const_host_device_scalarIT1_EES3_PKS3_PKT2_SC_S9_PKT4_PKT5_S7_PT6_21rocsparse_index_base_b ; -- Begin function _ZN9rocsparseL18bsrxmvn_4x4_kernelILj128ELj8E21rocsparse_complex_numIdEliS2_S2_S2_EEvT3_20rocsparse_direction_NS_24const_host_device_scalarIT1_EES3_PKS3_PKT2_SC_S9_PKT4_PKT5_S7_PT6_21rocsparse_index_base_b
	.p2align	8
	.type	_ZN9rocsparseL18bsrxmvn_4x4_kernelILj128ELj8E21rocsparse_complex_numIdEliS2_S2_S2_EEvT3_20rocsparse_direction_NS_24const_host_device_scalarIT1_EES3_PKS3_PKT2_SC_S9_PKT4_PKT5_S7_PT6_21rocsparse_index_base_b,@function
_ZN9rocsparseL18bsrxmvn_4x4_kernelILj128ELj8E21rocsparse_complex_numIdEliS2_S2_S2_EEvT3_20rocsparse_direction_NS_24const_host_device_scalarIT1_EES3_PKS3_PKT2_SC_S9_PKT4_PKT5_S7_PT6_21rocsparse_index_base_b: ; @_ZN9rocsparseL18bsrxmvn_4x4_kernelILj128ELj8E21rocsparse_complex_numIdEliS2_S2_S2_EEvT3_20rocsparse_direction_NS_24const_host_device_scalarIT1_EES3_PKS3_PKT2_SC_S9_PKT4_PKT5_S7_PT6_21rocsparse_index_base_b
; %bb.0:
	s_clause 0x1
	s_load_b64 s[12:13], s[0:1], 0x68
	s_load_b64 s[2:3], s[0:1], 0x8
	s_add_nc_u64 s[4:5], s[0:1], 8
	s_load_b64 s[6:7], s[0:1], 0x50
	s_wait_kmcnt 0x0
	s_bitcmp1_b32 s13, 0
	s_cselect_b32 s2, s4, s2
	s_cselect_b32 s3, s5, s3
	s_delay_alu instid0(SALU_CYCLE_1)
	v_dual_mov_b32 v1, s2 :: v_dual_mov_b32 v2, s3
	s_add_nc_u64 s[2:3], s[0:1], 0x50
	s_wait_alu 0xfffe
	s_cselect_b32 s2, s2, s6
	s_cselect_b32 s3, s3, s7
	flat_load_b128 v[5:8], v[1:2]
	s_wait_alu 0xfffe
	v_dual_mov_b32 v1, s2 :: v_dual_mov_b32 v2, s3
	flat_load_b128 v[1:4], v[1:2]
	s_wait_loadcnt_dscnt 0x101
	v_cmp_eq_f64_e32 vcc_lo, 0, v[5:6]
	v_cmp_eq_f64_e64 s2, 0, v[7:8]
	s_and_b32 s4, vcc_lo, s2
	s_mov_b32 s2, -1
	s_and_saveexec_b32 s3, s4
	s_cbranch_execz .LBB36_2
; %bb.1:
	s_wait_loadcnt_dscnt 0x0
	v_cmp_neq_f64_e32 vcc_lo, 1.0, v[1:2]
	v_cmp_neq_f64_e64 s2, 0, v[3:4]
	s_wait_alu 0xfffe
	s_or_b32 s2, vcc_lo, s2
	s_wait_alu 0xfffe
	s_or_not1_b32 s2, s2, exec_lo
.LBB36_2:
	s_wait_alu 0xfffe
	s_or_b32 exec_lo, exec_lo, s3
	s_and_saveexec_b32 s3, s2
	s_cbranch_execz .LBB36_8
; %bb.3:
	s_clause 0x1
	s_load_b64 s[4:5], s[0:1], 0x20
	s_load_b64 s[2:3], s[0:1], 0x0
	v_lshrrev_b32_e32 v9, 3, v0
	s_delay_alu instid0(VALU_DEP_1)
	v_lshl_or_b32 v25, ttmp9, 4, v9
	s_wait_kmcnt 0x0
	s_cmp_lg_u64 s[4:5], 0
	s_cbranch_scc0 .LBB36_9
; %bb.4:
	s_load_b32 s6, s[0:1], 0x18
	s_mov_b32 s7, 0
                                        ; implicit-def: $vgpr9
	s_wait_kmcnt 0x0
	v_cmp_gt_i32_e32 vcc_lo, s6, v25
	s_mov_b32 s6, 0
	s_and_saveexec_b32 s8, vcc_lo
	s_delay_alu instid0(SALU_CYCLE_1)
	s_xor_b32 s8, exec_lo, s8
	s_cbranch_execz .LBB36_6
; %bb.5:
	v_ashrrev_i32_e32 v26, 31, v25
	s_mov_b32 s6, exec_lo
	s_delay_alu instid0(VALU_DEP_1) | instskip(NEXT) | instid1(VALU_DEP_1)
	v_lshlrev_b64_e32 v[9:10], 2, v[25:26]
	v_add_co_u32 v9, vcc_lo, s4, v9
	s_delay_alu instid0(VALU_DEP_1)
	v_add_co_ci_u32_e64 v10, null, s5, v10, vcc_lo
	global_load_b32 v9, v[9:10], off
	s_wait_loadcnt 0x0
	v_subrev_nc_u32_e32 v9, s12, v9
.LBB36_6:
	s_or_b32 exec_lo, exec_lo, s8
	s_delay_alu instid0(SALU_CYCLE_1)
	s_and_b32 vcc_lo, exec_lo, s7
	s_wait_alu 0xfffe
	s_cbranch_vccz .LBB36_10
.LBB36_7:
	v_cmp_gt_i32_e32 vcc_lo, s2, v25
	s_and_not1_b32 s2, s6, exec_lo
	s_and_b32 s4, vcc_lo, exec_lo
	s_wait_alu 0xfffe
	s_or_b32 s6, s2, s4
	s_wait_alu 0xfffe
	s_and_b32 exec_lo, exec_lo, s6
	s_cbranch_execnz .LBB36_11
.LBB36_8:
	s_nop 0
	s_sendmsg sendmsg(MSG_DEALLOC_VGPRS)
	s_endpgm
.LBB36_9:
	s_mov_b32 s6, 0
                                        ; implicit-def: $vgpr9
	s_cbranch_execnz .LBB36_7
.LBB36_10:
	v_mov_b32_e32 v25, v9
	s_and_b32 exec_lo, exec_lo, s6
	s_cbranch_execz .LBB36_8
.LBB36_11:
	s_load_b256 s[4:11], s[0:1], 0x28
	s_delay_alu instid0(VALU_DEP_1) | instskip(SKIP_1) | instid1(VALU_DEP_2)
	v_ashrrev_i32_e32 v26, 31, v25
	v_and_b32_e32 v0, 7, v0
	v_lshlrev_b64_e32 v[9:10], 3, v[25:26]
	s_wait_kmcnt 0x0
	s_delay_alu instid0(VALU_DEP_1) | instskip(SKIP_1) | instid1(VALU_DEP_2)
	v_add_co_u32 v11, vcc_lo, s4, v9
	s_wait_alu 0xfffd
	v_add_co_ci_u32_e64 v12, null, s5, v10, vcc_lo
	v_add_co_u32 v9, vcc_lo, s6, v9
	s_wait_alu 0xfffd
	v_add_co_ci_u32_e64 v10, null, s7, v10, vcc_lo
	;; [unrolled: 3-line block ×3, first 2 shown]
	global_load_b64 v[48:49], v[11:12], off
	s_cmp_eq_u64 s[6:7], 0
	s_load_b64 s[4:5], s[0:1], 0x48
	s_cselect_b32 vcc_lo, -1, 0
	s_cmp_eq_u32 s3, 1
	s_wait_alu 0xfffe
	v_dual_cndmask_b32 v10, v10, v14 :: v_dual_cndmask_b32 v9, v9, v13
	global_load_b64 v[9:10], v[9:10], off
	s_wait_loadcnt 0x1
	v_sub_co_u32 v11, vcc_lo, v48, s12
	s_wait_alu 0xfffd
	v_subrev_co_ci_u32_e64 v12, null, 0, v49, vcc_lo
	s_delay_alu instid0(VALU_DEP_2) | instskip(SKIP_1) | instid1(VALU_DEP_2)
	v_add_co_u32 v26, vcc_lo, v11, v0
	s_wait_alu 0xfffd
	v_add_co_ci_u32_e64 v27, null, 0, v12, vcc_lo
	s_wait_loadcnt 0x0
	v_sub_co_u32 v28, vcc_lo, v9, s12
	s_wait_alu 0xfffd
	v_subrev_co_ci_u32_e64 v29, null, 0, v10, vcc_lo
	v_lshlrev_b64_e32 v[9:10], 8, v[26:27]
	s_delay_alu instid0(VALU_DEP_2) | instskip(NEXT) | instid1(VALU_DEP_2)
	v_cmp_lt_i64_e64 s2, v[26:27], v[28:29]
	v_add_co_u32 v30, vcc_lo, s10, v9
	s_wait_alu 0xfffd
	s_delay_alu instid0(VALU_DEP_3)
	v_add_co_ci_u32_e64 v31, null, s11, v10, vcc_lo
	s_cbranch_scc1 .LBB36_23
; %bb.12:
	v_mov_b32_e32 v34, 0
	v_mov_b32_e32 v32, 0
	;; [unrolled: 1-line block ×3, first 2 shown]
	v_dual_mov_b32 v46, 0 :: v_dual_mov_b32 v35, 0
	v_dual_mov_b32 v40, 0 :: v_dual_mov_b32 v33, 0
	;; [unrolled: 1-line block ×5, first 2 shown]
	v_mov_b32_e32 v37, 0
	v_mov_b32_e32 v43, 0
	;; [unrolled: 1-line block ×3, first 2 shown]
	s_and_saveexec_b32 s6, s2
	s_cbranch_execz .LBB36_22
; %bb.13:
	v_or_b32_e32 v9, 8, v0
	v_not_b32_e32 v13, v48
	v_not_b32_e32 v11, v49
	v_mov_b32_e32 v36, 0
	v_mov_b32_e32 v40, 0
	v_sub_co_u32 v9, s3, v9, s12
	s_wait_alu 0xf1ff
	v_sub_co_ci_u32_e64 v10, null, 0, 0, s3
	v_sub_co_u32 v14, s3, s12, v0
	s_delay_alu instid0(VALU_DEP_3) | instskip(SKIP_1) | instid1(VALU_DEP_3)
	v_add_co_u32 v9, vcc_lo, v9, v48
	s_wait_alu 0xfffd
	v_add_co_ci_u32_e64 v10, null, v10, v49, vcc_lo
	s_wait_alu 0xf1ff
	v_sub_co_ci_u32_e64 v15, null, 0, 0, s3
	v_add_co_u32 v13, s3, v14, v13
	s_delay_alu instid0(VALU_DEP_3)
	v_cmp_gt_i64_e32 vcc_lo, v[9:10], v[28:29]
	v_mov_b32_e32 v38, 0
	s_wait_alu 0xf1ff
	v_add_co_ci_u32_e64 v11, null, v15, v11, s3
	v_mov_b32_e32 v46, 0
	s_wait_alu 0xfffd
	v_dual_mov_b32 v42, 0 :: v_dual_cndmask_b32 v9, v28, v9
	v_dual_cndmask_b32 v10, v29, v10 :: v_dual_mov_b32 v47, 0
	v_dual_mov_b32 v37, 0 :: v_dual_mov_b32 v32, 0
	s_delay_alu instid0(VALU_DEP_3)
	v_add_co_u32 v9, vcc_lo, v13, v9
	v_dual_mov_b32 v44, 0 :: v_dual_mov_b32 v41, 0
	v_mov_b32_e32 v34, 0
	v_dual_mov_b32 v12, 0 :: v_dual_mov_b32 v39, 0
	v_mov_b32_e32 v43, 0
	v_mov_b32_e32 v45, 0
	s_wait_alu 0xfffd
	v_add_co_ci_u32_e64 v10, null, v11, v10, vcc_lo
	v_and_b32_e32 v11, 24, v9
	v_mov_b32_e32 v33, 0
	v_mov_b32_e32 v35, 0
	v_dual_mov_b32 v53, v31 :: v_dual_mov_b32 v52, v30
	v_dual_mov_b32 v51, v27 :: v_dual_mov_b32 v50, v26
	s_mov_b32 s7, exec_lo
	v_cmpx_ne_u64_e32 24, v[11:12]
	s_cbranch_execz .LBB36_17
; %bb.14:
	v_lshrrev_b32_e32 v13, 3, v9
	v_lshlrev_b64_e32 v[11:12], 2, v[26:27]
	v_dual_mov_b32 v51, v27 :: v_dual_mov_b32 v40, 0
	v_dual_mov_b32 v41, 0 :: v_dual_mov_b32 v32, 0
	s_delay_alu instid0(VALU_DEP_4) | instskip(SKIP_2) | instid1(VALU_DEP_3)
	v_dual_mov_b32 v34, 0 :: v_dual_add_nc_u32 v13, 1, v13
	v_dual_mov_b32 v33, 0 :: v_dual_mov_b32 v36, 0
	v_add_co_u32 v11, vcc_lo, s8, v11
	v_dual_mov_b32 v44, 0 :: v_dual_and_b32 v13, 3, v13
	v_dual_mov_b32 v37, 0 :: v_dual_mov_b32 v42, 0
	v_dual_mov_b32 v45, 0 :: v_dual_mov_b32 v46, 0
	s_delay_alu instid0(VALU_DEP_3)
	v_sub_co_u32 v13, s3, 0, v13
	v_dual_mov_b32 v43, 0 :: v_dual_mov_b32 v38, 0
	v_mov_b32_e32 v53, v31
	v_dual_mov_b32 v35, 0 :: v_dual_mov_b32 v50, v26
	s_wait_alu 0xfffd
	v_add_co_ci_u32_e64 v12, null, s9, v12, vcc_lo
	s_wait_alu 0xf1ff
	v_sub_co_ci_u32_e64 v14, null, 0, 0, s3
	v_dual_mov_b32 v47, 0 :: v_dual_mov_b32 v52, v30
	v_mov_b32_e32 v39, 0
	s_mov_b32 s10, 0
.LBB36_15:                              ; =>This Inner Loop Header: Depth=1
	global_load_b32 v23, v[11:12], off
	s_clause 0x7
	global_load_b128 v[15:18], v[52:53], off offset:16
	global_load_b128 v[19:22], v[52:53], off
	global_load_b128 v[54:57], v[52:53], off offset:80
	global_load_b128 v[58:61], v[52:53], off offset:64
	;; [unrolled: 1-line block ×6, first 2 shown]
	v_add_co_u32 v11, s3, v11, 32
	s_wait_alu 0xf1ff
	v_add_co_ci_u32_e64 v12, null, 0, v12, s3
	s_wait_loadcnt 0x8
	v_subrev_nc_u32_e32 v23, s12, v23
	s_delay_alu instid0(VALU_DEP_1) | instskip(NEXT) | instid1(VALU_DEP_1)
	v_lshlrev_b32_e32 v23, 2, v23
	v_ashrrev_i32_e32 v24, 31, v23
	s_delay_alu instid0(VALU_DEP_1) | instskip(SKIP_1) | instid1(VALU_DEP_1)
	v_lshlrev_b64_e32 v[23:24], 4, v[23:24]
	s_wait_kmcnt 0x0
	v_add_co_u32 v23, vcc_lo, s4, v23
	s_wait_alu 0xfffd
	s_delay_alu instid0(VALU_DEP_2)
	v_add_co_ci_u32_e64 v24, null, s5, v24, vcc_lo
	s_clause 0x1
	global_load_b128 v[78:81], v[23:24], off
	global_load_b128 v[82:85], v[23:24], off offset:16
	s_clause 0x7
	global_load_b128 v[86:89], v[52:53], off offset:48
	global_load_b128 v[90:93], v[52:53], off offset:32
	;; [unrolled: 1-line block ×8, first 2 shown]
	s_clause 0x1
	global_load_b128 v[118:121], v[23:24], off offset:32
	global_load_b128 v[122:125], v[23:24], off offset:48
	v_add_co_u32 v52, vcc_lo, 0x800, v52
	s_wait_alu 0xfffd
	v_add_co_ci_u32_e64 v53, null, 0, v53, vcc_lo
	v_add_co_u32 v13, vcc_lo, v13, 1
	s_wait_alu 0xfffd
	v_add_co_ci_u32_e64 v14, null, 0, v14, vcc_lo
	v_add_co_u32 v50, vcc_lo, v50, 8
	s_wait_alu 0xfffd
	v_add_co_ci_u32_e64 v51, null, 0, v51, vcc_lo
	s_delay_alu instid0(VALU_DEP_3)
	v_cmp_eq_u64_e32 vcc_lo, 0, v[13:14]
	s_wait_alu 0xfffe
	s_or_b32 s10, vcc_lo, s10
	s_wait_loadcnt 0xb
	v_fma_f64 v[23:24], v[19:20], v[78:79], v[40:41]
	v_fma_f64 v[34:35], v[21:22], v[78:79], v[34:35]
	v_fma_f64 v[40:41], v[58:59], v[78:79], v[46:47]
	v_fma_f64 v[38:39], v[60:61], v[78:79], v[38:39]
	v_fma_f64 v[44:45], v[66:67], v[78:79], v[44:45]
	v_fma_f64 v[42:43], v[68:69], v[78:79], v[42:43]
	v_fma_f64 v[32:33], v[74:75], v[78:79], v[32:33]
	v_fma_f64 v[36:37], v[76:77], v[78:79], v[36:37]
	v_fma_f64 v[21:22], -v[21:22], v[80:81], v[23:24]
	v_fma_f64 v[19:20], v[19:20], v[80:81], v[34:35]
	v_fma_f64 v[23:24], -v[60:61], v[80:81], v[40:41]
	v_fma_f64 v[34:35], v[58:59], v[80:81], v[38:39]
	v_fma_f64 v[38:39], -v[68:69], v[80:81], v[44:45]
	v_fma_f64 v[40:41], v[66:67], v[80:81], v[42:43]
	v_fma_f64 v[32:33], -v[76:77], v[80:81], v[32:33]
	v_fma_f64 v[36:37], v[74:75], v[80:81], v[36:37]
	s_wait_loadcnt 0xa
	v_fma_f64 v[21:22], v[15:16], v[82:83], v[21:22]
	v_fma_f64 v[19:20], v[17:18], v[82:83], v[19:20]
	v_fma_f64 v[23:24], v[54:55], v[82:83], v[23:24]
	v_fma_f64 v[34:35], v[56:57], v[82:83], v[34:35]
	v_fma_f64 v[38:39], v[62:63], v[82:83], v[38:39]
	v_fma_f64 v[40:41], v[64:65], v[82:83], v[40:41]
	v_fma_f64 v[32:33], v[70:71], v[82:83], v[32:33]
	v_fma_f64 v[36:37], v[72:73], v[82:83], v[36:37]
	v_fma_f64 v[17:18], -v[17:18], v[84:85], v[21:22]
	v_fma_f64 v[15:16], v[15:16], v[84:85], v[19:20]
	v_fma_f64 v[19:20], -v[56:57], v[84:85], v[23:24]
	v_fma_f64 v[21:22], v[54:55], v[84:85], v[34:35]
	v_fma_f64 v[23:24], -v[64:65], v[84:85], v[38:39]
	v_fma_f64 v[34:35], v[62:63], v[84:85], v[40:41]
	v_fma_f64 v[32:33], -v[72:73], v[84:85], v[32:33]
	v_fma_f64 v[36:37], v[70:71], v[84:85], v[36:37]
	s_wait_loadcnt 0x1
	v_fma_f64 v[17:18], v[90:91], v[118:119], v[17:18]
	v_fma_f64 v[15:16], v[92:93], v[118:119], v[15:16]
	v_fma_f64 v[19:20], v[98:99], v[118:119], v[19:20]
	v_fma_f64 v[21:22], v[100:101], v[118:119], v[21:22]
	v_fma_f64 v[23:24], v[106:107], v[118:119], v[23:24]
	v_fma_f64 v[34:35], v[108:109], v[118:119], v[34:35]
	v_fma_f64 v[32:33], v[114:115], v[118:119], v[32:33]
	v_fma_f64 v[36:37], v[116:117], v[118:119], v[36:37]
	v_fma_f64 v[17:18], -v[92:93], v[120:121], v[17:18]
	v_fma_f64 v[15:16], v[90:91], v[120:121], v[15:16]
	v_fma_f64 v[19:20], -v[100:101], v[120:121], v[19:20]
	v_fma_f64 v[21:22], v[98:99], v[120:121], v[21:22]
	v_fma_f64 v[23:24], -v[108:109], v[120:121], v[23:24]
	v_fma_f64 v[34:35], v[106:107], v[120:121], v[34:35]
	v_fma_f64 v[32:33], -v[116:117], v[120:121], v[32:33]
	v_fma_f64 v[36:37], v[114:115], v[120:121], v[36:37]
	s_wait_loadcnt 0x0
	v_fma_f64 v[17:18], v[86:87], v[122:123], v[17:18]
	v_fma_f64 v[15:16], v[88:89], v[122:123], v[15:16]
	v_fma_f64 v[19:20], v[94:95], v[122:123], v[19:20]
	v_fma_f64 v[21:22], v[96:97], v[122:123], v[21:22]
	v_fma_f64 v[23:24], v[102:103], v[122:123], v[23:24]
	v_fma_f64 v[42:43], v[104:105], v[122:123], v[34:35]
	v_fma_f64 v[32:33], v[110:111], v[122:123], v[32:33]
	v_fma_f64 v[36:37], v[112:113], v[122:123], v[36:37]
	v_fma_f64 v[40:41], -v[88:89], v[124:125], v[17:18]
	v_fma_f64 v[34:35], v[86:87], v[124:125], v[15:16]
	v_fma_f64 v[46:47], -v[96:97], v[124:125], v[19:20]
	v_fma_f64 v[38:39], v[94:95], v[124:125], v[21:22]
	v_fma_f64 v[44:45], -v[104:105], v[124:125], v[23:24]
	v_fma_f64 v[42:43], v[102:103], v[124:125], v[42:43]
	v_fma_f64 v[32:33], -v[112:113], v[124:125], v[32:33]
	v_fma_f64 v[36:37], v[110:111], v[124:125], v[36:37]
	s_wait_alu 0xfffe
	s_and_not1_b32 exec_lo, exec_lo, s10
	s_cbranch_execnz .LBB36_15
; %bb.16:
	s_or_b32 exec_lo, exec_lo, s10
.LBB36_17:
	s_wait_alu 0xfffe
	s_or_b32 exec_lo, exec_lo, s7
	s_delay_alu instid0(SALU_CYCLE_1)
	s_mov_b32 s7, exec_lo
	v_cmpx_lt_u64_e32 23, v[9:10]
	s_cbranch_execz .LBB36_21
; %bb.18:
	v_lshlrev_b64_e32 v[9:10], 2, v[50:51]
	s_mov_b32 s10, 0
	s_delay_alu instid0(VALU_DEP_1) | instskip(SKIP_1) | instid1(VALU_DEP_2)
	v_add_co_u32 v9, vcc_lo, s8, v9
	s_wait_alu 0xfffd
	v_add_co_ci_u32_e64 v10, null, s9, v10, vcc_lo
	s_delay_alu instid0(VALU_DEP_2) | instskip(SKIP_1) | instid1(VALU_DEP_2)
	v_add_co_u32 v54, vcc_lo, v9, 64
	s_wait_alu 0xfffd
	v_add_co_ci_u32_e64 v55, null, 0, v10, vcc_lo
.LBB36_19:                              ; =>This Inner Loop Header: Depth=1
	s_clause 0x1
	global_load_b32 v56, v[54:55], off offset:-64
	global_load_b32 v57, v[54:55], off offset:-32
	s_clause 0x3
	global_load_b128 v[21:24], v[52:53], off
	global_load_b128 v[17:20], v[52:53], off offset:64
	global_load_b128 v[13:16], v[52:53], off offset:128
	;; [unrolled: 1-line block ×3, first 2 shown]
	s_clause 0x1
	global_load_b32 v154, v[54:55], off
	global_load_b32 v156, v[54:55], off offset:32
	v_add_co_u32 v54, s3, 0x80, v54
	s_wait_alu 0xf1ff
	v_add_co_ci_u32_e64 v55, null, 0, v55, s3
	s_wait_loadcnt 0x7
	v_subrev_nc_u32_e32 v56, s12, v56
	s_delay_alu instid0(VALU_DEP_1)
	v_lshlrev_b32_e32 v58, 2, v56
	s_wait_loadcnt 0x6
	v_subrev_nc_u32_e32 v56, s12, v57
	s_wait_loadcnt 0x1
	v_subrev_nc_u32_e32 v154, s12, v154
	v_ashrrev_i32_e32 v59, 31, v58
	s_delay_alu instid0(VALU_DEP_3) | instskip(NEXT) | instid1(VALU_DEP_3)
	v_lshlrev_b32_e32 v56, 2, v56
	v_lshlrev_b32_e32 v154, 2, v154
	s_delay_alu instid0(VALU_DEP_3) | instskip(NEXT) | instid1(VALU_DEP_3)
	v_lshlrev_b64_e32 v[58:59], 4, v[58:59]
	v_ashrrev_i32_e32 v57, 31, v56
	s_delay_alu instid0(VALU_DEP_3) | instskip(NEXT) | instid1(VALU_DEP_2)
	v_ashrrev_i32_e32 v155, 31, v154
	v_lshlrev_b64_e32 v[56:57], 4, v[56:57]
	s_wait_kmcnt 0x0
	s_delay_alu instid0(VALU_DEP_4)
	v_add_co_u32 v118, vcc_lo, s4, v58
	s_wait_alu 0xfffd
	v_add_co_ci_u32_e64 v119, null, s5, v59, vcc_lo
	global_load_b128 v[58:61], v[118:119], off
	s_clause 0x3
	global_load_b128 v[62:65], v[52:53], off offset:16
	global_load_b128 v[66:69], v[52:53], off offset:80
	global_load_b128 v[70:73], v[52:53], off offset:144
	global_load_b128 v[74:77], v[52:53], off offset:208
	global_load_b128 v[78:81], v[118:119], off offset:16
	s_clause 0x3
	global_load_b128 v[82:85], v[52:53], off offset:32
	global_load_b128 v[86:89], v[52:53], off offset:96
	global_load_b128 v[90:93], v[52:53], off offset:160
	global_load_b128 v[94:97], v[52:53], off offset:224
	global_load_b128 v[98:101], v[118:119], off offset:32
	;; [unrolled: 6-line block ×3, first 2 shown]
	s_clause 0x3
	global_load_b128 v[122:125], v[52:53], off offset:2048
	global_load_b128 v[126:129], v[52:53], off offset:2112
	;; [unrolled: 1-line block ×4, first 2 shown]
	v_add_co_u32 v142, vcc_lo, s4, v56
	s_wait_alu 0xfffd
	v_add_co_ci_u32_e64 v143, null, s5, v57, vcc_lo
	global_load_b128 v[138:141], v[142:143], off
	s_wait_loadcnt 0x14
	v_fma_f64 v[40:41], v[21:22], v[58:59], v[40:41]
	v_fma_f64 v[34:35], v[23:24], v[58:59], v[34:35]
	v_fma_f64 v[46:47], v[17:18], v[58:59], v[46:47]
	v_fma_f64 v[38:39], v[19:20], v[58:59], v[38:39]
	v_fma_f64 v[44:45], v[13:14], v[58:59], v[44:45]
	v_fma_f64 v[42:43], v[15:16], v[58:59], v[42:43]
	v_fma_f64 v[32:33], v[9:10], v[58:59], v[32:33]
	v_fma_f64 v[36:37], v[11:12], v[58:59], v[36:37]
	v_fma_f64 v[40:41], -v[23:24], v[60:61], v[40:41]
	v_fma_f64 v[56:57], v[21:22], v[60:61], v[34:35]
	v_fma_f64 v[46:47], -v[19:20], v[60:61], v[46:47]
	v_fma_f64 v[38:39], v[17:18], v[60:61], v[38:39]
	v_fma_f64 v[44:45], -v[15:16], v[60:61], v[44:45]
	v_fma_f64 v[42:43], v[13:14], v[60:61], v[42:43]
	v_fma_f64 v[58:59], -v[11:12], v[60:61], v[32:33]
	v_fma_f64 v[36:37], v[9:10], v[60:61], v[36:37]
	s_clause 0x3
	global_load_b128 v[9:12], v[52:53], off offset:2064
	global_load_b128 v[13:16], v[52:53], off offset:2128
	global_load_b128 v[17:20], v[52:53], off offset:2192
	global_load_b128 v[21:24], v[52:53], off offset:2256
	global_load_b128 v[32:35], v[142:143], off offset:16
	s_wait_loadcnt 0x14
	v_fma_f64 v[40:41], v[62:63], v[78:79], v[40:41]
	v_fma_f64 v[56:57], v[64:65], v[78:79], v[56:57]
	v_fma_f64 v[46:47], v[66:67], v[78:79], v[46:47]
	v_fma_f64 v[38:39], v[68:69], v[78:79], v[38:39]
	v_fma_f64 v[44:45], v[70:71], v[78:79], v[44:45]
	v_fma_f64 v[42:43], v[72:73], v[78:79], v[42:43]
	v_fma_f64 v[58:59], v[74:75], v[78:79], v[58:59]
	v_fma_f64 v[36:37], v[76:77], v[78:79], v[36:37]
	v_fma_f64 v[64:65], -v[64:65], v[80:81], v[40:41]
	v_fma_f64 v[78:79], v[62:63], v[80:81], v[56:57]
	v_fma_f64 v[68:69], -v[68:69], v[80:81], v[46:47]
	v_fma_f64 v[66:67], v[66:67], v[80:81], v[38:39]
	v_fma_f64 v[72:73], -v[72:73], v[80:81], v[44:45]
	v_fma_f64 v[70:71], v[70:71], v[80:81], v[42:43]
	v_fma_f64 v[76:77], -v[76:77], v[80:81], v[58:59]
	v_fma_f64 v[74:75], v[74:75], v[80:81], v[36:37]
	s_clause 0x3
	global_load_b128 v[36:39], v[52:53], off offset:2080
	global_load_b128 v[40:43], v[52:53], off offset:2144
	global_load_b128 v[44:47], v[52:53], off offset:2208
	global_load_b128 v[56:59], v[52:53], off offset:2272
	global_load_b128 v[60:63], v[142:143], off offset:32
	;; [unrolled: 23-line block ×3, first 2 shown]
	s_wait_loadcnt 0x14
	v_fma_f64 v[100:101], v[102:103], v[118:119], v[84:85]
	v_fma_f64 v[142:143], v[104:105], v[118:119], v[98:99]
	;; [unrolled: 1-line block ×8, first 2 shown]
	s_clause 0x3
	global_load_b128 v[84:87], v[52:53], off offset:4096
	global_load_b128 v[88:91], v[52:53], off offset:4160
	;; [unrolled: 1-line block ×4, first 2 shown]
	v_fma_f64 v[104:105], -v[104:105], v[120:121], v[100:101]
	v_fma_f64 v[142:143], v[102:103], v[120:121], v[142:143]
	v_fma_f64 v[108:109], -v[108:109], v[120:121], v[144:145]
	v_fma_f64 v[106:107], v[106:107], v[120:121], v[146:147]
	;; [unrolled: 2-line block ×4, first 2 shown]
	v_lshlrev_b64_e32 v[100:101], 4, v[154:155]
	v_subrev_nc_u32_e32 v154, s12, v156
	s_delay_alu instid0(VALU_DEP_2) | instskip(SKIP_1) | instid1(VALU_DEP_3)
	v_add_co_u32 v144, vcc_lo, s4, v100
	s_wait_alu 0xfffd
	v_add_co_ci_u32_e64 v145, null, s5, v101, vcc_lo
	s_delay_alu instid0(VALU_DEP_3)
	v_lshlrev_b32_e32 v154, 2, v154
	global_load_b128 v[100:103], v[144:145], off
	v_ashrrev_i32_e32 v155, 31, v154
	s_wait_loadcnt 0x14
	v_fma_f64 v[104:105], v[122:123], v[138:139], v[104:105]
	v_fma_f64 v[118:119], v[124:125], v[138:139], v[142:143]
	v_fma_f64 v[108:109], v[126:127], v[138:139], v[108:109]
	v_fma_f64 v[106:107], v[128:129], v[138:139], v[106:107]
	v_fma_f64 v[112:113], v[130:131], v[138:139], v[112:113]
	v_fma_f64 v[110:111], v[132:133], v[138:139], v[110:111]
	v_fma_f64 v[116:117], v[134:135], v[138:139], v[116:117]
	v_fma_f64 v[114:115], v[136:137], v[138:139], v[114:115]
	v_fma_f64 v[124:125], -v[124:125], v[140:141], v[104:105]
	v_fma_f64 v[138:139], v[122:123], v[140:141], v[118:119]
	v_fma_f64 v[128:129], -v[128:129], v[140:141], v[108:109]
	v_fma_f64 v[126:127], v[126:127], v[140:141], v[106:107]
	v_fma_f64 v[132:133], -v[132:133], v[140:141], v[112:113]
	v_fma_f64 v[130:131], v[130:131], v[140:141], v[110:111]
	v_fma_f64 v[136:137], -v[136:137], v[140:141], v[116:117]
	v_fma_f64 v[134:135], v[134:135], v[140:141], v[114:115]
	s_clause 0x3
	global_load_b128 v[104:107], v[52:53], off offset:4112
	global_load_b128 v[108:111], v[52:53], off offset:4176
	global_load_b128 v[112:115], v[52:53], off offset:4240
	global_load_b128 v[116:119], v[52:53], off offset:4304
	global_load_b128 v[120:123], v[144:145], off offset:16
	s_wait_loadcnt 0x14
	v_fma_f64 v[124:125], v[9:10], v[32:33], v[124:125]
	v_fma_f64 v[138:139], v[11:12], v[32:33], v[138:139]
	v_fma_f64 v[128:129], v[13:14], v[32:33], v[128:129]
	v_fma_f64 v[126:127], v[15:16], v[32:33], v[126:127]
	v_fma_f64 v[132:133], v[17:18], v[32:33], v[132:133]
	v_fma_f64 v[130:131], v[19:20], v[32:33], v[130:131]
	v_fma_f64 v[136:137], v[21:22], v[32:33], v[136:137]
	v_fma_f64 v[32:33], v[23:24], v[32:33], v[134:135]
	v_fma_f64 v[124:125], -v[11:12], v[34:35], v[124:125]
	v_fma_f64 v[134:135], v[9:10], v[34:35], v[138:139]
	v_fma_f64 v[128:129], -v[15:16], v[34:35], v[128:129]
	v_fma_f64 v[126:127], v[13:14], v[34:35], v[126:127]
	v_fma_f64 v[132:133], -v[19:20], v[34:35], v[132:133]
	v_fma_f64 v[130:131], v[17:18], v[34:35], v[130:131]
	v_fma_f64 v[136:137], -v[23:24], v[34:35], v[136:137]
	v_fma_f64 v[138:139], v[21:22], v[34:35], v[32:33]
	s_clause 0x3
	global_load_b128 v[9:12], v[52:53], off offset:4128
	global_load_b128 v[13:16], v[52:53], off offset:4192
	global_load_b128 v[17:20], v[52:53], off offset:4256
	global_load_b128 v[21:24], v[52:53], off offset:4320
	global_load_b128 v[32:35], v[144:145], off offset:32
	;; [unrolled: 23-line block ×3, first 2 shown]
	s_wait_loadcnt 0x14
	v_fma_f64 v[140:141], v[64:65], v[80:81], v[124:125]
	v_fma_f64 v[142:143], v[66:67], v[80:81], v[134:135]
	;; [unrolled: 1-line block ×8, first 2 shown]
	s_clause 0x3
	global_load_b128 v[124:127], v[52:53], off offset:6144
	global_load_b128 v[128:131], v[52:53], off offset:6208
	;; [unrolled: 1-line block ×4, first 2 shown]
	v_fma_f64 v[140:141], -v[66:67], v[82:83], v[140:141]
	v_fma_f64 v[142:143], v[64:65], v[82:83], v[142:143]
	v_fma_f64 v[70:71], -v[70:71], v[82:83], v[144:145]
	v_fma_f64 v[68:69], v[68:69], v[82:83], v[146:147]
	;; [unrolled: 2-line block ×4, first 2 shown]
	v_lshlrev_b64_e32 v[64:65], 4, v[154:155]
	s_delay_alu instid0(VALU_DEP_1) | instskip(SKIP_1) | instid1(VALU_DEP_2)
	v_add_co_u32 v144, vcc_lo, s4, v64
	s_wait_alu 0xfffd
	v_add_co_ci_u32_e64 v145, null, s5, v65, vcc_lo
	v_add_co_u32 v50, vcc_lo, v50, 32
	s_wait_alu 0xfffd
	v_add_co_ci_u32_e64 v51, null, 0, v51, vcc_lo
	global_load_b128 v[64:67], v[144:145], off
	s_wait_loadcnt 0x14
	v_fma_f64 v[80:81], v[84:85], v[100:101], v[140:141]
	v_fma_f64 v[82:83], v[86:87], v[100:101], v[142:143]
	v_fma_f64 v[70:71], v[88:89], v[100:101], v[70:71]
	v_fma_f64 v[68:69], v[90:91], v[100:101], v[68:69]
	v_fma_f64 v[74:75], v[92:93], v[100:101], v[74:75]
	v_fma_f64 v[72:73], v[94:95], v[100:101], v[72:73]
	v_fma_f64 v[78:79], v[96:97], v[100:101], v[78:79]
	v_fma_f64 v[76:77], v[98:99], v[100:101], v[76:77]
	v_fma_f64 v[100:101], -v[86:87], v[102:103], v[80:81]
	v_fma_f64 v[140:141], v[84:85], v[102:103], v[82:83]
	v_fma_f64 v[90:91], -v[90:91], v[102:103], v[70:71]
	v_fma_f64 v[88:89], v[88:89], v[102:103], v[68:69]
	v_fma_f64 v[94:95], -v[94:95], v[102:103], v[74:75]
	v_fma_f64 v[92:93], v[92:93], v[102:103], v[72:73]
	v_fma_f64 v[98:99], -v[98:99], v[102:103], v[78:79]
	v_fma_f64 v[96:97], v[96:97], v[102:103], v[76:77]
	s_clause 0x3
	global_load_b128 v[68:71], v[52:53], off offset:6160
	global_load_b128 v[72:75], v[52:53], off offset:6224
	global_load_b128 v[76:79], v[52:53], off offset:6288
	global_load_b128 v[80:83], v[52:53], off offset:6352
	global_load_b128 v[84:87], v[144:145], off offset:16
	s_wait_loadcnt 0x14
	v_fma_f64 v[100:101], v[104:105], v[120:121], v[100:101]
	v_fma_f64 v[102:103], v[106:107], v[120:121], v[140:141]
	v_fma_f64 v[90:91], v[108:109], v[120:121], v[90:91]
	v_fma_f64 v[88:89], v[110:111], v[120:121], v[88:89]
	v_fma_f64 v[94:95], v[112:113], v[120:121], v[94:95]
	v_fma_f64 v[92:93], v[114:115], v[120:121], v[92:93]
	v_fma_f64 v[98:99], v[116:117], v[120:121], v[98:99]
	v_fma_f64 v[96:97], v[118:119], v[120:121], v[96:97]
	v_fma_f64 v[120:121], -v[106:107], v[122:123], v[100:101]
	v_fma_f64 v[140:141], v[104:105], v[122:123], v[102:103]
	v_fma_f64 v[110:111], -v[110:111], v[122:123], v[90:91]
	v_fma_f64 v[108:109], v[108:109], v[122:123], v[88:89]
	v_fma_f64 v[114:115], -v[114:115], v[122:123], v[94:95]
	v_fma_f64 v[112:113], v[112:113], v[122:123], v[92:93]
	v_fma_f64 v[118:119], -v[118:119], v[122:123], v[98:99]
	v_fma_f64 v[116:117], v[116:117], v[122:123], v[96:97]
	s_clause 0x3
	global_load_b128 v[88:91], v[52:53], off offset:6176
	global_load_b128 v[92:95], v[52:53], off offset:6240
	global_load_b128 v[96:99], v[52:53], off offset:6304
	global_load_b128 v[100:103], v[52:53], off offset:6368
	global_load_b128 v[104:107], v[144:145], off offset:32
	;; [unrolled: 23-line block ×3, first 2 shown]
	v_add_co_u32 v52, vcc_lo, 0x2000, v52
	s_wait_alu 0xfffd
	v_add_co_ci_u32_e64 v53, null, 0, v53, vcc_lo
	v_cmp_ge_i64_e32 vcc_lo, v[50:51], v[28:29]
	s_wait_alu 0xfffe
	s_or_b32 s10, vcc_lo, s10
	s_wait_loadcnt 0x14
	v_fma_f64 v[34:35], v[36:37], v[60:61], v[116:117]
	v_fma_f64 v[116:117], v[38:39], v[60:61], v[120:121]
	v_fma_f64 v[120:121], v[40:41], v[60:61], v[122:123]
	v_fma_f64 v[122:123], v[42:43], v[60:61], v[140:141]
	v_fma_f64 v[114:115], v[44:45], v[60:61], v[114:115]
	v_fma_f64 v[112:113], v[46:47], v[60:61], v[112:113]
	v_fma_f64 v[118:119], v[56:57], v[60:61], v[118:119]
	v_fma_f64 v[32:33], v[58:59], v[60:61], v[32:33]
	v_fma_f64 v[34:35], -v[38:39], v[62:63], v[34:35]
	v_fma_f64 v[36:37], v[36:37], v[62:63], v[116:117]
	v_fma_f64 v[38:39], -v[42:43], v[62:63], v[120:121]
	v_fma_f64 v[40:41], v[40:41], v[62:63], v[122:123]
	v_fma_f64 v[42:43], -v[46:47], v[62:63], v[114:115]
	v_fma_f64 v[44:45], v[44:45], v[62:63], v[112:113]
	v_fma_f64 v[46:47], -v[58:59], v[62:63], v[118:119]
	v_fma_f64 v[32:33], v[56:57], v[62:63], v[32:33]
	s_wait_loadcnt 0xf
	v_fma_f64 v[34:35], v[124:125], v[64:65], v[34:35]
	v_fma_f64 v[36:37], v[126:127], v[64:65], v[36:37]
	v_fma_f64 v[38:39], v[128:129], v[64:65], v[38:39]
	v_fma_f64 v[40:41], v[130:131], v[64:65], v[40:41]
	v_fma_f64 v[42:43], v[132:133], v[64:65], v[42:43]
	v_fma_f64 v[44:45], v[134:135], v[64:65], v[44:45]
	v_fma_f64 v[46:47], v[136:137], v[64:65], v[46:47]
	v_fma_f64 v[32:33], v[138:139], v[64:65], v[32:33]
	v_fma_f64 v[34:35], -v[126:127], v[66:67], v[34:35]
	v_fma_f64 v[36:37], v[124:125], v[66:67], v[36:37]
	v_fma_f64 v[38:39], -v[130:131], v[66:67], v[38:39]
	v_fma_f64 v[40:41], v[128:129], v[66:67], v[40:41]
	v_fma_f64 v[42:43], -v[134:135], v[66:67], v[42:43]
	v_fma_f64 v[44:45], v[132:133], v[66:67], v[44:45]
	v_fma_f64 v[46:47], -v[138:139], v[66:67], v[46:47]
	v_fma_f64 v[32:33], v[136:137], v[66:67], v[32:33]
	;; [unrolled: 17-line block ×5, first 2 shown]
	s_wait_alu 0xfffe
	s_and_not1_b32 exec_lo, exec_lo, s10
	s_cbranch_execnz .LBB36_19
; %bb.20:
	s_or_b32 exec_lo, exec_lo, s10
.LBB36_21:
	s_wait_alu 0xfffe
	s_or_b32 exec_lo, exec_lo, s7
.LBB36_22:
	s_wait_alu 0xfffe
	s_or_b32 exec_lo, exec_lo, s6
	s_cbranch_execz .LBB36_24
	s_branch .LBB36_35
.LBB36_23:
                                        ; implicit-def: $vgpr34_vgpr35
                                        ; implicit-def: $vgpr40_vgpr41
                                        ; implicit-def: $vgpr32_vgpr33
                                        ; implicit-def: $vgpr36_vgpr37
                                        ; implicit-def: $vgpr44_vgpr45
                                        ; implicit-def: $vgpr42_vgpr43
                                        ; implicit-def: $vgpr46_vgpr47
                                        ; implicit-def: $vgpr38_vgpr39
.LBB36_24:
	v_mov_b32_e32 v34, 0
	v_mov_b32_e32 v32, 0
	;; [unrolled: 1-line block ×3, first 2 shown]
	v_dual_mov_b32 v46, 0 :: v_dual_mov_b32 v35, 0
	v_dual_mov_b32 v40, 0 :: v_dual_mov_b32 v33, 0
	;; [unrolled: 1-line block ×5, first 2 shown]
	v_mov_b32_e32 v37, 0
	v_mov_b32_e32 v43, 0
	v_mov_b32_e32 v39, 0
	s_and_saveexec_b32 s3, s2
	s_cbranch_execz .LBB36_34
; %bb.25:
	v_or_b32_e32 v9, 8, v0
	v_not_b32_e32 v13, v48
	v_not_b32_e32 v11, v49
	v_mov_b32_e32 v44, 0
	v_mov_b32_e32 v32, 0
	v_sub_co_u32 v9, s2, v9, s12
	s_wait_alu 0xf1ff
	v_sub_co_ci_u32_e64 v10, null, 0, 0, s2
	v_sub_co_u32 v14, s2, s12, v0
	s_delay_alu instid0(VALU_DEP_3) | instskip(SKIP_1) | instid1(VALU_DEP_3)
	v_add_co_u32 v9, vcc_lo, v9, v48
	s_wait_alu 0xfffd
	v_add_co_ci_u32_e64 v10, null, v10, v49, vcc_lo
	s_wait_alu 0xf1ff
	v_sub_co_ci_u32_e64 v15, null, 0, 0, s2
	v_add_co_u32 v13, s2, v14, v13
	s_delay_alu instid0(VALU_DEP_3)
	v_cmp_gt_i64_e32 vcc_lo, v[9:10], v[28:29]
	v_mov_b32_e32 v12, 0
	s_wait_alu 0xf1ff
	v_add_co_ci_u32_e64 v11, null, v15, v11, s2
	v_mov_b32_e32 v38, 0
	s_wait_alu 0xfffd
	v_dual_mov_b32 v46, 0 :: v_dual_cndmask_b32 v9, v28, v9
	v_dual_cndmask_b32 v10, v29, v10 :: v_dual_mov_b32 v39, 0
	v_dual_mov_b32 v45, 0 :: v_dual_mov_b32 v36, 0
	s_delay_alu instid0(VALU_DEP_3)
	v_add_co_u32 v9, vcc_lo, v13, v9
	v_dual_mov_b32 v42, 0 :: v_dual_mov_b32 v33, 0
	v_mov_b32_e32 v40, 0
	v_dual_mov_b32 v34, 0 :: v_dual_mov_b32 v47, 0
	v_mov_b32_e32 v43, 0
	s_wait_alu 0xfffd
	v_add_co_ci_u32_e64 v10, null, v11, v10, vcc_lo
	v_and_b32_e32 v11, 24, v9
	v_mov_b32_e32 v37, 0
	v_mov_b32_e32 v41, 0
	;; [unrolled: 1-line block ×3, first 2 shown]
	s_mov_b32 s6, exec_lo
	v_cmpx_ne_u64_e32 24, v[11:12]
	s_cbranch_execz .LBB36_29
; %bb.26:
	v_lshrrev_b32_e32 v13, 3, v9
	v_mov_b32_e32 v32, 0
	v_lshlrev_b64_e32 v[11:12], 2, v[26:27]
	v_dual_mov_b32 v33, 0 :: v_dual_mov_b32 v36, 0
	s_delay_alu instid0(VALU_DEP_4) | instskip(SKIP_1) | instid1(VALU_DEP_4)
	v_dual_mov_b32 v34, 0 :: v_dual_add_nc_u32 v13, 1, v13
	v_dual_mov_b32 v37, 0 :: v_dual_mov_b32 v42, 0
	v_add_co_u32 v11, vcc_lo, s8, v11
	s_delay_alu instid0(VALU_DEP_3) | instskip(SKIP_2) | instid1(VALU_DEP_3)
	v_dual_mov_b32 v44, 0 :: v_dual_and_b32 v13, 3, v13
	v_dual_mov_b32 v35, 0 :: v_dual_mov_b32 v40, 0
	v_dual_mov_b32 v45, 0 :: v_dual_mov_b32 v46, 0
	v_sub_co_u32 v13, s2, 0, v13
	v_dual_mov_b32 v43, 0 :: v_dual_mov_b32 v38, 0
	v_mov_b32_e32 v41, 0
	s_wait_alu 0xfffd
	v_add_co_ci_u32_e64 v12, null, s9, v12, vcc_lo
	v_mov_b32_e32 v47, 0
	v_mov_b32_e32 v39, 0
	s_wait_alu 0xf1ff
	v_sub_co_ci_u32_e64 v14, null, 0, 0, s2
	s_mov_b32 s7, 0
.LBB36_27:                              ; =>This Inner Loop Header: Depth=1
	global_load_b32 v23, v[11:12], off
	s_clause 0x3
	global_load_b128 v[15:18], v[30:31], off offset:48
	global_load_b128 v[19:22], v[30:31], off offset:32
	;; [unrolled: 1-line block ×3, first 2 shown]
	global_load_b128 v[52:55], v[30:31], off
	v_add_co_u32 v11, s2, v11, 32
	s_wait_alu 0xf1ff
	v_add_co_ci_u32_e64 v12, null, 0, v12, s2
	s_wait_loadcnt 0x4
	v_subrev_nc_u32_e32 v23, s12, v23
	s_delay_alu instid0(VALU_DEP_1) | instskip(NEXT) | instid1(VALU_DEP_1)
	v_lshlrev_b32_e32 v23, 2, v23
	v_ashrrev_i32_e32 v24, 31, v23
	s_delay_alu instid0(VALU_DEP_1) | instskip(SKIP_1) | instid1(VALU_DEP_1)
	v_lshlrev_b64_e32 v[23:24], 4, v[23:24]
	s_wait_kmcnt 0x0
	v_add_co_u32 v23, vcc_lo, s4, v23
	s_wait_alu 0xfffd
	s_delay_alu instid0(VALU_DEP_2)
	v_add_co_ci_u32_e64 v24, null, s5, v24, vcc_lo
	s_clause 0x1
	global_load_b128 v[56:59], v[23:24], off
	global_load_b128 v[60:63], v[23:24], off offset:16
	s_clause 0x7
	global_load_b128 v[64:67], v[30:31], off offset:64
	global_load_b128 v[68:71], v[30:31], off offset:80
	;; [unrolled: 1-line block ×8, first 2 shown]
	s_clause 0x1
	global_load_b128 v[96:99], v[23:24], off offset:32
	global_load_b128 v[100:103], v[23:24], off offset:48
	s_clause 0x3
	global_load_b128 v[104:107], v[30:31], off offset:192
	global_load_b128 v[108:111], v[30:31], off offset:208
	;; [unrolled: 1-line block ×4, first 2 shown]
	v_add_co_u32 v30, vcc_lo, 0x800, v30
	s_wait_alu 0xfffd
	v_add_co_ci_u32_e64 v31, null, 0, v31, vcc_lo
	v_add_co_u32 v13, vcc_lo, v13, 1
	s_wait_alu 0xfffd
	v_add_co_ci_u32_e64 v14, null, 0, v14, vcc_lo
	;; [unrolled: 3-line block ×3, first 2 shown]
	s_delay_alu instid0(VALU_DEP_3)
	v_cmp_eq_u64_e32 vcc_lo, 0, v[13:14]
	s_wait_alu 0xfffe
	s_or_b32 s7, vcc_lo, s7
	s_wait_loadcnt 0xf
	v_fma_f64 v[23:24], v[52:53], v[56:57], v[40:41]
	v_fma_f64 v[34:35], v[54:55], v[56:57], v[34:35]
	;; [unrolled: 1-line block ×8, first 2 shown]
	v_fma_f64 v[23:24], -v[54:55], v[58:59], v[23:24]
	v_fma_f64 v[34:35], v[52:53], v[58:59], v[34:35]
	v_fma_f64 v[40:41], -v[50:51], v[58:59], v[40:41]
	v_fma_f64 v[38:39], v[48:49], v[58:59], v[38:39]
	;; [unrolled: 2-line block ×4, first 2 shown]
	s_wait_loadcnt 0xd
	v_fma_f64 v[23:24], v[64:65], v[60:61], v[23:24]
	v_fma_f64 v[32:33], v[66:67], v[60:61], v[34:35]
	s_wait_loadcnt 0xc
	v_fma_f64 v[34:35], v[68:69], v[60:61], v[40:41]
	v_fma_f64 v[36:37], v[70:71], v[60:61], v[38:39]
	;; [unrolled: 3-line block ×4, first 2 shown]
	v_fma_f64 v[23:24], -v[66:67], v[62:63], v[23:24]
	v_fma_f64 v[32:33], v[64:65], v[62:63], v[32:33]
	v_fma_f64 v[34:35], -v[70:71], v[62:63], v[34:35]
	v_fma_f64 v[36:37], v[68:69], v[62:63], v[36:37]
	;; [unrolled: 2-line block ×4, first 2 shown]
	s_wait_loadcnt 0x5
	v_fma_f64 v[23:24], v[92:93], v[96:97], v[23:24]
	v_fma_f64 v[32:33], v[94:95], v[96:97], v[32:33]
	;; [unrolled: 1-line block ×8, first 2 shown]
	v_fma_f64 v[23:24], -v[94:95], v[98:99], v[23:24]
	v_fma_f64 v[32:33], v[92:93], v[98:99], v[32:33]
	v_fma_f64 v[34:35], -v[90:91], v[98:99], v[34:35]
	v_fma_f64 v[36:37], v[88:89], v[98:99], v[36:37]
	;; [unrolled: 2-line block ×4, first 2 shown]
	s_wait_loadcnt 0x3
	v_fma_f64 v[23:24], v[104:105], v[100:101], v[23:24]
	v_fma_f64 v[32:33], v[106:107], v[100:101], v[32:33]
	s_wait_loadcnt 0x2
	v_fma_f64 v[38:39], v[108:109], v[100:101], v[34:35]
	v_fma_f64 v[36:37], v[110:111], v[100:101], v[36:37]
	;; [unrolled: 3-line block ×4, first 2 shown]
	v_fma_f64 v[40:41], -v[106:107], v[102:103], v[23:24]
	v_fma_f64 v[34:35], v[104:105], v[102:103], v[32:33]
	v_fma_f64 v[46:47], -v[110:111], v[102:103], v[38:39]
	v_fma_f64 v[38:39], v[108:109], v[102:103], v[36:37]
	;; [unrolled: 2-line block ×4, first 2 shown]
	s_wait_alu 0xfffe
	s_and_not1_b32 exec_lo, exec_lo, s7
	s_cbranch_execnz .LBB36_27
; %bb.28:
	s_or_b32 exec_lo, exec_lo, s7
.LBB36_29:
	s_wait_alu 0xfffe
	s_or_b32 exec_lo, exec_lo, s6
	s_delay_alu instid0(SALU_CYCLE_1)
	s_mov_b32 s6, exec_lo
	v_cmpx_lt_u64_e32 23, v[9:10]
	s_cbranch_execz .LBB36_33
; %bb.30:
	v_lshlrev_b64_e32 v[9:10], 2, v[26:27]
	s_mov_b32 s7, 0
	s_delay_alu instid0(VALU_DEP_1) | instskip(SKIP_1) | instid1(VALU_DEP_2)
	v_add_co_u32 v9, vcc_lo, s8, v9
	s_wait_alu 0xfffd
	v_add_co_ci_u32_e64 v10, null, s9, v10, vcc_lo
	s_delay_alu instid0(VALU_DEP_2) | instskip(SKIP_1) | instid1(VALU_DEP_2)
	v_add_co_u32 v9, vcc_lo, v9, 64
	s_wait_alu 0xfffd
	v_add_co_ci_u32_e64 v10, null, 0, v10, vcc_lo
.LBB36_31:                              ; =>This Inner Loop Header: Depth=1
	s_clause 0x1
	global_load_b32 v11, v[9:10], off offset:-64
	global_load_b32 v24, v[9:10], off offset:-32
	s_clause 0x3
	global_load_b128 v[12:15], v[30:31], off offset:48
	global_load_b128 v[16:19], v[30:31], off offset:32
	;; [unrolled: 1-line block ×3, first 2 shown]
	global_load_b128 v[48:51], v[30:31], off
	s_clause 0x1
	global_load_b32 v148, v[9:10], off
	global_load_b32 v150, v[9:10], off offset:32
	v_add_co_u32 v9, s2, 0x80, v9
	s_wait_alu 0xf1ff
	v_add_co_ci_u32_e64 v10, null, 0, v10, s2
	s_wait_loadcnt 0x7
	v_subrev_nc_u32_e32 v11, s12, v11
	s_delay_alu instid0(VALU_DEP_1)
	v_lshlrev_b32_e32 v52, 2, v11
	s_wait_loadcnt 0x6
	v_subrev_nc_u32_e32 v11, s12, v24
	s_wait_loadcnt 0x1
	v_subrev_nc_u32_e32 v148, s12, v148
	v_ashrrev_i32_e32 v53, 31, v52
	s_delay_alu instid0(VALU_DEP_3) | instskip(NEXT) | instid1(VALU_DEP_3)
	v_lshlrev_b32_e32 v132, 2, v11
	v_lshlrev_b32_e32 v148, 2, v148
	s_delay_alu instid0(VALU_DEP_3) | instskip(NEXT) | instid1(VALU_DEP_3)
	v_lshlrev_b64_e32 v[52:53], 4, v[52:53]
	v_ashrrev_i32_e32 v133, 31, v132
	s_delay_alu instid0(VALU_DEP_3) | instskip(NEXT) | instid1(VALU_DEP_2)
	v_ashrrev_i32_e32 v149, 31, v148
	v_lshlrev_b64_e32 v[132:133], 4, v[132:133]
	s_wait_kmcnt 0x0
	s_delay_alu instid0(VALU_DEP_4)
	v_add_co_u32 v112, vcc_lo, s4, v52
	s_wait_alu 0xfffd
	v_add_co_ci_u32_e64 v113, null, s5, v53, vcc_lo
	global_load_b128 v[52:55], v[112:113], off
	s_clause 0x3
	global_load_b128 v[56:59], v[30:31], off offset:112
	global_load_b128 v[60:63], v[30:31], off offset:96
	global_load_b128 v[64:67], v[30:31], off offset:80
	global_load_b128 v[68:71], v[30:31], off offset:64
	global_load_b128 v[72:75], v[112:113], off offset:16
	s_clause 0x3
	global_load_b128 v[76:79], v[30:31], off offset:176
	global_load_b128 v[80:83], v[30:31], off offset:160
	global_load_b128 v[84:87], v[30:31], off offset:144
	global_load_b128 v[88:91], v[30:31], off offset:128
	global_load_b128 v[92:95], v[112:113], off offset:32
	;; [unrolled: 6-line block ×3, first 2 shown]
	s_clause 0x3
	global_load_b128 v[116:119], v[30:31], off offset:2096
	global_load_b128 v[120:123], v[30:31], off offset:2080
	;; [unrolled: 1-line block ×4, first 2 shown]
	v_add_co_u32 v136, vcc_lo, s4, v132
	s_wait_alu 0xfffd
	v_add_co_ci_u32_e64 v137, null, s5, v133, vcc_lo
	global_load_b128 v[132:135], v[136:137], off
	s_wait_loadcnt 0x14
	v_fma_f64 v[40:41], v[48:49], v[52:53], v[40:41]
	v_fma_f64 v[34:35], v[50:51], v[52:53], v[34:35]
	v_fma_f64 v[46:47], v[20:21], v[52:53], v[46:47]
	v_fma_f64 v[38:39], v[22:23], v[52:53], v[38:39]
	v_fma_f64 v[44:45], v[16:17], v[52:53], v[44:45]
	v_fma_f64 v[42:43], v[18:19], v[52:53], v[42:43]
	v_fma_f64 v[32:33], v[12:13], v[52:53], v[32:33]
	v_fma_f64 v[36:37], v[14:15], v[52:53], v[36:37]
	v_fma_f64 v[40:41], -v[50:51], v[54:55], v[40:41]
	v_fma_f64 v[48:49], v[48:49], v[54:55], v[34:35]
	v_fma_f64 v[23:24], -v[22:23], v[54:55], v[46:47]
	v_fma_f64 v[46:47], v[20:21], v[54:55], v[38:39]
	v_fma_f64 v[44:45], -v[18:19], v[54:55], v[44:45]
	v_fma_f64 v[42:43], v[16:17], v[54:55], v[42:43]
	v_fma_f64 v[50:51], -v[14:15], v[54:55], v[32:33]
	v_fma_f64 v[52:53], v[12:13], v[54:55], v[36:37]
	s_clause 0x3
	global_load_b128 v[11:14], v[30:31], off offset:2160
	global_load_b128 v[15:18], v[30:31], off offset:2144
	global_load_b128 v[19:22], v[30:31], off offset:2128
	global_load_b128 v[32:35], v[30:31], off offset:2112
	global_load_b128 v[36:39], v[136:137], off offset:16
	s_wait_loadcnt 0x14
	v_fma_f64 v[40:41], v[68:69], v[72:73], v[40:41]
	v_fma_f64 v[48:49], v[70:71], v[72:73], v[48:49]
	v_fma_f64 v[23:24], v[64:65], v[72:73], v[23:24]
	v_fma_f64 v[46:47], v[66:67], v[72:73], v[46:47]
	v_fma_f64 v[44:45], v[60:61], v[72:73], v[44:45]
	v_fma_f64 v[42:43], v[62:63], v[72:73], v[42:43]
	v_fma_f64 v[50:51], v[56:57], v[72:73], v[50:51]
	v_fma_f64 v[52:53], v[58:59], v[72:73], v[52:53]
	v_fma_f64 v[70:71], -v[70:71], v[74:75], v[40:41]
	v_fma_f64 v[68:69], v[68:69], v[74:75], v[48:49]
	v_fma_f64 v[23:24], -v[66:67], v[74:75], v[23:24]
	v_fma_f64 v[64:65], v[64:65], v[74:75], v[46:47]
	v_fma_f64 v[62:63], -v[62:63], v[74:75], v[44:45]
	v_fma_f64 v[60:61], v[60:61], v[74:75], v[42:43]
	v_fma_f64 v[66:67], -v[58:59], v[74:75], v[50:51]
	v_fma_f64 v[72:73], v[56:57], v[74:75], v[52:53]
	s_clause 0x3
	global_load_b128 v[40:43], v[30:31], off offset:2224
	global_load_b128 v[44:47], v[30:31], off offset:2208
	global_load_b128 v[48:51], v[30:31], off offset:2192
	global_load_b128 v[52:55], v[30:31], off offset:2176
	global_load_b128 v[56:59], v[136:137], off offset:32
	;; [unrolled: 23-line block ×3, first 2 shown]
	s_wait_loadcnt 0x14
	v_fma_f64 v[136:137], v[108:109], v[112:113], v[90:91]
	v_fma_f64 v[138:139], v[110:111], v[112:113], v[88:89]
	;; [unrolled: 1-line block ×8, first 2 shown]
	s_clause 0x3
	global_load_b128 v[80:83], v[30:31], off offset:4144
	global_load_b128 v[84:87], v[30:31], off offset:4128
	;; [unrolled: 1-line block ×4, first 2 shown]
	v_fma_f64 v[110:111], -v[110:111], v[114:115], v[136:137]
	v_fma_f64 v[108:109], v[108:109], v[114:115], v[138:139]
	v_fma_f64 v[23:24], -v[106:107], v[114:115], v[23:24]
	v_fma_f64 v[104:105], v[104:105], v[114:115], v[140:141]
	;; [unrolled: 2-line block ×4, first 2 shown]
	v_lshlrev_b64_e32 v[96:97], 4, v[148:149]
	v_subrev_nc_u32_e32 v148, s12, v150
	s_delay_alu instid0(VALU_DEP_2) | instskip(SKIP_1) | instid1(VALU_DEP_3)
	v_add_co_u32 v136, vcc_lo, s4, v96
	s_wait_alu 0xfffd
	v_add_co_ci_u32_e64 v137, null, s5, v97, vcc_lo
	s_delay_alu instid0(VALU_DEP_3)
	v_lshlrev_b32_e32 v148, 2, v148
	global_load_b128 v[96:99], v[136:137], off
	v_ashrrev_i32_e32 v149, 31, v148
	s_wait_loadcnt 0x14
	v_fma_f64 v[110:111], v[128:129], v[132:133], v[110:111]
	v_fma_f64 v[108:109], v[130:131], v[132:133], v[108:109]
	v_fma_f64 v[23:24], v[124:125], v[132:133], v[23:24]
	v_fma_f64 v[104:105], v[126:127], v[132:133], v[104:105]
	v_fma_f64 v[102:103], v[120:121], v[132:133], v[102:103]
	v_fma_f64 v[100:101], v[122:123], v[132:133], v[100:101]
	v_fma_f64 v[106:107], v[116:117], v[132:133], v[106:107]
	v_fma_f64 v[112:113], v[118:119], v[132:133], v[112:113]
	v_fma_f64 v[130:131], -v[130:131], v[134:135], v[110:111]
	v_fma_f64 v[128:129], v[128:129], v[134:135], v[108:109]
	v_fma_f64 v[23:24], -v[126:127], v[134:135], v[23:24]
	v_fma_f64 v[124:125], v[124:125], v[134:135], v[104:105]
	v_fma_f64 v[122:123], -v[122:123], v[134:135], v[102:103]
	v_fma_f64 v[120:121], v[120:121], v[134:135], v[100:101]
	v_fma_f64 v[126:127], -v[118:119], v[134:135], v[106:107]
	v_fma_f64 v[132:133], v[116:117], v[134:135], v[112:113]
	s_clause 0x3
	global_load_b128 v[100:103], v[30:31], off offset:4208
	global_load_b128 v[104:107], v[30:31], off offset:4192
	global_load_b128 v[108:111], v[30:31], off offset:4176
	global_load_b128 v[112:115], v[30:31], off offset:4160
	global_load_b128 v[116:119], v[136:137], off offset:16
	s_wait_loadcnt 0x14
	v_fma_f64 v[130:131], v[32:33], v[36:37], v[130:131]
	v_fma_f64 v[128:129], v[34:35], v[36:37], v[128:129]
	v_fma_f64 v[23:24], v[19:20], v[36:37], v[23:24]
	v_fma_f64 v[124:125], v[21:22], v[36:37], v[124:125]
	v_fma_f64 v[122:123], v[15:16], v[36:37], v[122:123]
	v_fma_f64 v[120:121], v[17:18], v[36:37], v[120:121]
	v_fma_f64 v[126:127], v[11:12], v[36:37], v[126:127]
	v_fma_f64 v[36:37], v[13:14], v[36:37], v[132:133]
	v_fma_f64 v[130:131], -v[34:35], v[38:39], v[130:131]
	v_fma_f64 v[128:129], v[32:33], v[38:39], v[128:129]
	v_fma_f64 v[23:24], -v[21:22], v[38:39], v[23:24]
	v_fma_f64 v[124:125], v[19:20], v[38:39], v[124:125]
	v_fma_f64 v[122:123], -v[17:18], v[38:39], v[122:123]
	v_fma_f64 v[120:121], v[15:16], v[38:39], v[120:121]
	v_fma_f64 v[126:127], -v[13:14], v[38:39], v[126:127]
	v_fma_f64 v[132:133], v[11:12], v[38:39], v[36:37]
	s_clause 0x3
	global_load_b128 v[11:14], v[30:31], off offset:4272
	global_load_b128 v[15:18], v[30:31], off offset:4256
	global_load_b128 v[19:22], v[30:31], off offset:4240
	global_load_b128 v[32:35], v[30:31], off offset:4224
	global_load_b128 v[36:39], v[136:137], off offset:32
	;; [unrolled: 23-line block ×3, first 2 shown]
	s_wait_loadcnt 0x14
	v_fma_f64 v[136:137], v[72:73], v[76:77], v[130:131]
	v_fma_f64 v[138:139], v[74:75], v[76:77], v[128:129]
	;; [unrolled: 1-line block ×8, first 2 shown]
	s_clause 0x3
	global_load_b128 v[120:123], v[30:31], off offset:6192
	global_load_b128 v[124:127], v[30:31], off offset:6176
	;; [unrolled: 1-line block ×4, first 2 shown]
	v_fma_f64 v[74:75], -v[74:75], v[78:79], v[136:137]
	v_fma_f64 v[72:73], v[72:73], v[78:79], v[138:139]
	v_fma_f64 v[23:24], -v[70:71], v[78:79], v[23:24]
	v_fma_f64 v[68:69], v[68:69], v[78:79], v[140:141]
	;; [unrolled: 2-line block ×4, first 2 shown]
	v_lshlrev_b64_e32 v[60:61], 4, v[148:149]
	s_delay_alu instid0(VALU_DEP_1) | instskip(SKIP_1) | instid1(VALU_DEP_2)
	v_add_co_u32 v140, vcc_lo, s4, v60
	s_wait_alu 0xfffd
	v_add_co_ci_u32_e64 v141, null, s5, v61, vcc_lo
	s_clause 0x1
	global_load_b128 v[60:63], v[140:141], off
	global_load_b128 v[64:67], v[140:141], off offset:16
	v_add_co_u32 v26, vcc_lo, v26, 32
	s_wait_alu 0xfffd
	v_add_co_ci_u32_e64 v27, null, 0, v27, vcc_lo
	s_wait_loadcnt 0x15
	v_fma_f64 v[74:75], v[92:93], v[96:97], v[74:75]
	v_fma_f64 v[72:73], v[94:95], v[96:97], v[72:73]
	;; [unrolled: 1-line block ×8, first 2 shown]
	v_fma_f64 v[94:95], -v[94:95], v[98:99], v[74:75]
	v_fma_f64 v[92:93], v[92:93], v[98:99], v[72:73]
	v_fma_f64 v[23:24], -v[90:91], v[98:99], v[23:24]
	v_fma_f64 v[88:89], v[88:89], v[98:99], v[68:69]
	;; [unrolled: 2-line block ×4, first 2 shown]
	s_clause 0x3
	global_load_b128 v[68:71], v[30:31], off offset:6208
	global_load_b128 v[72:75], v[30:31], off offset:6224
	;; [unrolled: 1-line block ×4, first 2 shown]
	s_wait_loadcnt 0x14
	v_fma_f64 v[94:95], v[112:113], v[116:117], v[94:95]
	v_fma_f64 v[92:93], v[114:115], v[116:117], v[92:93]
	;; [unrolled: 1-line block ×8, first 2 shown]
	v_fma_f64 v[114:115], -v[114:115], v[118:119], v[94:95]
	v_fma_f64 v[112:113], v[112:113], v[118:119], v[92:93]
	v_fma_f64 v[23:24], -v[110:111], v[118:119], v[23:24]
	v_fma_f64 v[108:109], v[108:109], v[118:119], v[88:89]
	v_fma_f64 v[110:111], -v[106:107], v[118:119], v[86:87]
	v_fma_f64 v[116:117], v[104:105], v[118:119], v[84:85]
	v_fma_f64 v[136:137], -v[102:103], v[118:119], v[90:91]
	v_fma_f64 v[118:119], v[100:101], v[118:119], v[96:97]
	s_clause 0x3
	global_load_b128 v[84:87], v[30:31], off offset:6320
	global_load_b128 v[88:91], v[30:31], off offset:6304
	;; [unrolled: 1-line block ×4, first 2 shown]
	s_clause 0x1
	global_load_b128 v[100:103], v[140:141], off offset:32
	global_load_b128 v[104:107], v[140:141], off offset:48
	s_wait_loadcnt 0x15
	v_fma_f64 v[114:115], v[32:33], v[36:37], v[114:115]
	v_fma_f64 v[112:113], v[34:35], v[36:37], v[112:113]
	;; [unrolled: 1-line block ×8, first 2 shown]
	v_fma_f64 v[34:35], -v[34:35], v[38:39], v[114:115]
	v_fma_f64 v[32:33], v[32:33], v[38:39], v[112:113]
	v_fma_f64 v[23:24], -v[21:22], v[38:39], v[23:24]
	v_fma_f64 v[112:113], v[19:20], v[38:39], v[108:109]
	;; [unrolled: 2-line block ×4, first 2 shown]
	s_clause 0x3
	global_load_b128 v[11:14], v[30:31], off offset:6336
	global_load_b128 v[15:18], v[30:31], off offset:6352
	;; [unrolled: 1-line block ×4, first 2 shown]
	v_add_co_u32 v30, vcc_lo, 0x2000, v30
	s_wait_alu 0xfffd
	v_add_co_ci_u32_e64 v31, null, 0, v31, vcc_lo
	v_cmp_ge_i64_e32 vcc_lo, v[26:27], v[28:29]
	s_wait_alu 0xfffe
	s_or_b32 s7, vcc_lo, s7
	s_wait_loadcnt 0x14
	v_fma_f64 v[34:35], v[52:53], v[56:57], v[34:35]
	v_fma_f64 v[32:33], v[54:55], v[56:57], v[32:33]
	;; [unrolled: 1-line block ×8, first 2 shown]
	v_fma_f64 v[34:35], -v[54:55], v[58:59], v[34:35]
	v_fma_f64 v[32:33], v[52:53], v[58:59], v[32:33]
	v_fma_f64 v[23:24], -v[50:51], v[58:59], v[23:24]
	v_fma_f64 v[38:39], v[48:49], v[58:59], v[38:39]
	;; [unrolled: 2-line block ×4, first 2 shown]
	s_wait_loadcnt 0xf
	v_fma_f64 v[34:35], v[132:133], v[60:61], v[34:35]
	v_fma_f64 v[32:33], v[134:135], v[60:61], v[32:33]
	;; [unrolled: 1-line block ×8, first 2 shown]
	v_fma_f64 v[34:35], -v[134:135], v[62:63], v[34:35]
	v_fma_f64 v[32:33], v[132:133], v[62:63], v[32:33]
	v_fma_f64 v[23:24], -v[130:131], v[62:63], v[23:24]
	v_fma_f64 v[38:39], v[128:129], v[62:63], v[38:39]
	;; [unrolled: 2-line block ×4, first 2 shown]
	s_wait_loadcnt 0xd
	v_fma_f64 v[34:35], v[68:69], v[64:65], v[34:35]
	v_fma_f64 v[32:33], v[70:71], v[64:65], v[32:33]
	s_wait_loadcnt 0xc
	v_fma_f64 v[23:24], v[72:73], v[64:65], v[23:24]
	v_fma_f64 v[38:39], v[74:75], v[64:65], v[38:39]
	;; [unrolled: 3-line block ×4, first 2 shown]
	v_fma_f64 v[34:35], -v[70:71], v[66:67], v[34:35]
	v_fma_f64 v[32:33], v[68:69], v[66:67], v[32:33]
	v_fma_f64 v[23:24], -v[74:75], v[66:67], v[23:24]
	v_fma_f64 v[38:39], v[72:73], v[66:67], v[38:39]
	;; [unrolled: 2-line block ×4, first 2 shown]
	s_wait_loadcnt 0x5
	v_fma_f64 v[34:35], v[96:97], v[100:101], v[34:35]
	v_fma_f64 v[32:33], v[98:99], v[100:101], v[32:33]
	;; [unrolled: 1-line block ×8, first 2 shown]
	v_fma_f64 v[34:35], -v[98:99], v[102:103], v[34:35]
	v_fma_f64 v[32:33], v[96:97], v[102:103], v[32:33]
	v_fma_f64 v[23:24], -v[94:95], v[102:103], v[23:24]
	v_fma_f64 v[38:39], v[92:93], v[102:103], v[38:39]
	;; [unrolled: 2-line block ×4, first 2 shown]
	s_wait_loadcnt 0x3
	v_fma_f64 v[34:35], v[11:12], v[104:105], v[34:35]
	v_fma_f64 v[32:33], v[13:14], v[104:105], v[32:33]
	s_wait_loadcnt 0x2
	v_fma_f64 v[23:24], v[15:16], v[104:105], v[23:24]
	v_fma_f64 v[38:39], v[17:18], v[104:105], v[38:39]
	;; [unrolled: 3-line block ×4, first 2 shown]
	v_fma_f64 v[40:41], -v[13:14], v[106:107], v[34:35]
	v_fma_f64 v[34:35], v[11:12], v[106:107], v[32:33]
	v_fma_f64 v[46:47], -v[17:18], v[106:107], v[23:24]
	v_fma_f64 v[38:39], v[15:16], v[106:107], v[38:39]
	v_fma_f64 v[44:45], -v[21:22], v[106:107], v[48:49]
	v_fma_f64 v[42:43], v[19:20], v[106:107], v[50:51]
	v_fma_f64 v[32:33], -v[110:111], v[106:107], v[52:53]
	v_fma_f64 v[36:37], v[108:109], v[106:107], v[36:37]
	s_wait_alu 0xfffe
	s_and_not1_b32 exec_lo, exec_lo, s7
	s_cbranch_execnz .LBB36_31
; %bb.32:
	s_or_b32 exec_lo, exec_lo, s7
.LBB36_33:
	s_wait_alu 0xfffe
	s_or_b32 exec_lo, exec_lo, s6
.LBB36_34:
	s_wait_alu 0xfffe
	s_or_b32 exec_lo, exec_lo, s3
.LBB36_35:
	v_mbcnt_lo_u32_b32 v48, -1, 0
	s_delay_alu instid0(VALU_DEP_1) | instskip(NEXT) | instid1(VALU_DEP_1)
	v_xor_b32_e32 v9, 4, v48
	v_cmp_gt_i32_e32 vcc_lo, 32, v9
	s_wait_alu 0xfffd
	v_cndmask_b32_e32 v9, v48, v9, vcc_lo
	s_delay_alu instid0(VALU_DEP_1)
	v_lshlrev_b32_e32 v24, 2, v9
	ds_bpermute_b32 v9, v24, v40
	ds_bpermute_b32 v10, v24, v41
	;; [unrolled: 1-line block ×16, first 2 shown]
	s_wait_dscnt 0xe
	v_add_f64_e32 v[9:10], v[40:41], v[9:10]
	s_wait_dscnt 0xc
	v_add_f64_e32 v[11:12], v[34:35], v[11:12]
	;; [unrolled: 2-line block ×8, first 2 shown]
	v_xor_b32_e32 v23, 2, v48
	s_delay_alu instid0(VALU_DEP_1) | instskip(SKIP_2) | instid1(VALU_DEP_1)
	v_cmp_gt_i32_e32 vcc_lo, 32, v23
	s_wait_alu 0xfffd
	v_cndmask_b32_e32 v23, v48, v23, vcc_lo
	v_lshlrev_b32_e32 v41, 2, v23
	ds_bpermute_b32 v23, v41, v9
	ds_bpermute_b32 v24, v41, v10
	;; [unrolled: 1-line block ×16, first 2 shown]
	s_wait_dscnt 0xe
	v_add_f64_e32 v[9:10], v[9:10], v[23:24]
	s_wait_dscnt 0xc
	v_add_f64_e32 v[28:29], v[11:12], v[28:29]
	;; [unrolled: 2-line block ×7, first 2 shown]
	v_xor_b32_e32 v21, 1, v48
	s_wait_dscnt 0x0
	v_add_f64_e32 v[17:18], v[26:27], v[40:41]
	s_delay_alu instid0(VALU_DEP_2) | instskip(SKIP_3) | instid1(VALU_DEP_2)
	v_cmp_gt_i32_e32 vcc_lo, 32, v21
	s_wait_alu 0xfffd
	v_cndmask_b32_e32 v21, v48, v21, vcc_lo
	v_cmp_eq_u32_e32 vcc_lo, 7, v0
	v_lshlrev_b32_e32 v35, 2, v21
	ds_bpermute_b32 v21, v35, v9
	ds_bpermute_b32 v22, v35, v10
	;; [unrolled: 1-line block ×16, first 2 shown]
	s_and_b32 exec_lo, exec_lo, vcc_lo
	s_cbranch_execz .LBB36_8
; %bb.36:
	s_wait_dscnt 0xc
	v_add_f64_e32 v[28:29], v[28:29], v[40:41]
	s_wait_dscnt 0x8
	v_add_f64_e32 v[23:24], v[23:24], v[38:39]
	;; [unrolled: 2-line block ×4, first 2 shown]
	v_add_f64_e32 v[9:10], v[9:10], v[21:22]
	v_add_f64_e32 v[11:12], v[11:12], v[26:27]
	;; [unrolled: 1-line block ×4, first 2 shown]
	v_cmp_eq_f64_e32 vcc_lo, 0, v[1:2]
	v_cmp_eq_f64_e64 s2, 0, v[3:4]
	s_load_b64 s[0:1], s[0:1], 0x60
	v_mul_f64_e64 v[13:14], v[28:29], -v[7:8]
	v_mul_f64_e32 v[15:16], v[5:6], v[28:29]
	v_mul_f64_e64 v[28:29], v[23:24], -v[7:8]
	v_mul_f64_e32 v[23:24], v[5:6], v[23:24]
	;; [unrolled: 2-line block ×4, first 2 shown]
	s_and_b32 s2, vcc_lo, s2
	v_fma_f64 v[17:18], v[5:6], v[9:10], v[13:14]
	v_fma_f64 v[19:20], v[7:8], v[9:10], v[15:16]
	;; [unrolled: 1-line block ×8, first 2 shown]
	v_lshlrev_b32_e32 v21, 2, v25
	s_wait_alu 0xfffe
	s_and_saveexec_b32 s3, s2
	s_wait_alu 0xfffe
	s_xor_b32 s2, exec_lo, s3
	s_cbranch_execz .LBB36_38
; %bb.37:
	v_ashrrev_i32_e32 v22, 31, v21
	s_delay_alu instid0(VALU_DEP_1) | instskip(SKIP_1) | instid1(VALU_DEP_1)
	v_lshlrev_b64_e32 v[0:1], 4, v[21:22]
                                        ; implicit-def: $vgpr21
	s_wait_kmcnt 0x0
	v_add_co_u32 v0, vcc_lo, s0, v0
	s_wait_alu 0xfffd
	s_delay_alu instid0(VALU_DEP_2)
	v_add_co_ci_u32_e64 v1, null, s1, v1, vcc_lo
	s_clause 0x3
	global_store_b128 v[0:1], v[17:20], off
	global_store_b128 v[0:1], v[13:16], off offset:16
	global_store_b128 v[0:1], v[9:12], off offset:32
	;; [unrolled: 1-line block ×3, first 2 shown]
                                        ; implicit-def: $vgpr3_vgpr4
                                        ; implicit-def: $vgpr17_vgpr18
                                        ; implicit-def: $vgpr13_vgpr14
                                        ; implicit-def: $vgpr9_vgpr10
                                        ; implicit-def: $vgpr5_vgpr6
.LBB36_38:
	s_wait_alu 0xfffe
	s_and_not1_saveexec_b32 s2, s2
	s_cbranch_execz .LBB36_8
; %bb.39:
	v_ashrrev_i32_e32 v22, 31, v21
	s_delay_alu instid0(VALU_DEP_1) | instskip(SKIP_1) | instid1(VALU_DEP_1)
	v_lshlrev_b64_e32 v[21:22], 4, v[21:22]
	s_wait_kmcnt 0x0
	v_add_co_u32 v37, vcc_lo, s0, v21
	s_wait_alu 0xfffd
	s_delay_alu instid0(VALU_DEP_2)
	v_add_co_ci_u32_e64 v38, null, s1, v22, vcc_lo
	s_clause 0x3
	global_load_b128 v[21:24], v[37:38], off
	global_load_b128 v[25:28], v[37:38], off offset:16
	global_load_b128 v[29:32], v[37:38], off offset:32
	;; [unrolled: 1-line block ×3, first 2 shown]
	s_wait_loadcnt 0x3
	v_fma_f64 v[17:18], v[1:2], v[21:22], v[17:18]
	v_fma_f64 v[19:20], v[3:4], v[21:22], v[19:20]
	s_wait_loadcnt 0x2
	v_fma_f64 v[13:14], v[1:2], v[25:26], v[13:14]
	v_fma_f64 v[15:16], v[3:4], v[25:26], v[15:16]
	;; [unrolled: 3-line block ×4, first 2 shown]
	v_fma_f64 v[5:6], -v[3:4], v[23:24], v[17:18]
	v_fma_f64 v[7:8], v[1:2], v[23:24], v[19:20]
	v_fma_f64 v[9:10], -v[3:4], v[27:28], v[13:14]
	v_fma_f64 v[11:12], v[1:2], v[27:28], v[15:16]
	;; [unrolled: 2-line block ×4, first 2 shown]
	s_clause 0x3
	global_store_b128 v[37:38], v[5:8], off
	global_store_b128 v[37:38], v[9:12], off offset:16
	global_store_b128 v[37:38], v[13:16], off offset:32
	;; [unrolled: 1-line block ×3, first 2 shown]
	s_nop 0
	s_sendmsg sendmsg(MSG_DEALLOC_VGPRS)
	s_endpgm
	.section	.rodata,"a",@progbits
	.p2align	6, 0x0
	.amdhsa_kernel _ZN9rocsparseL18bsrxmvn_4x4_kernelILj128ELj8E21rocsparse_complex_numIdEliS2_S2_S2_EEvT3_20rocsparse_direction_NS_24const_host_device_scalarIT1_EES3_PKS3_PKT2_SC_S9_PKT4_PKT5_S7_PT6_21rocsparse_index_base_b
		.amdhsa_group_segment_fixed_size 0
		.amdhsa_private_segment_fixed_size 0
		.amdhsa_kernarg_size 112
		.amdhsa_user_sgpr_count 2
		.amdhsa_user_sgpr_dispatch_ptr 0
		.amdhsa_user_sgpr_queue_ptr 0
		.amdhsa_user_sgpr_kernarg_segment_ptr 1
		.amdhsa_user_sgpr_dispatch_id 0
		.amdhsa_user_sgpr_private_segment_size 0
		.amdhsa_wavefront_size32 1
		.amdhsa_uses_dynamic_stack 0
		.amdhsa_enable_private_segment 0
		.amdhsa_system_sgpr_workgroup_id_x 1
		.amdhsa_system_sgpr_workgroup_id_y 0
		.amdhsa_system_sgpr_workgroup_id_z 0
		.amdhsa_system_sgpr_workgroup_info 0
		.amdhsa_system_vgpr_workitem_id 0
		.amdhsa_next_free_vgpr 157
		.amdhsa_next_free_sgpr 14
		.amdhsa_reserve_vcc 1
		.amdhsa_float_round_mode_32 0
		.amdhsa_float_round_mode_16_64 0
		.amdhsa_float_denorm_mode_32 3
		.amdhsa_float_denorm_mode_16_64 3
		.amdhsa_fp16_overflow 0
		.amdhsa_workgroup_processor_mode 1
		.amdhsa_memory_ordered 1
		.amdhsa_forward_progress 1
		.amdhsa_inst_pref_size 94
		.amdhsa_round_robin_scheduling 0
		.amdhsa_exception_fp_ieee_invalid_op 0
		.amdhsa_exception_fp_denorm_src 0
		.amdhsa_exception_fp_ieee_div_zero 0
		.amdhsa_exception_fp_ieee_overflow 0
		.amdhsa_exception_fp_ieee_underflow 0
		.amdhsa_exception_fp_ieee_inexact 0
		.amdhsa_exception_int_div_zero 0
	.end_amdhsa_kernel
	.section	.text._ZN9rocsparseL18bsrxmvn_4x4_kernelILj128ELj8E21rocsparse_complex_numIdEliS2_S2_S2_EEvT3_20rocsparse_direction_NS_24const_host_device_scalarIT1_EES3_PKS3_PKT2_SC_S9_PKT4_PKT5_S7_PT6_21rocsparse_index_base_b,"axG",@progbits,_ZN9rocsparseL18bsrxmvn_4x4_kernelILj128ELj8E21rocsparse_complex_numIdEliS2_S2_S2_EEvT3_20rocsparse_direction_NS_24const_host_device_scalarIT1_EES3_PKS3_PKT2_SC_S9_PKT4_PKT5_S7_PT6_21rocsparse_index_base_b,comdat
.Lfunc_end36:
	.size	_ZN9rocsparseL18bsrxmvn_4x4_kernelILj128ELj8E21rocsparse_complex_numIdEliS2_S2_S2_EEvT3_20rocsparse_direction_NS_24const_host_device_scalarIT1_EES3_PKS3_PKT2_SC_S9_PKT4_PKT5_S7_PT6_21rocsparse_index_base_b, .Lfunc_end36-_ZN9rocsparseL18bsrxmvn_4x4_kernelILj128ELj8E21rocsparse_complex_numIdEliS2_S2_S2_EEvT3_20rocsparse_direction_NS_24const_host_device_scalarIT1_EES3_PKS3_PKT2_SC_S9_PKT4_PKT5_S7_PT6_21rocsparse_index_base_b
                                        ; -- End function
	.set _ZN9rocsparseL18bsrxmvn_4x4_kernelILj128ELj8E21rocsparse_complex_numIdEliS2_S2_S2_EEvT3_20rocsparse_direction_NS_24const_host_device_scalarIT1_EES3_PKS3_PKT2_SC_S9_PKT4_PKT5_S7_PT6_21rocsparse_index_base_b.num_vgpr, 157
	.set _ZN9rocsparseL18bsrxmvn_4x4_kernelILj128ELj8E21rocsparse_complex_numIdEliS2_S2_S2_EEvT3_20rocsparse_direction_NS_24const_host_device_scalarIT1_EES3_PKS3_PKT2_SC_S9_PKT4_PKT5_S7_PT6_21rocsparse_index_base_b.num_agpr, 0
	.set _ZN9rocsparseL18bsrxmvn_4x4_kernelILj128ELj8E21rocsparse_complex_numIdEliS2_S2_S2_EEvT3_20rocsparse_direction_NS_24const_host_device_scalarIT1_EES3_PKS3_PKT2_SC_S9_PKT4_PKT5_S7_PT6_21rocsparse_index_base_b.numbered_sgpr, 14
	.set _ZN9rocsparseL18bsrxmvn_4x4_kernelILj128ELj8E21rocsparse_complex_numIdEliS2_S2_S2_EEvT3_20rocsparse_direction_NS_24const_host_device_scalarIT1_EES3_PKS3_PKT2_SC_S9_PKT4_PKT5_S7_PT6_21rocsparse_index_base_b.num_named_barrier, 0
	.set _ZN9rocsparseL18bsrxmvn_4x4_kernelILj128ELj8E21rocsparse_complex_numIdEliS2_S2_S2_EEvT3_20rocsparse_direction_NS_24const_host_device_scalarIT1_EES3_PKS3_PKT2_SC_S9_PKT4_PKT5_S7_PT6_21rocsparse_index_base_b.private_seg_size, 0
	.set _ZN9rocsparseL18bsrxmvn_4x4_kernelILj128ELj8E21rocsparse_complex_numIdEliS2_S2_S2_EEvT3_20rocsparse_direction_NS_24const_host_device_scalarIT1_EES3_PKS3_PKT2_SC_S9_PKT4_PKT5_S7_PT6_21rocsparse_index_base_b.uses_vcc, 1
	.set _ZN9rocsparseL18bsrxmvn_4x4_kernelILj128ELj8E21rocsparse_complex_numIdEliS2_S2_S2_EEvT3_20rocsparse_direction_NS_24const_host_device_scalarIT1_EES3_PKS3_PKT2_SC_S9_PKT4_PKT5_S7_PT6_21rocsparse_index_base_b.uses_flat_scratch, 0
	.set _ZN9rocsparseL18bsrxmvn_4x4_kernelILj128ELj8E21rocsparse_complex_numIdEliS2_S2_S2_EEvT3_20rocsparse_direction_NS_24const_host_device_scalarIT1_EES3_PKS3_PKT2_SC_S9_PKT4_PKT5_S7_PT6_21rocsparse_index_base_b.has_dyn_sized_stack, 0
	.set _ZN9rocsparseL18bsrxmvn_4x4_kernelILj128ELj8E21rocsparse_complex_numIdEliS2_S2_S2_EEvT3_20rocsparse_direction_NS_24const_host_device_scalarIT1_EES3_PKS3_PKT2_SC_S9_PKT4_PKT5_S7_PT6_21rocsparse_index_base_b.has_recursion, 0
	.set _ZN9rocsparseL18bsrxmvn_4x4_kernelILj128ELj8E21rocsparse_complex_numIdEliS2_S2_S2_EEvT3_20rocsparse_direction_NS_24const_host_device_scalarIT1_EES3_PKS3_PKT2_SC_S9_PKT4_PKT5_S7_PT6_21rocsparse_index_base_b.has_indirect_call, 0
	.section	.AMDGPU.csdata,"",@progbits
; Kernel info:
; codeLenInByte = 11952
; TotalNumSgprs: 16
; NumVgprs: 157
; ScratchSize: 0
; MemoryBound: 1
; FloatMode: 240
; IeeeMode: 1
; LDSByteSize: 0 bytes/workgroup (compile time only)
; SGPRBlocks: 0
; VGPRBlocks: 19
; NumSGPRsForWavesPerEU: 16
; NumVGPRsForWavesPerEU: 157
; Occupancy: 9
; WaveLimiterHint : 1
; COMPUTE_PGM_RSRC2:SCRATCH_EN: 0
; COMPUTE_PGM_RSRC2:USER_SGPR: 2
; COMPUTE_PGM_RSRC2:TRAP_HANDLER: 0
; COMPUTE_PGM_RSRC2:TGID_X_EN: 1
; COMPUTE_PGM_RSRC2:TGID_Y_EN: 0
; COMPUTE_PGM_RSRC2:TGID_Z_EN: 0
; COMPUTE_PGM_RSRC2:TIDIG_COMP_CNT: 0
	.section	.text._ZN9rocsparseL18bsrxmvn_4x4_kernelILj128ELj16E21rocsparse_complex_numIdEliS2_S2_S2_EEvT3_20rocsparse_direction_NS_24const_host_device_scalarIT1_EES3_PKS3_PKT2_SC_S9_PKT4_PKT5_S7_PT6_21rocsparse_index_base_b,"axG",@progbits,_ZN9rocsparseL18bsrxmvn_4x4_kernelILj128ELj16E21rocsparse_complex_numIdEliS2_S2_S2_EEvT3_20rocsparse_direction_NS_24const_host_device_scalarIT1_EES3_PKS3_PKT2_SC_S9_PKT4_PKT5_S7_PT6_21rocsparse_index_base_b,comdat
	.globl	_ZN9rocsparseL18bsrxmvn_4x4_kernelILj128ELj16E21rocsparse_complex_numIdEliS2_S2_S2_EEvT3_20rocsparse_direction_NS_24const_host_device_scalarIT1_EES3_PKS3_PKT2_SC_S9_PKT4_PKT5_S7_PT6_21rocsparse_index_base_b ; -- Begin function _ZN9rocsparseL18bsrxmvn_4x4_kernelILj128ELj16E21rocsparse_complex_numIdEliS2_S2_S2_EEvT3_20rocsparse_direction_NS_24const_host_device_scalarIT1_EES3_PKS3_PKT2_SC_S9_PKT4_PKT5_S7_PT6_21rocsparse_index_base_b
	.p2align	8
	.type	_ZN9rocsparseL18bsrxmvn_4x4_kernelILj128ELj16E21rocsparse_complex_numIdEliS2_S2_S2_EEvT3_20rocsparse_direction_NS_24const_host_device_scalarIT1_EES3_PKS3_PKT2_SC_S9_PKT4_PKT5_S7_PT6_21rocsparse_index_base_b,@function
_ZN9rocsparseL18bsrxmvn_4x4_kernelILj128ELj16E21rocsparse_complex_numIdEliS2_S2_S2_EEvT3_20rocsparse_direction_NS_24const_host_device_scalarIT1_EES3_PKS3_PKT2_SC_S9_PKT4_PKT5_S7_PT6_21rocsparse_index_base_b: ; @_ZN9rocsparseL18bsrxmvn_4x4_kernelILj128ELj16E21rocsparse_complex_numIdEliS2_S2_S2_EEvT3_20rocsparse_direction_NS_24const_host_device_scalarIT1_EES3_PKS3_PKT2_SC_S9_PKT4_PKT5_S7_PT6_21rocsparse_index_base_b
; %bb.0:
	s_clause 0x1
	s_load_b64 s[12:13], s[0:1], 0x68
	s_load_b64 s[2:3], s[0:1], 0x8
	s_add_nc_u64 s[4:5], s[0:1], 8
	s_load_b64 s[6:7], s[0:1], 0x50
	s_wait_kmcnt 0x0
	s_bitcmp1_b32 s13, 0
	s_cselect_b32 s2, s4, s2
	s_cselect_b32 s3, s5, s3
	s_delay_alu instid0(SALU_CYCLE_1)
	v_dual_mov_b32 v1, s2 :: v_dual_mov_b32 v2, s3
	s_add_nc_u64 s[2:3], s[0:1], 0x50
	s_wait_alu 0xfffe
	s_cselect_b32 s2, s2, s6
	s_cselect_b32 s3, s3, s7
	flat_load_b128 v[5:8], v[1:2]
	s_wait_alu 0xfffe
	v_dual_mov_b32 v1, s2 :: v_dual_mov_b32 v2, s3
	flat_load_b128 v[1:4], v[1:2]
	s_wait_loadcnt_dscnt 0x101
	v_cmp_eq_f64_e32 vcc_lo, 0, v[5:6]
	v_cmp_eq_f64_e64 s2, 0, v[7:8]
	s_and_b32 s4, vcc_lo, s2
	s_mov_b32 s2, -1
	s_and_saveexec_b32 s3, s4
	s_cbranch_execz .LBB37_2
; %bb.1:
	s_wait_loadcnt_dscnt 0x0
	v_cmp_neq_f64_e32 vcc_lo, 1.0, v[1:2]
	v_cmp_neq_f64_e64 s2, 0, v[3:4]
	s_wait_alu 0xfffe
	s_or_b32 s2, vcc_lo, s2
	s_wait_alu 0xfffe
	s_or_not1_b32 s2, s2, exec_lo
.LBB37_2:
	s_wait_alu 0xfffe
	s_or_b32 exec_lo, exec_lo, s3
	s_and_saveexec_b32 s3, s2
	s_cbranch_execz .LBB37_8
; %bb.3:
	s_clause 0x1
	s_load_b64 s[4:5], s[0:1], 0x20
	s_load_b64 s[2:3], s[0:1], 0x0
	v_lshrrev_b32_e32 v9, 4, v0
	s_delay_alu instid0(VALU_DEP_1)
	v_lshl_or_b32 v25, ttmp9, 3, v9
	s_wait_kmcnt 0x0
	s_cmp_lg_u64 s[4:5], 0
	s_cbranch_scc0 .LBB37_9
; %bb.4:
	s_load_b32 s6, s[0:1], 0x18
	s_mov_b32 s7, 0
                                        ; implicit-def: $vgpr9
	s_wait_kmcnt 0x0
	v_cmp_gt_i32_e32 vcc_lo, s6, v25
	s_mov_b32 s6, 0
	s_and_saveexec_b32 s8, vcc_lo
	s_delay_alu instid0(SALU_CYCLE_1)
	s_xor_b32 s8, exec_lo, s8
	s_cbranch_execz .LBB37_6
; %bb.5:
	v_ashrrev_i32_e32 v26, 31, v25
	s_mov_b32 s6, exec_lo
	s_delay_alu instid0(VALU_DEP_1) | instskip(NEXT) | instid1(VALU_DEP_1)
	v_lshlrev_b64_e32 v[9:10], 2, v[25:26]
	v_add_co_u32 v9, vcc_lo, s4, v9
	s_delay_alu instid0(VALU_DEP_1)
	v_add_co_ci_u32_e64 v10, null, s5, v10, vcc_lo
	global_load_b32 v9, v[9:10], off
	s_wait_loadcnt 0x0
	v_subrev_nc_u32_e32 v9, s12, v9
.LBB37_6:
	s_or_b32 exec_lo, exec_lo, s8
	s_delay_alu instid0(SALU_CYCLE_1)
	s_and_b32 vcc_lo, exec_lo, s7
	s_wait_alu 0xfffe
	s_cbranch_vccz .LBB37_10
.LBB37_7:
	v_cmp_gt_i32_e32 vcc_lo, s2, v25
	s_and_not1_b32 s2, s6, exec_lo
	s_and_b32 s4, vcc_lo, exec_lo
	s_wait_alu 0xfffe
	s_or_b32 s6, s2, s4
	s_wait_alu 0xfffe
	s_and_b32 exec_lo, exec_lo, s6
	s_cbranch_execnz .LBB37_11
.LBB37_8:
	s_nop 0
	s_sendmsg sendmsg(MSG_DEALLOC_VGPRS)
	s_endpgm
.LBB37_9:
	s_mov_b32 s6, 0
                                        ; implicit-def: $vgpr9
	s_cbranch_execnz .LBB37_7
.LBB37_10:
	v_mov_b32_e32 v25, v9
	s_and_b32 exec_lo, exec_lo, s6
	s_cbranch_execz .LBB37_8
.LBB37_11:
	s_load_b256 s[4:11], s[0:1], 0x28
	s_delay_alu instid0(VALU_DEP_1) | instskip(SKIP_1) | instid1(VALU_DEP_2)
	v_ashrrev_i32_e32 v26, 31, v25
	v_and_b32_e32 v0, 15, v0
	v_lshlrev_b64_e32 v[9:10], 3, v[25:26]
	s_wait_kmcnt 0x0
	s_delay_alu instid0(VALU_DEP_1) | instskip(SKIP_1) | instid1(VALU_DEP_2)
	v_add_co_u32 v11, vcc_lo, s4, v9
	s_wait_alu 0xfffd
	v_add_co_ci_u32_e64 v12, null, s5, v10, vcc_lo
	v_add_co_u32 v9, vcc_lo, s6, v9
	s_wait_alu 0xfffd
	v_add_co_ci_u32_e64 v10, null, s7, v10, vcc_lo
	;; [unrolled: 3-line block ×3, first 2 shown]
	global_load_b64 v[48:49], v[11:12], off
	s_cmp_eq_u64 s[6:7], 0
	s_load_b64 s[4:5], s[0:1], 0x48
	s_cselect_b32 vcc_lo, -1, 0
	s_cmp_eq_u32 s3, 1
	s_wait_alu 0xfffe
	v_dual_cndmask_b32 v10, v10, v14 :: v_dual_cndmask_b32 v9, v9, v13
	global_load_b64 v[9:10], v[9:10], off
	s_wait_loadcnt 0x1
	v_sub_co_u32 v11, vcc_lo, v48, s12
	s_wait_alu 0xfffd
	v_subrev_co_ci_u32_e64 v12, null, 0, v49, vcc_lo
	s_delay_alu instid0(VALU_DEP_2) | instskip(SKIP_1) | instid1(VALU_DEP_2)
	v_add_co_u32 v26, vcc_lo, v11, v0
	s_wait_alu 0xfffd
	v_add_co_ci_u32_e64 v27, null, 0, v12, vcc_lo
	s_wait_loadcnt 0x0
	v_sub_co_u32 v28, vcc_lo, v9, s12
	s_wait_alu 0xfffd
	v_subrev_co_ci_u32_e64 v29, null, 0, v10, vcc_lo
	v_lshlrev_b64_e32 v[9:10], 8, v[26:27]
	s_delay_alu instid0(VALU_DEP_2) | instskip(NEXT) | instid1(VALU_DEP_2)
	v_cmp_lt_i64_e64 s2, v[26:27], v[28:29]
	v_add_co_u32 v30, vcc_lo, s10, v9
	s_wait_alu 0xfffd
	s_delay_alu instid0(VALU_DEP_3)
	v_add_co_ci_u32_e64 v31, null, s11, v10, vcc_lo
	s_cbranch_scc1 .LBB37_23
; %bb.12:
	v_mov_b32_e32 v34, 0
	v_mov_b32_e32 v32, 0
	;; [unrolled: 1-line block ×3, first 2 shown]
	v_dual_mov_b32 v46, 0 :: v_dual_mov_b32 v35, 0
	v_dual_mov_b32 v40, 0 :: v_dual_mov_b32 v33, 0
	;; [unrolled: 1-line block ×5, first 2 shown]
	v_mov_b32_e32 v37, 0
	v_mov_b32_e32 v43, 0
	;; [unrolled: 1-line block ×3, first 2 shown]
	s_and_saveexec_b32 s6, s2
	s_cbranch_execz .LBB37_22
; %bb.13:
	v_or_b32_e32 v9, 16, v0
	v_not_b32_e32 v13, v48
	v_not_b32_e32 v11, v49
	v_mov_b32_e32 v36, 0
	v_mov_b32_e32 v40, 0
	v_sub_co_u32 v9, s3, v9, s12
	s_wait_alu 0xf1ff
	v_sub_co_ci_u32_e64 v10, null, 0, 0, s3
	v_sub_co_u32 v14, s3, s12, v0
	s_delay_alu instid0(VALU_DEP_3) | instskip(SKIP_1) | instid1(VALU_DEP_3)
	v_add_co_u32 v9, vcc_lo, v9, v48
	s_wait_alu 0xfffd
	v_add_co_ci_u32_e64 v10, null, v10, v49, vcc_lo
	s_wait_alu 0xf1ff
	v_sub_co_ci_u32_e64 v15, null, 0, 0, s3
	v_add_co_u32 v13, s3, v14, v13
	s_delay_alu instid0(VALU_DEP_3)
	v_cmp_gt_i64_e32 vcc_lo, v[9:10], v[28:29]
	v_mov_b32_e32 v38, 0
	s_wait_alu 0xf1ff
	v_add_co_ci_u32_e64 v11, null, v15, v11, s3
	v_mov_b32_e32 v46, 0
	s_wait_alu 0xfffd
	v_dual_mov_b32 v42, 0 :: v_dual_cndmask_b32 v9, v28, v9
	v_dual_cndmask_b32 v10, v29, v10 :: v_dual_mov_b32 v47, 0
	v_dual_mov_b32 v37, 0 :: v_dual_mov_b32 v32, 0
	s_delay_alu instid0(VALU_DEP_3)
	v_add_co_u32 v9, vcc_lo, v13, v9
	v_dual_mov_b32 v44, 0 :: v_dual_mov_b32 v41, 0
	v_mov_b32_e32 v34, 0
	v_dual_mov_b32 v12, 0 :: v_dual_mov_b32 v39, 0
	v_mov_b32_e32 v43, 0
	v_mov_b32_e32 v45, 0
	s_wait_alu 0xfffd
	v_add_co_ci_u32_e64 v10, null, v11, v10, vcc_lo
	v_and_b32_e32 v11, 48, v9
	v_mov_b32_e32 v33, 0
	v_mov_b32_e32 v35, 0
	v_dual_mov_b32 v53, v31 :: v_dual_mov_b32 v52, v30
	v_dual_mov_b32 v51, v27 :: v_dual_mov_b32 v50, v26
	s_mov_b32 s7, exec_lo
	v_cmpx_ne_u64_e32 48, v[11:12]
	s_cbranch_execz .LBB37_17
; %bb.14:
	v_lshrrev_b32_e32 v13, 4, v9
	v_lshlrev_b64_e32 v[11:12], 2, v[26:27]
	v_dual_mov_b32 v51, v27 :: v_dual_mov_b32 v40, 0
	v_dual_mov_b32 v41, 0 :: v_dual_mov_b32 v32, 0
	s_delay_alu instid0(VALU_DEP_4) | instskip(SKIP_2) | instid1(VALU_DEP_3)
	v_dual_mov_b32 v34, 0 :: v_dual_add_nc_u32 v13, 1, v13
	v_dual_mov_b32 v33, 0 :: v_dual_mov_b32 v36, 0
	v_add_co_u32 v11, vcc_lo, s8, v11
	v_dual_mov_b32 v44, 0 :: v_dual_and_b32 v13, 3, v13
	v_dual_mov_b32 v37, 0 :: v_dual_mov_b32 v42, 0
	v_dual_mov_b32 v45, 0 :: v_dual_mov_b32 v46, 0
	s_delay_alu instid0(VALU_DEP_3)
	v_sub_co_u32 v13, s3, 0, v13
	v_dual_mov_b32 v43, 0 :: v_dual_mov_b32 v38, 0
	v_mov_b32_e32 v53, v31
	v_dual_mov_b32 v35, 0 :: v_dual_mov_b32 v50, v26
	s_wait_alu 0xfffd
	v_add_co_ci_u32_e64 v12, null, s9, v12, vcc_lo
	s_wait_alu 0xf1ff
	v_sub_co_ci_u32_e64 v14, null, 0, 0, s3
	v_dual_mov_b32 v47, 0 :: v_dual_mov_b32 v52, v30
	v_mov_b32_e32 v39, 0
	s_mov_b32 s10, 0
.LBB37_15:                              ; =>This Inner Loop Header: Depth=1
	global_load_b32 v23, v[11:12], off
	s_clause 0x7
	global_load_b128 v[15:18], v[52:53], off offset:16
	global_load_b128 v[19:22], v[52:53], off
	global_load_b128 v[54:57], v[52:53], off offset:80
	global_load_b128 v[58:61], v[52:53], off offset:64
	;; [unrolled: 1-line block ×6, first 2 shown]
	v_add_co_u32 v11, s3, v11, 64
	s_wait_alu 0xf1ff
	v_add_co_ci_u32_e64 v12, null, 0, v12, s3
	s_wait_loadcnt 0x8
	v_subrev_nc_u32_e32 v23, s12, v23
	s_delay_alu instid0(VALU_DEP_1) | instskip(NEXT) | instid1(VALU_DEP_1)
	v_lshlrev_b32_e32 v23, 2, v23
	v_ashrrev_i32_e32 v24, 31, v23
	s_delay_alu instid0(VALU_DEP_1) | instskip(SKIP_1) | instid1(VALU_DEP_1)
	v_lshlrev_b64_e32 v[23:24], 4, v[23:24]
	s_wait_kmcnt 0x0
	v_add_co_u32 v23, vcc_lo, s4, v23
	s_wait_alu 0xfffd
	s_delay_alu instid0(VALU_DEP_2)
	v_add_co_ci_u32_e64 v24, null, s5, v24, vcc_lo
	s_clause 0x1
	global_load_b128 v[78:81], v[23:24], off
	global_load_b128 v[82:85], v[23:24], off offset:16
	s_clause 0x7
	global_load_b128 v[86:89], v[52:53], off offset:48
	global_load_b128 v[90:93], v[52:53], off offset:32
	;; [unrolled: 1-line block ×8, first 2 shown]
	s_clause 0x1
	global_load_b128 v[118:121], v[23:24], off offset:32
	global_load_b128 v[122:125], v[23:24], off offset:48
	v_add_co_u32 v52, vcc_lo, 0x1000, v52
	s_wait_alu 0xfffd
	v_add_co_ci_u32_e64 v53, null, 0, v53, vcc_lo
	v_add_co_u32 v13, vcc_lo, v13, 1
	s_wait_alu 0xfffd
	v_add_co_ci_u32_e64 v14, null, 0, v14, vcc_lo
	;; [unrolled: 3-line block ×3, first 2 shown]
	s_delay_alu instid0(VALU_DEP_3)
	v_cmp_eq_u64_e32 vcc_lo, 0, v[13:14]
	s_wait_alu 0xfffe
	s_or_b32 s10, vcc_lo, s10
	s_wait_loadcnt 0xb
	v_fma_f64 v[23:24], v[19:20], v[78:79], v[40:41]
	v_fma_f64 v[34:35], v[21:22], v[78:79], v[34:35]
	v_fma_f64 v[40:41], v[58:59], v[78:79], v[46:47]
	v_fma_f64 v[38:39], v[60:61], v[78:79], v[38:39]
	v_fma_f64 v[44:45], v[66:67], v[78:79], v[44:45]
	v_fma_f64 v[42:43], v[68:69], v[78:79], v[42:43]
	v_fma_f64 v[32:33], v[74:75], v[78:79], v[32:33]
	v_fma_f64 v[36:37], v[76:77], v[78:79], v[36:37]
	v_fma_f64 v[21:22], -v[21:22], v[80:81], v[23:24]
	v_fma_f64 v[19:20], v[19:20], v[80:81], v[34:35]
	v_fma_f64 v[23:24], -v[60:61], v[80:81], v[40:41]
	v_fma_f64 v[34:35], v[58:59], v[80:81], v[38:39]
	v_fma_f64 v[38:39], -v[68:69], v[80:81], v[44:45]
	v_fma_f64 v[40:41], v[66:67], v[80:81], v[42:43]
	v_fma_f64 v[32:33], -v[76:77], v[80:81], v[32:33]
	v_fma_f64 v[36:37], v[74:75], v[80:81], v[36:37]
	s_wait_loadcnt 0xa
	v_fma_f64 v[21:22], v[15:16], v[82:83], v[21:22]
	v_fma_f64 v[19:20], v[17:18], v[82:83], v[19:20]
	v_fma_f64 v[23:24], v[54:55], v[82:83], v[23:24]
	v_fma_f64 v[34:35], v[56:57], v[82:83], v[34:35]
	v_fma_f64 v[38:39], v[62:63], v[82:83], v[38:39]
	v_fma_f64 v[40:41], v[64:65], v[82:83], v[40:41]
	v_fma_f64 v[32:33], v[70:71], v[82:83], v[32:33]
	v_fma_f64 v[36:37], v[72:73], v[82:83], v[36:37]
	v_fma_f64 v[17:18], -v[17:18], v[84:85], v[21:22]
	v_fma_f64 v[15:16], v[15:16], v[84:85], v[19:20]
	v_fma_f64 v[19:20], -v[56:57], v[84:85], v[23:24]
	v_fma_f64 v[21:22], v[54:55], v[84:85], v[34:35]
	v_fma_f64 v[23:24], -v[64:65], v[84:85], v[38:39]
	v_fma_f64 v[34:35], v[62:63], v[84:85], v[40:41]
	v_fma_f64 v[32:33], -v[72:73], v[84:85], v[32:33]
	v_fma_f64 v[36:37], v[70:71], v[84:85], v[36:37]
	;; [unrolled: 17-line block ×4, first 2 shown]
	s_wait_alu 0xfffe
	s_and_not1_b32 exec_lo, exec_lo, s10
	s_cbranch_execnz .LBB37_15
; %bb.16:
	s_or_b32 exec_lo, exec_lo, s10
.LBB37_17:
	s_wait_alu 0xfffe
	s_or_b32 exec_lo, exec_lo, s7
	s_delay_alu instid0(SALU_CYCLE_1)
	s_mov_b32 s7, exec_lo
	v_cmpx_lt_u64_e32 47, v[9:10]
	s_cbranch_execz .LBB37_21
; %bb.18:
	v_lshlrev_b64_e32 v[9:10], 2, v[50:51]
	s_mov_b32 s10, 0
	s_delay_alu instid0(VALU_DEP_1) | instskip(SKIP_1) | instid1(VALU_DEP_2)
	v_add_co_u32 v9, vcc_lo, s8, v9
	s_wait_alu 0xfffd
	v_add_co_ci_u32_e64 v10, null, s9, v10, vcc_lo
	s_delay_alu instid0(VALU_DEP_2) | instskip(SKIP_1) | instid1(VALU_DEP_2)
	v_add_co_u32 v54, vcc_lo, 0x80, v9
	s_wait_alu 0xfffd
	v_add_co_ci_u32_e64 v55, null, 0, v10, vcc_lo
.LBB37_19:                              ; =>This Inner Loop Header: Depth=1
	s_clause 0x1
	global_load_b32 v56, v[54:55], off offset:-128
	global_load_b32 v57, v[54:55], off offset:-64
	s_clause 0x3
	global_load_b128 v[21:24], v[52:53], off
	global_load_b128 v[17:20], v[52:53], off offset:64
	global_load_b128 v[13:16], v[52:53], off offset:128
	;; [unrolled: 1-line block ×3, first 2 shown]
	s_clause 0x1
	global_load_b32 v154, v[54:55], off
	global_load_b32 v156, v[54:55], off offset:64
	v_add_co_u32 v54, s3, 0x100, v54
	s_wait_alu 0xf1ff
	v_add_co_ci_u32_e64 v55, null, 0, v55, s3
	s_wait_loadcnt 0x7
	v_subrev_nc_u32_e32 v56, s12, v56
	s_delay_alu instid0(VALU_DEP_1)
	v_lshlrev_b32_e32 v58, 2, v56
	s_wait_loadcnt 0x6
	v_subrev_nc_u32_e32 v56, s12, v57
	s_wait_loadcnt 0x1
	v_subrev_nc_u32_e32 v154, s12, v154
	v_ashrrev_i32_e32 v59, 31, v58
	s_delay_alu instid0(VALU_DEP_3) | instskip(NEXT) | instid1(VALU_DEP_3)
	v_lshlrev_b32_e32 v56, 2, v56
	v_lshlrev_b32_e32 v154, 2, v154
	s_delay_alu instid0(VALU_DEP_3) | instskip(NEXT) | instid1(VALU_DEP_3)
	v_lshlrev_b64_e32 v[58:59], 4, v[58:59]
	v_ashrrev_i32_e32 v57, 31, v56
	s_delay_alu instid0(VALU_DEP_3) | instskip(NEXT) | instid1(VALU_DEP_2)
	v_ashrrev_i32_e32 v155, 31, v154
	v_lshlrev_b64_e32 v[56:57], 4, v[56:57]
	s_wait_kmcnt 0x0
	s_delay_alu instid0(VALU_DEP_4)
	v_add_co_u32 v118, vcc_lo, s4, v58
	s_wait_alu 0xfffd
	v_add_co_ci_u32_e64 v119, null, s5, v59, vcc_lo
	global_load_b128 v[58:61], v[118:119], off
	s_clause 0x3
	global_load_b128 v[62:65], v[52:53], off offset:16
	global_load_b128 v[66:69], v[52:53], off offset:80
	global_load_b128 v[70:73], v[52:53], off offset:144
	global_load_b128 v[74:77], v[52:53], off offset:208
	global_load_b128 v[78:81], v[118:119], off offset:16
	s_clause 0x3
	global_load_b128 v[82:85], v[52:53], off offset:32
	global_load_b128 v[86:89], v[52:53], off offset:96
	global_load_b128 v[90:93], v[52:53], off offset:160
	global_load_b128 v[94:97], v[52:53], off offset:224
	global_load_b128 v[98:101], v[118:119], off offset:32
	;; [unrolled: 6-line block ×3, first 2 shown]
	s_clause 0x3
	global_load_b128 v[122:125], v[52:53], off offset:4096
	global_load_b128 v[126:129], v[52:53], off offset:4160
	;; [unrolled: 1-line block ×4, first 2 shown]
	v_add_co_u32 v142, vcc_lo, s4, v56
	s_wait_alu 0xfffd
	v_add_co_ci_u32_e64 v143, null, s5, v57, vcc_lo
	global_load_b128 v[138:141], v[142:143], off
	s_wait_loadcnt 0x14
	v_fma_f64 v[40:41], v[21:22], v[58:59], v[40:41]
	v_fma_f64 v[34:35], v[23:24], v[58:59], v[34:35]
	v_fma_f64 v[46:47], v[17:18], v[58:59], v[46:47]
	v_fma_f64 v[38:39], v[19:20], v[58:59], v[38:39]
	v_fma_f64 v[44:45], v[13:14], v[58:59], v[44:45]
	v_fma_f64 v[42:43], v[15:16], v[58:59], v[42:43]
	v_fma_f64 v[32:33], v[9:10], v[58:59], v[32:33]
	v_fma_f64 v[36:37], v[11:12], v[58:59], v[36:37]
	v_fma_f64 v[40:41], -v[23:24], v[60:61], v[40:41]
	v_fma_f64 v[56:57], v[21:22], v[60:61], v[34:35]
	v_fma_f64 v[46:47], -v[19:20], v[60:61], v[46:47]
	v_fma_f64 v[38:39], v[17:18], v[60:61], v[38:39]
	v_fma_f64 v[44:45], -v[15:16], v[60:61], v[44:45]
	v_fma_f64 v[42:43], v[13:14], v[60:61], v[42:43]
	v_fma_f64 v[58:59], -v[11:12], v[60:61], v[32:33]
	v_fma_f64 v[36:37], v[9:10], v[60:61], v[36:37]
	s_clause 0x3
	global_load_b128 v[9:12], v[52:53], off offset:4112
	global_load_b128 v[13:16], v[52:53], off offset:4176
	global_load_b128 v[17:20], v[52:53], off offset:4240
	global_load_b128 v[21:24], v[52:53], off offset:4304
	global_load_b128 v[32:35], v[142:143], off offset:16
	s_wait_loadcnt 0x14
	v_fma_f64 v[40:41], v[62:63], v[78:79], v[40:41]
	v_fma_f64 v[56:57], v[64:65], v[78:79], v[56:57]
	v_fma_f64 v[46:47], v[66:67], v[78:79], v[46:47]
	v_fma_f64 v[38:39], v[68:69], v[78:79], v[38:39]
	v_fma_f64 v[44:45], v[70:71], v[78:79], v[44:45]
	v_fma_f64 v[42:43], v[72:73], v[78:79], v[42:43]
	v_fma_f64 v[58:59], v[74:75], v[78:79], v[58:59]
	v_fma_f64 v[36:37], v[76:77], v[78:79], v[36:37]
	v_fma_f64 v[64:65], -v[64:65], v[80:81], v[40:41]
	v_fma_f64 v[78:79], v[62:63], v[80:81], v[56:57]
	v_fma_f64 v[68:69], -v[68:69], v[80:81], v[46:47]
	v_fma_f64 v[66:67], v[66:67], v[80:81], v[38:39]
	v_fma_f64 v[72:73], -v[72:73], v[80:81], v[44:45]
	v_fma_f64 v[70:71], v[70:71], v[80:81], v[42:43]
	v_fma_f64 v[76:77], -v[76:77], v[80:81], v[58:59]
	v_fma_f64 v[74:75], v[74:75], v[80:81], v[36:37]
	s_clause 0x3
	global_load_b128 v[36:39], v[52:53], off offset:4128
	global_load_b128 v[40:43], v[52:53], off offset:4192
	global_load_b128 v[44:47], v[52:53], off offset:4256
	global_load_b128 v[56:59], v[52:53], off offset:4320
	global_load_b128 v[60:63], v[142:143], off offset:32
	;; [unrolled: 23-line block ×3, first 2 shown]
	s_wait_loadcnt 0x14
	v_fma_f64 v[100:101], v[102:103], v[118:119], v[84:85]
	v_fma_f64 v[142:143], v[104:105], v[118:119], v[98:99]
	;; [unrolled: 1-line block ×8, first 2 shown]
	s_clause 0x3
	global_load_b128 v[84:87], v[52:53], off offset:8192
	global_load_b128 v[88:91], v[52:53], off offset:8256
	;; [unrolled: 1-line block ×4, first 2 shown]
	v_fma_f64 v[104:105], -v[104:105], v[120:121], v[100:101]
	v_fma_f64 v[142:143], v[102:103], v[120:121], v[142:143]
	v_fma_f64 v[108:109], -v[108:109], v[120:121], v[144:145]
	v_fma_f64 v[106:107], v[106:107], v[120:121], v[146:147]
	;; [unrolled: 2-line block ×4, first 2 shown]
	v_lshlrev_b64_e32 v[100:101], 4, v[154:155]
	v_subrev_nc_u32_e32 v154, s12, v156
	s_delay_alu instid0(VALU_DEP_2) | instskip(SKIP_1) | instid1(VALU_DEP_3)
	v_add_co_u32 v144, vcc_lo, s4, v100
	s_wait_alu 0xfffd
	v_add_co_ci_u32_e64 v145, null, s5, v101, vcc_lo
	s_delay_alu instid0(VALU_DEP_3)
	v_lshlrev_b32_e32 v154, 2, v154
	global_load_b128 v[100:103], v[144:145], off
	v_ashrrev_i32_e32 v155, 31, v154
	s_wait_loadcnt 0x14
	v_fma_f64 v[104:105], v[122:123], v[138:139], v[104:105]
	v_fma_f64 v[118:119], v[124:125], v[138:139], v[142:143]
	v_fma_f64 v[108:109], v[126:127], v[138:139], v[108:109]
	v_fma_f64 v[106:107], v[128:129], v[138:139], v[106:107]
	v_fma_f64 v[112:113], v[130:131], v[138:139], v[112:113]
	v_fma_f64 v[110:111], v[132:133], v[138:139], v[110:111]
	v_fma_f64 v[116:117], v[134:135], v[138:139], v[116:117]
	v_fma_f64 v[114:115], v[136:137], v[138:139], v[114:115]
	v_fma_f64 v[124:125], -v[124:125], v[140:141], v[104:105]
	v_fma_f64 v[138:139], v[122:123], v[140:141], v[118:119]
	v_fma_f64 v[128:129], -v[128:129], v[140:141], v[108:109]
	v_fma_f64 v[126:127], v[126:127], v[140:141], v[106:107]
	v_fma_f64 v[132:133], -v[132:133], v[140:141], v[112:113]
	v_fma_f64 v[130:131], v[130:131], v[140:141], v[110:111]
	v_fma_f64 v[136:137], -v[136:137], v[140:141], v[116:117]
	v_fma_f64 v[134:135], v[134:135], v[140:141], v[114:115]
	s_clause 0x3
	global_load_b128 v[104:107], v[52:53], off offset:8208
	global_load_b128 v[108:111], v[52:53], off offset:8272
	global_load_b128 v[112:115], v[52:53], off offset:8336
	global_load_b128 v[116:119], v[52:53], off offset:8400
	global_load_b128 v[120:123], v[144:145], off offset:16
	s_wait_loadcnt 0x14
	v_fma_f64 v[124:125], v[9:10], v[32:33], v[124:125]
	v_fma_f64 v[138:139], v[11:12], v[32:33], v[138:139]
	v_fma_f64 v[128:129], v[13:14], v[32:33], v[128:129]
	v_fma_f64 v[126:127], v[15:16], v[32:33], v[126:127]
	v_fma_f64 v[132:133], v[17:18], v[32:33], v[132:133]
	v_fma_f64 v[130:131], v[19:20], v[32:33], v[130:131]
	v_fma_f64 v[136:137], v[21:22], v[32:33], v[136:137]
	v_fma_f64 v[32:33], v[23:24], v[32:33], v[134:135]
	v_fma_f64 v[124:125], -v[11:12], v[34:35], v[124:125]
	v_fma_f64 v[134:135], v[9:10], v[34:35], v[138:139]
	v_fma_f64 v[128:129], -v[15:16], v[34:35], v[128:129]
	v_fma_f64 v[126:127], v[13:14], v[34:35], v[126:127]
	v_fma_f64 v[132:133], -v[19:20], v[34:35], v[132:133]
	v_fma_f64 v[130:131], v[17:18], v[34:35], v[130:131]
	v_fma_f64 v[136:137], -v[23:24], v[34:35], v[136:137]
	v_fma_f64 v[138:139], v[21:22], v[34:35], v[32:33]
	s_clause 0x3
	global_load_b128 v[9:12], v[52:53], off offset:8224
	global_load_b128 v[13:16], v[52:53], off offset:8288
	global_load_b128 v[17:20], v[52:53], off offset:8352
	global_load_b128 v[21:24], v[52:53], off offset:8416
	global_load_b128 v[32:35], v[144:145], off offset:32
	;; [unrolled: 23-line block ×3, first 2 shown]
	s_wait_loadcnt 0x14
	v_fma_f64 v[140:141], v[64:65], v[80:81], v[124:125]
	v_fma_f64 v[142:143], v[66:67], v[80:81], v[134:135]
	;; [unrolled: 1-line block ×8, first 2 shown]
	s_clause 0x3
	global_load_b128 v[124:127], v[52:53], off offset:12288
	global_load_b128 v[128:131], v[52:53], off offset:12352
	;; [unrolled: 1-line block ×4, first 2 shown]
	v_fma_f64 v[140:141], -v[66:67], v[82:83], v[140:141]
	v_fma_f64 v[142:143], v[64:65], v[82:83], v[142:143]
	v_fma_f64 v[70:71], -v[70:71], v[82:83], v[144:145]
	v_fma_f64 v[68:69], v[68:69], v[82:83], v[146:147]
	;; [unrolled: 2-line block ×4, first 2 shown]
	v_lshlrev_b64_e32 v[64:65], 4, v[154:155]
	s_delay_alu instid0(VALU_DEP_1) | instskip(SKIP_1) | instid1(VALU_DEP_2)
	v_add_co_u32 v144, vcc_lo, s4, v64
	s_wait_alu 0xfffd
	v_add_co_ci_u32_e64 v145, null, s5, v65, vcc_lo
	v_add_co_u32 v50, vcc_lo, v50, 64
	s_wait_alu 0xfffd
	v_add_co_ci_u32_e64 v51, null, 0, v51, vcc_lo
	global_load_b128 v[64:67], v[144:145], off
	s_wait_loadcnt 0x14
	v_fma_f64 v[80:81], v[84:85], v[100:101], v[140:141]
	v_fma_f64 v[82:83], v[86:87], v[100:101], v[142:143]
	v_fma_f64 v[70:71], v[88:89], v[100:101], v[70:71]
	v_fma_f64 v[68:69], v[90:91], v[100:101], v[68:69]
	v_fma_f64 v[74:75], v[92:93], v[100:101], v[74:75]
	v_fma_f64 v[72:73], v[94:95], v[100:101], v[72:73]
	v_fma_f64 v[78:79], v[96:97], v[100:101], v[78:79]
	v_fma_f64 v[76:77], v[98:99], v[100:101], v[76:77]
	v_fma_f64 v[100:101], -v[86:87], v[102:103], v[80:81]
	v_fma_f64 v[140:141], v[84:85], v[102:103], v[82:83]
	v_fma_f64 v[90:91], -v[90:91], v[102:103], v[70:71]
	v_fma_f64 v[88:89], v[88:89], v[102:103], v[68:69]
	v_fma_f64 v[94:95], -v[94:95], v[102:103], v[74:75]
	v_fma_f64 v[92:93], v[92:93], v[102:103], v[72:73]
	v_fma_f64 v[98:99], -v[98:99], v[102:103], v[78:79]
	v_fma_f64 v[96:97], v[96:97], v[102:103], v[76:77]
	s_clause 0x3
	global_load_b128 v[68:71], v[52:53], off offset:12304
	global_load_b128 v[72:75], v[52:53], off offset:12368
	global_load_b128 v[76:79], v[52:53], off offset:12432
	global_load_b128 v[80:83], v[52:53], off offset:12496
	global_load_b128 v[84:87], v[144:145], off offset:16
	s_wait_loadcnt 0x14
	v_fma_f64 v[100:101], v[104:105], v[120:121], v[100:101]
	v_fma_f64 v[102:103], v[106:107], v[120:121], v[140:141]
	v_fma_f64 v[90:91], v[108:109], v[120:121], v[90:91]
	v_fma_f64 v[88:89], v[110:111], v[120:121], v[88:89]
	v_fma_f64 v[94:95], v[112:113], v[120:121], v[94:95]
	v_fma_f64 v[92:93], v[114:115], v[120:121], v[92:93]
	v_fma_f64 v[98:99], v[116:117], v[120:121], v[98:99]
	v_fma_f64 v[96:97], v[118:119], v[120:121], v[96:97]
	v_fma_f64 v[120:121], -v[106:107], v[122:123], v[100:101]
	v_fma_f64 v[140:141], v[104:105], v[122:123], v[102:103]
	v_fma_f64 v[110:111], -v[110:111], v[122:123], v[90:91]
	v_fma_f64 v[108:109], v[108:109], v[122:123], v[88:89]
	v_fma_f64 v[114:115], -v[114:115], v[122:123], v[94:95]
	v_fma_f64 v[112:113], v[112:113], v[122:123], v[92:93]
	v_fma_f64 v[118:119], -v[118:119], v[122:123], v[98:99]
	v_fma_f64 v[116:117], v[116:117], v[122:123], v[96:97]
	s_clause 0x3
	global_load_b128 v[88:91], v[52:53], off offset:12320
	global_load_b128 v[92:95], v[52:53], off offset:12384
	global_load_b128 v[96:99], v[52:53], off offset:12448
	global_load_b128 v[100:103], v[52:53], off offset:12512
	global_load_b128 v[104:107], v[144:145], off offset:32
	;; [unrolled: 23-line block ×3, first 2 shown]
	v_add_co_u32 v52, vcc_lo, 0x4000, v52
	s_wait_alu 0xfffd
	v_add_co_ci_u32_e64 v53, null, 0, v53, vcc_lo
	v_cmp_ge_i64_e32 vcc_lo, v[50:51], v[28:29]
	s_wait_alu 0xfffe
	s_or_b32 s10, vcc_lo, s10
	s_wait_loadcnt 0x14
	v_fma_f64 v[34:35], v[36:37], v[60:61], v[116:117]
	v_fma_f64 v[116:117], v[38:39], v[60:61], v[120:121]
	v_fma_f64 v[120:121], v[40:41], v[60:61], v[122:123]
	v_fma_f64 v[122:123], v[42:43], v[60:61], v[140:141]
	v_fma_f64 v[114:115], v[44:45], v[60:61], v[114:115]
	v_fma_f64 v[112:113], v[46:47], v[60:61], v[112:113]
	v_fma_f64 v[118:119], v[56:57], v[60:61], v[118:119]
	v_fma_f64 v[32:33], v[58:59], v[60:61], v[32:33]
	v_fma_f64 v[34:35], -v[38:39], v[62:63], v[34:35]
	v_fma_f64 v[36:37], v[36:37], v[62:63], v[116:117]
	v_fma_f64 v[38:39], -v[42:43], v[62:63], v[120:121]
	v_fma_f64 v[40:41], v[40:41], v[62:63], v[122:123]
	v_fma_f64 v[42:43], -v[46:47], v[62:63], v[114:115]
	v_fma_f64 v[44:45], v[44:45], v[62:63], v[112:113]
	v_fma_f64 v[46:47], -v[58:59], v[62:63], v[118:119]
	v_fma_f64 v[32:33], v[56:57], v[62:63], v[32:33]
	s_wait_loadcnt 0xf
	v_fma_f64 v[34:35], v[124:125], v[64:65], v[34:35]
	v_fma_f64 v[36:37], v[126:127], v[64:65], v[36:37]
	v_fma_f64 v[38:39], v[128:129], v[64:65], v[38:39]
	v_fma_f64 v[40:41], v[130:131], v[64:65], v[40:41]
	v_fma_f64 v[42:43], v[132:133], v[64:65], v[42:43]
	v_fma_f64 v[44:45], v[134:135], v[64:65], v[44:45]
	v_fma_f64 v[46:47], v[136:137], v[64:65], v[46:47]
	v_fma_f64 v[32:33], v[138:139], v[64:65], v[32:33]
	v_fma_f64 v[34:35], -v[126:127], v[66:67], v[34:35]
	v_fma_f64 v[36:37], v[124:125], v[66:67], v[36:37]
	v_fma_f64 v[38:39], -v[130:131], v[66:67], v[38:39]
	v_fma_f64 v[40:41], v[128:129], v[66:67], v[40:41]
	v_fma_f64 v[42:43], -v[134:135], v[66:67], v[42:43]
	v_fma_f64 v[44:45], v[132:133], v[66:67], v[44:45]
	v_fma_f64 v[46:47], -v[138:139], v[66:67], v[46:47]
	v_fma_f64 v[32:33], v[136:137], v[66:67], v[32:33]
	;; [unrolled: 17-line block ×5, first 2 shown]
	s_wait_alu 0xfffe
	s_and_not1_b32 exec_lo, exec_lo, s10
	s_cbranch_execnz .LBB37_19
; %bb.20:
	s_or_b32 exec_lo, exec_lo, s10
.LBB37_21:
	s_wait_alu 0xfffe
	s_or_b32 exec_lo, exec_lo, s7
.LBB37_22:
	s_wait_alu 0xfffe
	s_or_b32 exec_lo, exec_lo, s6
	s_cbranch_execz .LBB37_24
	s_branch .LBB37_35
.LBB37_23:
                                        ; implicit-def: $vgpr34_vgpr35
                                        ; implicit-def: $vgpr40_vgpr41
                                        ; implicit-def: $vgpr32_vgpr33
                                        ; implicit-def: $vgpr36_vgpr37
                                        ; implicit-def: $vgpr44_vgpr45
                                        ; implicit-def: $vgpr42_vgpr43
                                        ; implicit-def: $vgpr46_vgpr47
                                        ; implicit-def: $vgpr38_vgpr39
.LBB37_24:
	v_mov_b32_e32 v34, 0
	v_mov_b32_e32 v32, 0
	;; [unrolled: 1-line block ×3, first 2 shown]
	v_dual_mov_b32 v46, 0 :: v_dual_mov_b32 v35, 0
	v_dual_mov_b32 v40, 0 :: v_dual_mov_b32 v33, 0
	;; [unrolled: 1-line block ×5, first 2 shown]
	v_mov_b32_e32 v37, 0
	v_mov_b32_e32 v43, 0
	;; [unrolled: 1-line block ×3, first 2 shown]
	s_and_saveexec_b32 s3, s2
	s_cbranch_execz .LBB37_34
; %bb.25:
	v_or_b32_e32 v9, 16, v0
	v_not_b32_e32 v13, v48
	v_not_b32_e32 v11, v49
	v_mov_b32_e32 v44, 0
	v_mov_b32_e32 v32, 0
	v_sub_co_u32 v9, s2, v9, s12
	s_wait_alu 0xf1ff
	v_sub_co_ci_u32_e64 v10, null, 0, 0, s2
	v_sub_co_u32 v14, s2, s12, v0
	s_delay_alu instid0(VALU_DEP_3) | instskip(SKIP_1) | instid1(VALU_DEP_3)
	v_add_co_u32 v9, vcc_lo, v9, v48
	s_wait_alu 0xfffd
	v_add_co_ci_u32_e64 v10, null, v10, v49, vcc_lo
	s_wait_alu 0xf1ff
	v_sub_co_ci_u32_e64 v15, null, 0, 0, s2
	v_add_co_u32 v13, s2, v14, v13
	s_delay_alu instid0(VALU_DEP_3)
	v_cmp_gt_i64_e32 vcc_lo, v[9:10], v[28:29]
	v_mov_b32_e32 v12, 0
	s_wait_alu 0xf1ff
	v_add_co_ci_u32_e64 v11, null, v15, v11, s2
	v_mov_b32_e32 v38, 0
	s_wait_alu 0xfffd
	v_dual_mov_b32 v46, 0 :: v_dual_cndmask_b32 v9, v28, v9
	v_dual_cndmask_b32 v10, v29, v10 :: v_dual_mov_b32 v39, 0
	v_dual_mov_b32 v45, 0 :: v_dual_mov_b32 v36, 0
	s_delay_alu instid0(VALU_DEP_3)
	v_add_co_u32 v9, vcc_lo, v13, v9
	v_dual_mov_b32 v42, 0 :: v_dual_mov_b32 v33, 0
	v_mov_b32_e32 v40, 0
	v_dual_mov_b32 v34, 0 :: v_dual_mov_b32 v47, 0
	v_mov_b32_e32 v43, 0
	s_wait_alu 0xfffd
	v_add_co_ci_u32_e64 v10, null, v11, v10, vcc_lo
	v_and_b32_e32 v11, 48, v9
	v_mov_b32_e32 v37, 0
	v_mov_b32_e32 v41, 0
	v_mov_b32_e32 v35, 0
	s_mov_b32 s6, exec_lo
	v_cmpx_ne_u64_e32 48, v[11:12]
	s_cbranch_execz .LBB37_29
; %bb.26:
	v_lshrrev_b32_e32 v13, 4, v9
	v_mov_b32_e32 v32, 0
	v_lshlrev_b64_e32 v[11:12], 2, v[26:27]
	v_dual_mov_b32 v33, 0 :: v_dual_mov_b32 v36, 0
	s_delay_alu instid0(VALU_DEP_4) | instskip(SKIP_1) | instid1(VALU_DEP_4)
	v_dual_mov_b32 v34, 0 :: v_dual_add_nc_u32 v13, 1, v13
	v_dual_mov_b32 v37, 0 :: v_dual_mov_b32 v42, 0
	v_add_co_u32 v11, vcc_lo, s8, v11
	s_delay_alu instid0(VALU_DEP_3) | instskip(SKIP_2) | instid1(VALU_DEP_3)
	v_dual_mov_b32 v44, 0 :: v_dual_and_b32 v13, 3, v13
	v_dual_mov_b32 v35, 0 :: v_dual_mov_b32 v40, 0
	v_dual_mov_b32 v45, 0 :: v_dual_mov_b32 v46, 0
	v_sub_co_u32 v13, s2, 0, v13
	v_dual_mov_b32 v43, 0 :: v_dual_mov_b32 v38, 0
	v_mov_b32_e32 v41, 0
	s_wait_alu 0xfffd
	v_add_co_ci_u32_e64 v12, null, s9, v12, vcc_lo
	v_mov_b32_e32 v47, 0
	v_mov_b32_e32 v39, 0
	s_wait_alu 0xf1ff
	v_sub_co_ci_u32_e64 v14, null, 0, 0, s2
	s_mov_b32 s7, 0
.LBB37_27:                              ; =>This Inner Loop Header: Depth=1
	global_load_b32 v23, v[11:12], off
	s_clause 0x3
	global_load_b128 v[15:18], v[30:31], off offset:48
	global_load_b128 v[19:22], v[30:31], off offset:32
	;; [unrolled: 1-line block ×3, first 2 shown]
	global_load_b128 v[52:55], v[30:31], off
	v_add_co_u32 v11, s2, v11, 64
	s_wait_alu 0xf1ff
	v_add_co_ci_u32_e64 v12, null, 0, v12, s2
	s_wait_loadcnt 0x4
	v_subrev_nc_u32_e32 v23, s12, v23
	s_delay_alu instid0(VALU_DEP_1) | instskip(NEXT) | instid1(VALU_DEP_1)
	v_lshlrev_b32_e32 v23, 2, v23
	v_ashrrev_i32_e32 v24, 31, v23
	s_delay_alu instid0(VALU_DEP_1) | instskip(SKIP_1) | instid1(VALU_DEP_1)
	v_lshlrev_b64_e32 v[23:24], 4, v[23:24]
	s_wait_kmcnt 0x0
	v_add_co_u32 v23, vcc_lo, s4, v23
	s_wait_alu 0xfffd
	s_delay_alu instid0(VALU_DEP_2)
	v_add_co_ci_u32_e64 v24, null, s5, v24, vcc_lo
	s_clause 0x1
	global_load_b128 v[56:59], v[23:24], off
	global_load_b128 v[60:63], v[23:24], off offset:16
	s_clause 0x7
	global_load_b128 v[64:67], v[30:31], off offset:64
	global_load_b128 v[68:71], v[30:31], off offset:80
	;; [unrolled: 1-line block ×8, first 2 shown]
	s_clause 0x1
	global_load_b128 v[96:99], v[23:24], off offset:32
	global_load_b128 v[100:103], v[23:24], off offset:48
	s_clause 0x3
	global_load_b128 v[104:107], v[30:31], off offset:192
	global_load_b128 v[108:111], v[30:31], off offset:208
	;; [unrolled: 1-line block ×4, first 2 shown]
	v_add_co_u32 v30, vcc_lo, 0x1000, v30
	s_wait_alu 0xfffd
	v_add_co_ci_u32_e64 v31, null, 0, v31, vcc_lo
	v_add_co_u32 v13, vcc_lo, v13, 1
	s_wait_alu 0xfffd
	v_add_co_ci_u32_e64 v14, null, 0, v14, vcc_lo
	;; [unrolled: 3-line block ×3, first 2 shown]
	s_delay_alu instid0(VALU_DEP_3)
	v_cmp_eq_u64_e32 vcc_lo, 0, v[13:14]
	s_wait_alu 0xfffe
	s_or_b32 s7, vcc_lo, s7
	s_wait_loadcnt 0xf
	v_fma_f64 v[23:24], v[52:53], v[56:57], v[40:41]
	v_fma_f64 v[34:35], v[54:55], v[56:57], v[34:35]
	;; [unrolled: 1-line block ×8, first 2 shown]
	v_fma_f64 v[23:24], -v[54:55], v[58:59], v[23:24]
	v_fma_f64 v[34:35], v[52:53], v[58:59], v[34:35]
	v_fma_f64 v[40:41], -v[50:51], v[58:59], v[40:41]
	v_fma_f64 v[38:39], v[48:49], v[58:59], v[38:39]
	;; [unrolled: 2-line block ×4, first 2 shown]
	s_wait_loadcnt 0xd
	v_fma_f64 v[23:24], v[64:65], v[60:61], v[23:24]
	v_fma_f64 v[32:33], v[66:67], v[60:61], v[34:35]
	s_wait_loadcnt 0xc
	v_fma_f64 v[34:35], v[68:69], v[60:61], v[40:41]
	v_fma_f64 v[36:37], v[70:71], v[60:61], v[38:39]
	;; [unrolled: 3-line block ×4, first 2 shown]
	v_fma_f64 v[23:24], -v[66:67], v[62:63], v[23:24]
	v_fma_f64 v[32:33], v[64:65], v[62:63], v[32:33]
	v_fma_f64 v[34:35], -v[70:71], v[62:63], v[34:35]
	v_fma_f64 v[36:37], v[68:69], v[62:63], v[36:37]
	;; [unrolled: 2-line block ×4, first 2 shown]
	s_wait_loadcnt 0x5
	v_fma_f64 v[23:24], v[92:93], v[96:97], v[23:24]
	v_fma_f64 v[32:33], v[94:95], v[96:97], v[32:33]
	;; [unrolled: 1-line block ×8, first 2 shown]
	v_fma_f64 v[23:24], -v[94:95], v[98:99], v[23:24]
	v_fma_f64 v[32:33], v[92:93], v[98:99], v[32:33]
	v_fma_f64 v[34:35], -v[90:91], v[98:99], v[34:35]
	v_fma_f64 v[36:37], v[88:89], v[98:99], v[36:37]
	;; [unrolled: 2-line block ×4, first 2 shown]
	s_wait_loadcnt 0x3
	v_fma_f64 v[23:24], v[104:105], v[100:101], v[23:24]
	v_fma_f64 v[32:33], v[106:107], v[100:101], v[32:33]
	s_wait_loadcnt 0x2
	v_fma_f64 v[38:39], v[108:109], v[100:101], v[34:35]
	v_fma_f64 v[36:37], v[110:111], v[100:101], v[36:37]
	;; [unrolled: 3-line block ×4, first 2 shown]
	v_fma_f64 v[40:41], -v[106:107], v[102:103], v[23:24]
	v_fma_f64 v[34:35], v[104:105], v[102:103], v[32:33]
	v_fma_f64 v[46:47], -v[110:111], v[102:103], v[38:39]
	v_fma_f64 v[38:39], v[108:109], v[102:103], v[36:37]
	;; [unrolled: 2-line block ×4, first 2 shown]
	s_wait_alu 0xfffe
	s_and_not1_b32 exec_lo, exec_lo, s7
	s_cbranch_execnz .LBB37_27
; %bb.28:
	s_or_b32 exec_lo, exec_lo, s7
.LBB37_29:
	s_wait_alu 0xfffe
	s_or_b32 exec_lo, exec_lo, s6
	s_delay_alu instid0(SALU_CYCLE_1)
	s_mov_b32 s6, exec_lo
	v_cmpx_lt_u64_e32 47, v[9:10]
	s_cbranch_execz .LBB37_33
; %bb.30:
	v_lshlrev_b64_e32 v[9:10], 2, v[26:27]
	s_mov_b32 s7, 0
	s_delay_alu instid0(VALU_DEP_1) | instskip(SKIP_1) | instid1(VALU_DEP_2)
	v_add_co_u32 v9, vcc_lo, s8, v9
	s_wait_alu 0xfffd
	v_add_co_ci_u32_e64 v10, null, s9, v10, vcc_lo
	s_delay_alu instid0(VALU_DEP_2) | instskip(SKIP_1) | instid1(VALU_DEP_2)
	v_add_co_u32 v9, vcc_lo, 0x80, v9
	s_wait_alu 0xfffd
	v_add_co_ci_u32_e64 v10, null, 0, v10, vcc_lo
.LBB37_31:                              ; =>This Inner Loop Header: Depth=1
	s_clause 0x1
	global_load_b32 v11, v[9:10], off offset:-128
	global_load_b32 v24, v[9:10], off offset:-64
	s_clause 0x3
	global_load_b128 v[12:15], v[30:31], off offset:48
	global_load_b128 v[16:19], v[30:31], off offset:32
	;; [unrolled: 1-line block ×3, first 2 shown]
	global_load_b128 v[48:51], v[30:31], off
	s_clause 0x1
	global_load_b32 v148, v[9:10], off
	global_load_b32 v150, v[9:10], off offset:64
	v_add_co_u32 v9, s2, 0x100, v9
	s_wait_alu 0xf1ff
	v_add_co_ci_u32_e64 v10, null, 0, v10, s2
	s_wait_loadcnt 0x7
	v_subrev_nc_u32_e32 v11, s12, v11
	s_delay_alu instid0(VALU_DEP_1)
	v_lshlrev_b32_e32 v52, 2, v11
	s_wait_loadcnt 0x6
	v_subrev_nc_u32_e32 v11, s12, v24
	s_wait_loadcnt 0x1
	v_subrev_nc_u32_e32 v148, s12, v148
	v_ashrrev_i32_e32 v53, 31, v52
	s_delay_alu instid0(VALU_DEP_3) | instskip(NEXT) | instid1(VALU_DEP_3)
	v_lshlrev_b32_e32 v132, 2, v11
	v_lshlrev_b32_e32 v148, 2, v148
	s_delay_alu instid0(VALU_DEP_3) | instskip(NEXT) | instid1(VALU_DEP_3)
	v_lshlrev_b64_e32 v[52:53], 4, v[52:53]
	v_ashrrev_i32_e32 v133, 31, v132
	s_delay_alu instid0(VALU_DEP_3) | instskip(NEXT) | instid1(VALU_DEP_2)
	v_ashrrev_i32_e32 v149, 31, v148
	v_lshlrev_b64_e32 v[132:133], 4, v[132:133]
	s_wait_kmcnt 0x0
	s_delay_alu instid0(VALU_DEP_4)
	v_add_co_u32 v112, vcc_lo, s4, v52
	s_wait_alu 0xfffd
	v_add_co_ci_u32_e64 v113, null, s5, v53, vcc_lo
	global_load_b128 v[52:55], v[112:113], off
	s_clause 0x3
	global_load_b128 v[56:59], v[30:31], off offset:112
	global_load_b128 v[60:63], v[30:31], off offset:96
	global_load_b128 v[64:67], v[30:31], off offset:80
	global_load_b128 v[68:71], v[30:31], off offset:64
	global_load_b128 v[72:75], v[112:113], off offset:16
	s_clause 0x3
	global_load_b128 v[76:79], v[30:31], off offset:176
	global_load_b128 v[80:83], v[30:31], off offset:160
	global_load_b128 v[84:87], v[30:31], off offset:144
	global_load_b128 v[88:91], v[30:31], off offset:128
	global_load_b128 v[92:95], v[112:113], off offset:32
	;; [unrolled: 6-line block ×3, first 2 shown]
	s_clause 0x3
	global_load_b128 v[116:119], v[30:31], off offset:4144
	global_load_b128 v[120:123], v[30:31], off offset:4128
	;; [unrolled: 1-line block ×4, first 2 shown]
	v_add_co_u32 v136, vcc_lo, s4, v132
	s_wait_alu 0xfffd
	v_add_co_ci_u32_e64 v137, null, s5, v133, vcc_lo
	global_load_b128 v[132:135], v[136:137], off
	s_wait_loadcnt 0x14
	v_fma_f64 v[40:41], v[48:49], v[52:53], v[40:41]
	v_fma_f64 v[34:35], v[50:51], v[52:53], v[34:35]
	v_fma_f64 v[46:47], v[20:21], v[52:53], v[46:47]
	v_fma_f64 v[38:39], v[22:23], v[52:53], v[38:39]
	v_fma_f64 v[44:45], v[16:17], v[52:53], v[44:45]
	v_fma_f64 v[42:43], v[18:19], v[52:53], v[42:43]
	v_fma_f64 v[32:33], v[12:13], v[52:53], v[32:33]
	v_fma_f64 v[36:37], v[14:15], v[52:53], v[36:37]
	v_fma_f64 v[40:41], -v[50:51], v[54:55], v[40:41]
	v_fma_f64 v[48:49], v[48:49], v[54:55], v[34:35]
	v_fma_f64 v[23:24], -v[22:23], v[54:55], v[46:47]
	v_fma_f64 v[46:47], v[20:21], v[54:55], v[38:39]
	v_fma_f64 v[44:45], -v[18:19], v[54:55], v[44:45]
	v_fma_f64 v[42:43], v[16:17], v[54:55], v[42:43]
	v_fma_f64 v[50:51], -v[14:15], v[54:55], v[32:33]
	v_fma_f64 v[52:53], v[12:13], v[54:55], v[36:37]
	s_clause 0x3
	global_load_b128 v[11:14], v[30:31], off offset:4208
	global_load_b128 v[15:18], v[30:31], off offset:4192
	global_load_b128 v[19:22], v[30:31], off offset:4176
	global_load_b128 v[32:35], v[30:31], off offset:4160
	global_load_b128 v[36:39], v[136:137], off offset:16
	s_wait_loadcnt 0x14
	v_fma_f64 v[40:41], v[68:69], v[72:73], v[40:41]
	v_fma_f64 v[48:49], v[70:71], v[72:73], v[48:49]
	v_fma_f64 v[23:24], v[64:65], v[72:73], v[23:24]
	v_fma_f64 v[46:47], v[66:67], v[72:73], v[46:47]
	v_fma_f64 v[44:45], v[60:61], v[72:73], v[44:45]
	v_fma_f64 v[42:43], v[62:63], v[72:73], v[42:43]
	v_fma_f64 v[50:51], v[56:57], v[72:73], v[50:51]
	v_fma_f64 v[52:53], v[58:59], v[72:73], v[52:53]
	v_fma_f64 v[70:71], -v[70:71], v[74:75], v[40:41]
	v_fma_f64 v[68:69], v[68:69], v[74:75], v[48:49]
	v_fma_f64 v[23:24], -v[66:67], v[74:75], v[23:24]
	v_fma_f64 v[64:65], v[64:65], v[74:75], v[46:47]
	v_fma_f64 v[62:63], -v[62:63], v[74:75], v[44:45]
	v_fma_f64 v[60:61], v[60:61], v[74:75], v[42:43]
	v_fma_f64 v[66:67], -v[58:59], v[74:75], v[50:51]
	v_fma_f64 v[72:73], v[56:57], v[74:75], v[52:53]
	s_clause 0x3
	global_load_b128 v[40:43], v[30:31], off offset:4272
	global_load_b128 v[44:47], v[30:31], off offset:4256
	global_load_b128 v[48:51], v[30:31], off offset:4240
	global_load_b128 v[52:55], v[30:31], off offset:4224
	global_load_b128 v[56:59], v[136:137], off offset:32
	s_wait_loadcnt 0x14
	v_fma_f64 v[70:71], v[88:89], v[92:93], v[70:71]
	v_fma_f64 v[68:69], v[90:91], v[92:93], v[68:69]
	v_fma_f64 v[23:24], v[84:85], v[92:93], v[23:24]
	v_fma_f64 v[64:65], v[86:87], v[92:93], v[64:65]
	v_fma_f64 v[62:63], v[80:81], v[92:93], v[62:63]
	v_fma_f64 v[60:61], v[82:83], v[92:93], v[60:61]
	v_fma_f64 v[66:67], v[76:77], v[92:93], v[66:67]
	v_fma_f64 v[72:73], v[78:79], v[92:93], v[72:73]
	v_fma_f64 v[90:91], -v[90:91], v[94:95], v[70:71]
	v_fma_f64 v[88:89], v[88:89], v[94:95], v[68:69]
	v_fma_f64 v[23:24], -v[86:87], v[94:95], v[23:24]
	v_fma_f64 v[84:85], v[84:85], v[94:95], v[64:65]
	v_fma_f64 v[82:83], -v[82:83], v[94:95], v[62:63]
	v_fma_f64 v[80:81], v[80:81], v[94:95], v[60:61]
	v_fma_f64 v[86:87], -v[78:79], v[94:95], v[66:67]
	v_fma_f64 v[92:93], v[76:77], v[94:95], v[72:73]
	s_clause 0x3
	global_load_b128 v[60:63], v[30:31], off offset:4336
	global_load_b128 v[64:67], v[30:31], off offset:4320
	global_load_b128 v[68:71], v[30:31], off offset:4304
	global_load_b128 v[72:75], v[30:31], off offset:4288
	global_load_b128 v[76:79], v[136:137], off offset:48
	s_wait_loadcnt 0x14
	v_fma_f64 v[136:137], v[108:109], v[112:113], v[90:91]
	v_fma_f64 v[138:139], v[110:111], v[112:113], v[88:89]
	v_fma_f64 v[23:24], v[104:105], v[112:113], v[23:24]
	v_fma_f64 v[140:141], v[106:107], v[112:113], v[84:85]
	v_fma_f64 v[142:143], v[100:101], v[112:113], v[82:83]
	v_fma_f64 v[144:145], v[102:103], v[112:113], v[80:81]
	v_fma_f64 v[146:147], v[96:97], v[112:113], v[86:87]
	v_fma_f64 v[112:113], v[98:99], v[112:113], v[92:93]
	s_clause 0x3
	global_load_b128 v[80:83], v[30:31], off offset:8240
	global_load_b128 v[84:87], v[30:31], off offset:8224
	global_load_b128 v[88:91], v[30:31], off offset:8208
	global_load_b128 v[92:95], v[30:31], off offset:8192
	v_fma_f64 v[110:111], -v[110:111], v[114:115], v[136:137]
	v_fma_f64 v[108:109], v[108:109], v[114:115], v[138:139]
	v_fma_f64 v[23:24], -v[106:107], v[114:115], v[23:24]
	v_fma_f64 v[104:105], v[104:105], v[114:115], v[140:141]
	;; [unrolled: 2-line block ×4, first 2 shown]
	v_lshlrev_b64_e32 v[96:97], 4, v[148:149]
	v_subrev_nc_u32_e32 v148, s12, v150
	s_delay_alu instid0(VALU_DEP_2) | instskip(SKIP_1) | instid1(VALU_DEP_3)
	v_add_co_u32 v136, vcc_lo, s4, v96
	s_wait_alu 0xfffd
	v_add_co_ci_u32_e64 v137, null, s5, v97, vcc_lo
	s_delay_alu instid0(VALU_DEP_3)
	v_lshlrev_b32_e32 v148, 2, v148
	global_load_b128 v[96:99], v[136:137], off
	v_ashrrev_i32_e32 v149, 31, v148
	s_wait_loadcnt 0x14
	v_fma_f64 v[110:111], v[128:129], v[132:133], v[110:111]
	v_fma_f64 v[108:109], v[130:131], v[132:133], v[108:109]
	v_fma_f64 v[23:24], v[124:125], v[132:133], v[23:24]
	v_fma_f64 v[104:105], v[126:127], v[132:133], v[104:105]
	v_fma_f64 v[102:103], v[120:121], v[132:133], v[102:103]
	v_fma_f64 v[100:101], v[122:123], v[132:133], v[100:101]
	v_fma_f64 v[106:107], v[116:117], v[132:133], v[106:107]
	v_fma_f64 v[112:113], v[118:119], v[132:133], v[112:113]
	v_fma_f64 v[130:131], -v[130:131], v[134:135], v[110:111]
	v_fma_f64 v[128:129], v[128:129], v[134:135], v[108:109]
	v_fma_f64 v[23:24], -v[126:127], v[134:135], v[23:24]
	v_fma_f64 v[124:125], v[124:125], v[134:135], v[104:105]
	v_fma_f64 v[122:123], -v[122:123], v[134:135], v[102:103]
	v_fma_f64 v[120:121], v[120:121], v[134:135], v[100:101]
	v_fma_f64 v[126:127], -v[118:119], v[134:135], v[106:107]
	v_fma_f64 v[132:133], v[116:117], v[134:135], v[112:113]
	s_clause 0x3
	global_load_b128 v[100:103], v[30:31], off offset:8304
	global_load_b128 v[104:107], v[30:31], off offset:8288
	global_load_b128 v[108:111], v[30:31], off offset:8272
	global_load_b128 v[112:115], v[30:31], off offset:8256
	global_load_b128 v[116:119], v[136:137], off offset:16
	s_wait_loadcnt 0x14
	v_fma_f64 v[130:131], v[32:33], v[36:37], v[130:131]
	v_fma_f64 v[128:129], v[34:35], v[36:37], v[128:129]
	v_fma_f64 v[23:24], v[19:20], v[36:37], v[23:24]
	v_fma_f64 v[124:125], v[21:22], v[36:37], v[124:125]
	v_fma_f64 v[122:123], v[15:16], v[36:37], v[122:123]
	v_fma_f64 v[120:121], v[17:18], v[36:37], v[120:121]
	v_fma_f64 v[126:127], v[11:12], v[36:37], v[126:127]
	v_fma_f64 v[36:37], v[13:14], v[36:37], v[132:133]
	v_fma_f64 v[130:131], -v[34:35], v[38:39], v[130:131]
	v_fma_f64 v[128:129], v[32:33], v[38:39], v[128:129]
	v_fma_f64 v[23:24], -v[21:22], v[38:39], v[23:24]
	v_fma_f64 v[124:125], v[19:20], v[38:39], v[124:125]
	v_fma_f64 v[122:123], -v[17:18], v[38:39], v[122:123]
	v_fma_f64 v[120:121], v[15:16], v[38:39], v[120:121]
	v_fma_f64 v[126:127], -v[13:14], v[38:39], v[126:127]
	v_fma_f64 v[132:133], v[11:12], v[38:39], v[36:37]
	s_clause 0x3
	global_load_b128 v[11:14], v[30:31], off offset:8368
	global_load_b128 v[15:18], v[30:31], off offset:8352
	global_load_b128 v[19:22], v[30:31], off offset:8336
	global_load_b128 v[32:35], v[30:31], off offset:8320
	global_load_b128 v[36:39], v[136:137], off offset:32
	;; [unrolled: 23-line block ×3, first 2 shown]
	s_wait_loadcnt 0x14
	v_fma_f64 v[136:137], v[72:73], v[76:77], v[130:131]
	v_fma_f64 v[138:139], v[74:75], v[76:77], v[128:129]
	;; [unrolled: 1-line block ×8, first 2 shown]
	s_clause 0x3
	global_load_b128 v[120:123], v[30:31], off offset:12336
	global_load_b128 v[124:127], v[30:31], off offset:12320
	;; [unrolled: 1-line block ×4, first 2 shown]
	v_fma_f64 v[74:75], -v[74:75], v[78:79], v[136:137]
	v_fma_f64 v[72:73], v[72:73], v[78:79], v[138:139]
	v_fma_f64 v[23:24], -v[70:71], v[78:79], v[23:24]
	v_fma_f64 v[68:69], v[68:69], v[78:79], v[140:141]
	;; [unrolled: 2-line block ×4, first 2 shown]
	v_lshlrev_b64_e32 v[60:61], 4, v[148:149]
	s_delay_alu instid0(VALU_DEP_1) | instskip(SKIP_1) | instid1(VALU_DEP_2)
	v_add_co_u32 v140, vcc_lo, s4, v60
	s_wait_alu 0xfffd
	v_add_co_ci_u32_e64 v141, null, s5, v61, vcc_lo
	s_clause 0x1
	global_load_b128 v[60:63], v[140:141], off
	global_load_b128 v[64:67], v[140:141], off offset:16
	v_add_co_u32 v26, vcc_lo, v26, 64
	s_wait_alu 0xfffd
	v_add_co_ci_u32_e64 v27, null, 0, v27, vcc_lo
	s_wait_loadcnt 0x15
	v_fma_f64 v[74:75], v[92:93], v[96:97], v[74:75]
	v_fma_f64 v[72:73], v[94:95], v[96:97], v[72:73]
	;; [unrolled: 1-line block ×8, first 2 shown]
	v_fma_f64 v[94:95], -v[94:95], v[98:99], v[74:75]
	v_fma_f64 v[92:93], v[92:93], v[98:99], v[72:73]
	v_fma_f64 v[23:24], -v[90:91], v[98:99], v[23:24]
	v_fma_f64 v[88:89], v[88:89], v[98:99], v[68:69]
	;; [unrolled: 2-line block ×4, first 2 shown]
	s_clause 0x3
	global_load_b128 v[68:71], v[30:31], off offset:12352
	global_load_b128 v[72:75], v[30:31], off offset:12368
	;; [unrolled: 1-line block ×4, first 2 shown]
	s_wait_loadcnt 0x14
	v_fma_f64 v[94:95], v[112:113], v[116:117], v[94:95]
	v_fma_f64 v[92:93], v[114:115], v[116:117], v[92:93]
	;; [unrolled: 1-line block ×8, first 2 shown]
	v_fma_f64 v[114:115], -v[114:115], v[118:119], v[94:95]
	v_fma_f64 v[112:113], v[112:113], v[118:119], v[92:93]
	v_fma_f64 v[23:24], -v[110:111], v[118:119], v[23:24]
	v_fma_f64 v[108:109], v[108:109], v[118:119], v[88:89]
	;; [unrolled: 2-line block ×4, first 2 shown]
	s_clause 0x3
	global_load_b128 v[84:87], v[30:31], off offset:12464
	global_load_b128 v[88:91], v[30:31], off offset:12448
	;; [unrolled: 1-line block ×4, first 2 shown]
	s_clause 0x1
	global_load_b128 v[100:103], v[140:141], off offset:32
	global_load_b128 v[104:107], v[140:141], off offset:48
	s_wait_loadcnt 0x15
	v_fma_f64 v[114:115], v[32:33], v[36:37], v[114:115]
	v_fma_f64 v[112:113], v[34:35], v[36:37], v[112:113]
	;; [unrolled: 1-line block ×8, first 2 shown]
	v_fma_f64 v[34:35], -v[34:35], v[38:39], v[114:115]
	v_fma_f64 v[32:33], v[32:33], v[38:39], v[112:113]
	v_fma_f64 v[23:24], -v[21:22], v[38:39], v[23:24]
	v_fma_f64 v[112:113], v[19:20], v[38:39], v[108:109]
	;; [unrolled: 2-line block ×4, first 2 shown]
	s_clause 0x3
	global_load_b128 v[11:14], v[30:31], off offset:12480
	global_load_b128 v[15:18], v[30:31], off offset:12496
	;; [unrolled: 1-line block ×4, first 2 shown]
	v_add_co_u32 v30, vcc_lo, 0x4000, v30
	s_wait_alu 0xfffd
	v_add_co_ci_u32_e64 v31, null, 0, v31, vcc_lo
	v_cmp_ge_i64_e32 vcc_lo, v[26:27], v[28:29]
	s_wait_alu 0xfffe
	s_or_b32 s7, vcc_lo, s7
	s_wait_loadcnt 0x14
	v_fma_f64 v[34:35], v[52:53], v[56:57], v[34:35]
	v_fma_f64 v[32:33], v[54:55], v[56:57], v[32:33]
	;; [unrolled: 1-line block ×8, first 2 shown]
	v_fma_f64 v[34:35], -v[54:55], v[58:59], v[34:35]
	v_fma_f64 v[32:33], v[52:53], v[58:59], v[32:33]
	v_fma_f64 v[23:24], -v[50:51], v[58:59], v[23:24]
	v_fma_f64 v[38:39], v[48:49], v[58:59], v[38:39]
	;; [unrolled: 2-line block ×4, first 2 shown]
	s_wait_loadcnt 0xf
	v_fma_f64 v[34:35], v[132:133], v[60:61], v[34:35]
	v_fma_f64 v[32:33], v[134:135], v[60:61], v[32:33]
	;; [unrolled: 1-line block ×8, first 2 shown]
	v_fma_f64 v[34:35], -v[134:135], v[62:63], v[34:35]
	v_fma_f64 v[32:33], v[132:133], v[62:63], v[32:33]
	v_fma_f64 v[23:24], -v[130:131], v[62:63], v[23:24]
	v_fma_f64 v[38:39], v[128:129], v[62:63], v[38:39]
	;; [unrolled: 2-line block ×4, first 2 shown]
	s_wait_loadcnt 0xd
	v_fma_f64 v[34:35], v[68:69], v[64:65], v[34:35]
	v_fma_f64 v[32:33], v[70:71], v[64:65], v[32:33]
	s_wait_loadcnt 0xc
	v_fma_f64 v[23:24], v[72:73], v[64:65], v[23:24]
	v_fma_f64 v[38:39], v[74:75], v[64:65], v[38:39]
	;; [unrolled: 3-line block ×4, first 2 shown]
	v_fma_f64 v[34:35], -v[70:71], v[66:67], v[34:35]
	v_fma_f64 v[32:33], v[68:69], v[66:67], v[32:33]
	v_fma_f64 v[23:24], -v[74:75], v[66:67], v[23:24]
	v_fma_f64 v[38:39], v[72:73], v[66:67], v[38:39]
	;; [unrolled: 2-line block ×4, first 2 shown]
	s_wait_loadcnt 0x5
	v_fma_f64 v[34:35], v[96:97], v[100:101], v[34:35]
	v_fma_f64 v[32:33], v[98:99], v[100:101], v[32:33]
	;; [unrolled: 1-line block ×8, first 2 shown]
	v_fma_f64 v[34:35], -v[98:99], v[102:103], v[34:35]
	v_fma_f64 v[32:33], v[96:97], v[102:103], v[32:33]
	v_fma_f64 v[23:24], -v[94:95], v[102:103], v[23:24]
	v_fma_f64 v[38:39], v[92:93], v[102:103], v[38:39]
	;; [unrolled: 2-line block ×4, first 2 shown]
	s_wait_loadcnt 0x3
	v_fma_f64 v[34:35], v[11:12], v[104:105], v[34:35]
	v_fma_f64 v[32:33], v[13:14], v[104:105], v[32:33]
	s_wait_loadcnt 0x2
	v_fma_f64 v[23:24], v[15:16], v[104:105], v[23:24]
	v_fma_f64 v[38:39], v[17:18], v[104:105], v[38:39]
	;; [unrolled: 3-line block ×4, first 2 shown]
	v_fma_f64 v[40:41], -v[13:14], v[106:107], v[34:35]
	v_fma_f64 v[34:35], v[11:12], v[106:107], v[32:33]
	v_fma_f64 v[46:47], -v[17:18], v[106:107], v[23:24]
	v_fma_f64 v[38:39], v[15:16], v[106:107], v[38:39]
	;; [unrolled: 2-line block ×4, first 2 shown]
	s_wait_alu 0xfffe
	s_and_not1_b32 exec_lo, exec_lo, s7
	s_cbranch_execnz .LBB37_31
; %bb.32:
	s_or_b32 exec_lo, exec_lo, s7
.LBB37_33:
	s_wait_alu 0xfffe
	s_or_b32 exec_lo, exec_lo, s6
.LBB37_34:
	s_wait_alu 0xfffe
	s_or_b32 exec_lo, exec_lo, s3
.LBB37_35:
	v_mbcnt_lo_u32_b32 v48, -1, 0
	s_delay_alu instid0(VALU_DEP_1) | instskip(SKIP_1) | instid1(VALU_DEP_2)
	v_xor_b32_e32 v9, 8, v48
	v_xor_b32_e32 v26, 4, v48
	v_cmp_gt_i32_e32 vcc_lo, 32, v9
	s_wait_alu 0xfffd
	v_cndmask_b32_e32 v9, v48, v9, vcc_lo
	s_delay_alu instid0(VALU_DEP_3) | instskip(NEXT) | instid1(VALU_DEP_2)
	v_cmp_gt_i32_e32 vcc_lo, 32, v26
	v_lshlrev_b32_e32 v24, 2, v9
	s_wait_alu 0xfffd
	v_cndmask_b32_e32 v26, v48, v26, vcc_lo
	ds_bpermute_b32 v9, v24, v40
	ds_bpermute_b32 v10, v24, v41
	;; [unrolled: 1-line block ×16, first 2 shown]
	s_wait_dscnt 0xe
	v_add_f64_e32 v[9:10], v[40:41], v[9:10]
	v_lshlrev_b32_e32 v41, 2, v26
	s_wait_dscnt 0xc
	v_add_f64_e32 v[11:12], v[34:35], v[11:12]
	s_wait_dscnt 0xa
	v_add_f64_e32 v[13:14], v[46:47], v[13:14]
	;; [unrolled: 2-line block ×7, first 2 shown]
	ds_bpermute_b32 v26, v41, v9
	ds_bpermute_b32 v27, v41, v10
	;; [unrolled: 1-line block ×16, first 2 shown]
	s_wait_dscnt 0xe
	v_add_f64_e32 v[9:10], v[9:10], v[26:27]
	s_wait_dscnt 0xc
	v_add_f64_e32 v[11:12], v[11:12], v[28:29]
	;; [unrolled: 2-line block ×8, first 2 shown]
	v_xor_b32_e32 v23, 2, v48
	s_delay_alu instid0(VALU_DEP_1) | instskip(SKIP_2) | instid1(VALU_DEP_1)
	v_cmp_gt_i32_e32 vcc_lo, 32, v23
	s_wait_alu 0xfffd
	v_cndmask_b32_e32 v23, v48, v23, vcc_lo
	v_lshlrev_b32_e32 v41, 2, v23
	ds_bpermute_b32 v23, v41, v9
	ds_bpermute_b32 v24, v41, v10
	;; [unrolled: 1-line block ×16, first 2 shown]
	s_wait_dscnt 0xe
	v_add_f64_e32 v[9:10], v[9:10], v[23:24]
	s_wait_dscnt 0xc
	v_add_f64_e32 v[28:29], v[11:12], v[28:29]
	;; [unrolled: 2-line block ×7, first 2 shown]
	v_xor_b32_e32 v21, 1, v48
	s_wait_dscnt 0x0
	v_add_f64_e32 v[17:18], v[26:27], v[40:41]
	s_delay_alu instid0(VALU_DEP_2) | instskip(SKIP_3) | instid1(VALU_DEP_2)
	v_cmp_gt_i32_e32 vcc_lo, 32, v21
	s_wait_alu 0xfffd
	v_cndmask_b32_e32 v21, v48, v21, vcc_lo
	v_cmp_eq_u32_e32 vcc_lo, 15, v0
	v_lshlrev_b32_e32 v35, 2, v21
	ds_bpermute_b32 v21, v35, v9
	ds_bpermute_b32 v22, v35, v10
	;; [unrolled: 1-line block ×16, first 2 shown]
	s_and_b32 exec_lo, exec_lo, vcc_lo
	s_cbranch_execz .LBB37_8
; %bb.36:
	s_wait_dscnt 0xc
	v_add_f64_e32 v[28:29], v[28:29], v[40:41]
	s_wait_dscnt 0x8
	v_add_f64_e32 v[23:24], v[23:24], v[38:39]
	;; [unrolled: 2-line block ×4, first 2 shown]
	v_add_f64_e32 v[9:10], v[9:10], v[21:22]
	v_add_f64_e32 v[11:12], v[11:12], v[26:27]
	;; [unrolled: 1-line block ×4, first 2 shown]
	v_cmp_eq_f64_e32 vcc_lo, 0, v[1:2]
	v_cmp_eq_f64_e64 s2, 0, v[3:4]
	s_load_b64 s[0:1], s[0:1], 0x60
	v_mul_f64_e64 v[13:14], v[28:29], -v[7:8]
	v_mul_f64_e32 v[15:16], v[5:6], v[28:29]
	v_mul_f64_e64 v[28:29], v[23:24], -v[7:8]
	v_mul_f64_e32 v[23:24], v[5:6], v[23:24]
	v_mul_f64_e64 v[30:31], v[19:20], -v[7:8]
	v_mul_f64_e32 v[32:33], v[5:6], v[19:20]
	v_mul_f64_e64 v[34:35], v[17:18], -v[7:8]
	v_mul_f64_e32 v[36:37], v[5:6], v[17:18]
	s_and_b32 s2, vcc_lo, s2
	v_fma_f64 v[17:18], v[5:6], v[9:10], v[13:14]
	v_fma_f64 v[19:20], v[7:8], v[9:10], v[15:16]
	;; [unrolled: 1-line block ×8, first 2 shown]
	v_lshlrev_b32_e32 v21, 2, v25
	s_wait_alu 0xfffe
	s_and_saveexec_b32 s3, s2
	s_wait_alu 0xfffe
	s_xor_b32 s2, exec_lo, s3
	s_cbranch_execz .LBB37_38
; %bb.37:
	v_ashrrev_i32_e32 v22, 31, v21
	s_delay_alu instid0(VALU_DEP_1) | instskip(SKIP_1) | instid1(VALU_DEP_1)
	v_lshlrev_b64_e32 v[0:1], 4, v[21:22]
                                        ; implicit-def: $vgpr21
	s_wait_kmcnt 0x0
	v_add_co_u32 v0, vcc_lo, s0, v0
	s_wait_alu 0xfffd
	s_delay_alu instid0(VALU_DEP_2)
	v_add_co_ci_u32_e64 v1, null, s1, v1, vcc_lo
	s_clause 0x3
	global_store_b128 v[0:1], v[17:20], off
	global_store_b128 v[0:1], v[13:16], off offset:16
	global_store_b128 v[0:1], v[9:12], off offset:32
	;; [unrolled: 1-line block ×3, first 2 shown]
                                        ; implicit-def: $vgpr3_vgpr4
                                        ; implicit-def: $vgpr17_vgpr18
                                        ; implicit-def: $vgpr13_vgpr14
                                        ; implicit-def: $vgpr9_vgpr10
                                        ; implicit-def: $vgpr5_vgpr6
.LBB37_38:
	s_wait_alu 0xfffe
	s_and_not1_saveexec_b32 s2, s2
	s_cbranch_execz .LBB37_8
; %bb.39:
	v_ashrrev_i32_e32 v22, 31, v21
	s_delay_alu instid0(VALU_DEP_1) | instskip(SKIP_1) | instid1(VALU_DEP_1)
	v_lshlrev_b64_e32 v[21:22], 4, v[21:22]
	s_wait_kmcnt 0x0
	v_add_co_u32 v37, vcc_lo, s0, v21
	s_wait_alu 0xfffd
	s_delay_alu instid0(VALU_DEP_2)
	v_add_co_ci_u32_e64 v38, null, s1, v22, vcc_lo
	s_clause 0x3
	global_load_b128 v[21:24], v[37:38], off
	global_load_b128 v[25:28], v[37:38], off offset:16
	global_load_b128 v[29:32], v[37:38], off offset:32
	;; [unrolled: 1-line block ×3, first 2 shown]
	s_wait_loadcnt 0x3
	v_fma_f64 v[17:18], v[1:2], v[21:22], v[17:18]
	v_fma_f64 v[19:20], v[3:4], v[21:22], v[19:20]
	s_wait_loadcnt 0x2
	v_fma_f64 v[13:14], v[1:2], v[25:26], v[13:14]
	v_fma_f64 v[15:16], v[3:4], v[25:26], v[15:16]
	;; [unrolled: 3-line block ×4, first 2 shown]
	v_fma_f64 v[5:6], -v[3:4], v[23:24], v[17:18]
	v_fma_f64 v[7:8], v[1:2], v[23:24], v[19:20]
	v_fma_f64 v[9:10], -v[3:4], v[27:28], v[13:14]
	v_fma_f64 v[11:12], v[1:2], v[27:28], v[15:16]
	;; [unrolled: 2-line block ×4, first 2 shown]
	s_clause 0x3
	global_store_b128 v[37:38], v[5:8], off
	global_store_b128 v[37:38], v[9:12], off offset:16
	global_store_b128 v[37:38], v[13:16], off offset:32
	;; [unrolled: 1-line block ×3, first 2 shown]
	s_nop 0
	s_sendmsg sendmsg(MSG_DEALLOC_VGPRS)
	s_endpgm
	.section	.rodata,"a",@progbits
	.p2align	6, 0x0
	.amdhsa_kernel _ZN9rocsparseL18bsrxmvn_4x4_kernelILj128ELj16E21rocsparse_complex_numIdEliS2_S2_S2_EEvT3_20rocsparse_direction_NS_24const_host_device_scalarIT1_EES3_PKS3_PKT2_SC_S9_PKT4_PKT5_S7_PT6_21rocsparse_index_base_b
		.amdhsa_group_segment_fixed_size 0
		.amdhsa_private_segment_fixed_size 0
		.amdhsa_kernarg_size 112
		.amdhsa_user_sgpr_count 2
		.amdhsa_user_sgpr_dispatch_ptr 0
		.amdhsa_user_sgpr_queue_ptr 0
		.amdhsa_user_sgpr_kernarg_segment_ptr 1
		.amdhsa_user_sgpr_dispatch_id 0
		.amdhsa_user_sgpr_private_segment_size 0
		.amdhsa_wavefront_size32 1
		.amdhsa_uses_dynamic_stack 0
		.amdhsa_enable_private_segment 0
		.amdhsa_system_sgpr_workgroup_id_x 1
		.amdhsa_system_sgpr_workgroup_id_y 0
		.amdhsa_system_sgpr_workgroup_id_z 0
		.amdhsa_system_sgpr_workgroup_info 0
		.amdhsa_system_vgpr_workitem_id 0
		.amdhsa_next_free_vgpr 157
		.amdhsa_next_free_sgpr 14
		.amdhsa_reserve_vcc 1
		.amdhsa_float_round_mode_32 0
		.amdhsa_float_round_mode_16_64 0
		.amdhsa_float_denorm_mode_32 3
		.amdhsa_float_denorm_mode_16_64 3
		.amdhsa_fp16_overflow 0
		.amdhsa_workgroup_processor_mode 1
		.amdhsa_memory_ordered 1
		.amdhsa_forward_progress 1
		.amdhsa_inst_pref_size 96
		.amdhsa_round_robin_scheduling 0
		.amdhsa_exception_fp_ieee_invalid_op 0
		.amdhsa_exception_fp_denorm_src 0
		.amdhsa_exception_fp_ieee_div_zero 0
		.amdhsa_exception_fp_ieee_overflow 0
		.amdhsa_exception_fp_ieee_underflow 0
		.amdhsa_exception_fp_ieee_inexact 0
		.amdhsa_exception_int_div_zero 0
	.end_amdhsa_kernel
	.section	.text._ZN9rocsparseL18bsrxmvn_4x4_kernelILj128ELj16E21rocsparse_complex_numIdEliS2_S2_S2_EEvT3_20rocsparse_direction_NS_24const_host_device_scalarIT1_EES3_PKS3_PKT2_SC_S9_PKT4_PKT5_S7_PT6_21rocsparse_index_base_b,"axG",@progbits,_ZN9rocsparseL18bsrxmvn_4x4_kernelILj128ELj16E21rocsparse_complex_numIdEliS2_S2_S2_EEvT3_20rocsparse_direction_NS_24const_host_device_scalarIT1_EES3_PKS3_PKT2_SC_S9_PKT4_PKT5_S7_PT6_21rocsparse_index_base_b,comdat
.Lfunc_end37:
	.size	_ZN9rocsparseL18bsrxmvn_4x4_kernelILj128ELj16E21rocsparse_complex_numIdEliS2_S2_S2_EEvT3_20rocsparse_direction_NS_24const_host_device_scalarIT1_EES3_PKS3_PKT2_SC_S9_PKT4_PKT5_S7_PT6_21rocsparse_index_base_b, .Lfunc_end37-_ZN9rocsparseL18bsrxmvn_4x4_kernelILj128ELj16E21rocsparse_complex_numIdEliS2_S2_S2_EEvT3_20rocsparse_direction_NS_24const_host_device_scalarIT1_EES3_PKS3_PKT2_SC_S9_PKT4_PKT5_S7_PT6_21rocsparse_index_base_b
                                        ; -- End function
	.set _ZN9rocsparseL18bsrxmvn_4x4_kernelILj128ELj16E21rocsparse_complex_numIdEliS2_S2_S2_EEvT3_20rocsparse_direction_NS_24const_host_device_scalarIT1_EES3_PKS3_PKT2_SC_S9_PKT4_PKT5_S7_PT6_21rocsparse_index_base_b.num_vgpr, 157
	.set _ZN9rocsparseL18bsrxmvn_4x4_kernelILj128ELj16E21rocsparse_complex_numIdEliS2_S2_S2_EEvT3_20rocsparse_direction_NS_24const_host_device_scalarIT1_EES3_PKS3_PKT2_SC_S9_PKT4_PKT5_S7_PT6_21rocsparse_index_base_b.num_agpr, 0
	.set _ZN9rocsparseL18bsrxmvn_4x4_kernelILj128ELj16E21rocsparse_complex_numIdEliS2_S2_S2_EEvT3_20rocsparse_direction_NS_24const_host_device_scalarIT1_EES3_PKS3_PKT2_SC_S9_PKT4_PKT5_S7_PT6_21rocsparse_index_base_b.numbered_sgpr, 14
	.set _ZN9rocsparseL18bsrxmvn_4x4_kernelILj128ELj16E21rocsparse_complex_numIdEliS2_S2_S2_EEvT3_20rocsparse_direction_NS_24const_host_device_scalarIT1_EES3_PKS3_PKT2_SC_S9_PKT4_PKT5_S7_PT6_21rocsparse_index_base_b.num_named_barrier, 0
	.set _ZN9rocsparseL18bsrxmvn_4x4_kernelILj128ELj16E21rocsparse_complex_numIdEliS2_S2_S2_EEvT3_20rocsparse_direction_NS_24const_host_device_scalarIT1_EES3_PKS3_PKT2_SC_S9_PKT4_PKT5_S7_PT6_21rocsparse_index_base_b.private_seg_size, 0
	.set _ZN9rocsparseL18bsrxmvn_4x4_kernelILj128ELj16E21rocsparse_complex_numIdEliS2_S2_S2_EEvT3_20rocsparse_direction_NS_24const_host_device_scalarIT1_EES3_PKS3_PKT2_SC_S9_PKT4_PKT5_S7_PT6_21rocsparse_index_base_b.uses_vcc, 1
	.set _ZN9rocsparseL18bsrxmvn_4x4_kernelILj128ELj16E21rocsparse_complex_numIdEliS2_S2_S2_EEvT3_20rocsparse_direction_NS_24const_host_device_scalarIT1_EES3_PKS3_PKT2_SC_S9_PKT4_PKT5_S7_PT6_21rocsparse_index_base_b.uses_flat_scratch, 0
	.set _ZN9rocsparseL18bsrxmvn_4x4_kernelILj128ELj16E21rocsparse_complex_numIdEliS2_S2_S2_EEvT3_20rocsparse_direction_NS_24const_host_device_scalarIT1_EES3_PKS3_PKT2_SC_S9_PKT4_PKT5_S7_PT6_21rocsparse_index_base_b.has_dyn_sized_stack, 0
	.set _ZN9rocsparseL18bsrxmvn_4x4_kernelILj128ELj16E21rocsparse_complex_numIdEliS2_S2_S2_EEvT3_20rocsparse_direction_NS_24const_host_device_scalarIT1_EES3_PKS3_PKT2_SC_S9_PKT4_PKT5_S7_PT6_21rocsparse_index_base_b.has_recursion, 0
	.set _ZN9rocsparseL18bsrxmvn_4x4_kernelILj128ELj16E21rocsparse_complex_numIdEliS2_S2_S2_EEvT3_20rocsparse_direction_NS_24const_host_device_scalarIT1_EES3_PKS3_PKT2_SC_S9_PKT4_PKT5_S7_PT6_21rocsparse_index_base_b.has_indirect_call, 0
	.section	.AMDGPU.csdata,"",@progbits
; Kernel info:
; codeLenInByte = 12172
; TotalNumSgprs: 16
; NumVgprs: 157
; ScratchSize: 0
; MemoryBound: 1
; FloatMode: 240
; IeeeMode: 1
; LDSByteSize: 0 bytes/workgroup (compile time only)
; SGPRBlocks: 0
; VGPRBlocks: 19
; NumSGPRsForWavesPerEU: 16
; NumVGPRsForWavesPerEU: 157
; Occupancy: 9
; WaveLimiterHint : 1
; COMPUTE_PGM_RSRC2:SCRATCH_EN: 0
; COMPUTE_PGM_RSRC2:USER_SGPR: 2
; COMPUTE_PGM_RSRC2:TRAP_HANDLER: 0
; COMPUTE_PGM_RSRC2:TGID_X_EN: 1
; COMPUTE_PGM_RSRC2:TGID_Y_EN: 0
; COMPUTE_PGM_RSRC2:TGID_Z_EN: 0
; COMPUTE_PGM_RSRC2:TIDIG_COMP_CNT: 0
	.section	.text._ZN9rocsparseL18bsrxmvn_4x4_kernelILj128ELj32E21rocsparse_complex_numIdEliS2_S2_S2_EEvT3_20rocsparse_direction_NS_24const_host_device_scalarIT1_EES3_PKS3_PKT2_SC_S9_PKT4_PKT5_S7_PT6_21rocsparse_index_base_b,"axG",@progbits,_ZN9rocsparseL18bsrxmvn_4x4_kernelILj128ELj32E21rocsparse_complex_numIdEliS2_S2_S2_EEvT3_20rocsparse_direction_NS_24const_host_device_scalarIT1_EES3_PKS3_PKT2_SC_S9_PKT4_PKT5_S7_PT6_21rocsparse_index_base_b,comdat
	.globl	_ZN9rocsparseL18bsrxmvn_4x4_kernelILj128ELj32E21rocsparse_complex_numIdEliS2_S2_S2_EEvT3_20rocsparse_direction_NS_24const_host_device_scalarIT1_EES3_PKS3_PKT2_SC_S9_PKT4_PKT5_S7_PT6_21rocsparse_index_base_b ; -- Begin function _ZN9rocsparseL18bsrxmvn_4x4_kernelILj128ELj32E21rocsparse_complex_numIdEliS2_S2_S2_EEvT3_20rocsparse_direction_NS_24const_host_device_scalarIT1_EES3_PKS3_PKT2_SC_S9_PKT4_PKT5_S7_PT6_21rocsparse_index_base_b
	.p2align	8
	.type	_ZN9rocsparseL18bsrxmvn_4x4_kernelILj128ELj32E21rocsparse_complex_numIdEliS2_S2_S2_EEvT3_20rocsparse_direction_NS_24const_host_device_scalarIT1_EES3_PKS3_PKT2_SC_S9_PKT4_PKT5_S7_PT6_21rocsparse_index_base_b,@function
_ZN9rocsparseL18bsrxmvn_4x4_kernelILj128ELj32E21rocsparse_complex_numIdEliS2_S2_S2_EEvT3_20rocsparse_direction_NS_24const_host_device_scalarIT1_EES3_PKS3_PKT2_SC_S9_PKT4_PKT5_S7_PT6_21rocsparse_index_base_b: ; @_ZN9rocsparseL18bsrxmvn_4x4_kernelILj128ELj32E21rocsparse_complex_numIdEliS2_S2_S2_EEvT3_20rocsparse_direction_NS_24const_host_device_scalarIT1_EES3_PKS3_PKT2_SC_S9_PKT4_PKT5_S7_PT6_21rocsparse_index_base_b
; %bb.0:
	s_clause 0x1
	s_load_b64 s[12:13], s[0:1], 0x68
	s_load_b64 s[2:3], s[0:1], 0x8
	s_add_nc_u64 s[4:5], s[0:1], 8
	s_load_b64 s[6:7], s[0:1], 0x50
	s_wait_kmcnt 0x0
	s_bitcmp1_b32 s13, 0
	s_cselect_b32 s2, s4, s2
	s_cselect_b32 s3, s5, s3
	s_delay_alu instid0(SALU_CYCLE_1)
	v_dual_mov_b32 v1, s2 :: v_dual_mov_b32 v2, s3
	s_add_nc_u64 s[2:3], s[0:1], 0x50
	s_wait_alu 0xfffe
	s_cselect_b32 s2, s2, s6
	s_cselect_b32 s3, s3, s7
	flat_load_b128 v[5:8], v[1:2]
	s_wait_alu 0xfffe
	v_dual_mov_b32 v1, s2 :: v_dual_mov_b32 v2, s3
	flat_load_b128 v[1:4], v[1:2]
	s_wait_loadcnt_dscnt 0x101
	v_cmp_eq_f64_e32 vcc_lo, 0, v[5:6]
	v_cmp_eq_f64_e64 s2, 0, v[7:8]
	s_and_b32 s4, vcc_lo, s2
	s_mov_b32 s2, -1
	s_and_saveexec_b32 s3, s4
	s_cbranch_execz .LBB38_2
; %bb.1:
	s_wait_loadcnt_dscnt 0x0
	v_cmp_neq_f64_e32 vcc_lo, 1.0, v[1:2]
	v_cmp_neq_f64_e64 s2, 0, v[3:4]
	s_wait_alu 0xfffe
	s_or_b32 s2, vcc_lo, s2
	s_wait_alu 0xfffe
	s_or_not1_b32 s2, s2, exec_lo
.LBB38_2:
	s_wait_alu 0xfffe
	s_or_b32 exec_lo, exec_lo, s3
	s_and_saveexec_b32 s3, s2
	s_cbranch_execz .LBB38_8
; %bb.3:
	s_clause 0x1
	s_load_b64 s[4:5], s[0:1], 0x20
	s_load_b64 s[2:3], s[0:1], 0x0
	v_lshrrev_b32_e32 v9, 5, v0
	s_delay_alu instid0(VALU_DEP_1)
	v_lshl_or_b32 v25, ttmp9, 2, v9
	s_wait_kmcnt 0x0
	s_cmp_lg_u64 s[4:5], 0
	s_cbranch_scc0 .LBB38_9
; %bb.4:
	s_load_b32 s6, s[0:1], 0x18
	s_mov_b32 s7, 0
                                        ; implicit-def: $vgpr9
	s_wait_kmcnt 0x0
	v_cmp_gt_i32_e32 vcc_lo, s6, v25
	s_mov_b32 s6, 0
	s_and_saveexec_b32 s8, vcc_lo
	s_delay_alu instid0(SALU_CYCLE_1)
	s_xor_b32 s8, exec_lo, s8
	s_cbranch_execz .LBB38_6
; %bb.5:
	v_ashrrev_i32_e32 v26, 31, v25
	s_mov_b32 s6, exec_lo
	s_delay_alu instid0(VALU_DEP_1) | instskip(NEXT) | instid1(VALU_DEP_1)
	v_lshlrev_b64_e32 v[9:10], 2, v[25:26]
	v_add_co_u32 v9, vcc_lo, s4, v9
	s_delay_alu instid0(VALU_DEP_1)
	v_add_co_ci_u32_e64 v10, null, s5, v10, vcc_lo
	global_load_b32 v9, v[9:10], off
	s_wait_loadcnt 0x0
	v_subrev_nc_u32_e32 v9, s12, v9
.LBB38_6:
	s_or_b32 exec_lo, exec_lo, s8
	s_delay_alu instid0(SALU_CYCLE_1)
	s_and_b32 vcc_lo, exec_lo, s7
	s_wait_alu 0xfffe
	s_cbranch_vccz .LBB38_10
.LBB38_7:
	v_cmp_gt_i32_e32 vcc_lo, s2, v25
	s_and_not1_b32 s2, s6, exec_lo
	s_and_b32 s4, vcc_lo, exec_lo
	s_wait_alu 0xfffe
	s_or_b32 s6, s2, s4
	s_wait_alu 0xfffe
	s_and_b32 exec_lo, exec_lo, s6
	s_cbranch_execnz .LBB38_11
.LBB38_8:
	s_nop 0
	s_sendmsg sendmsg(MSG_DEALLOC_VGPRS)
	s_endpgm
.LBB38_9:
	s_mov_b32 s6, 0
                                        ; implicit-def: $vgpr9
	s_cbranch_execnz .LBB38_7
.LBB38_10:
	v_mov_b32_e32 v25, v9
	s_and_b32 exec_lo, exec_lo, s6
	s_cbranch_execz .LBB38_8
.LBB38_11:
	s_load_b256 s[4:11], s[0:1], 0x28
	s_delay_alu instid0(VALU_DEP_1) | instskip(SKIP_1) | instid1(VALU_DEP_2)
	v_ashrrev_i32_e32 v26, 31, v25
	v_and_b32_e32 v0, 31, v0
	v_lshlrev_b64_e32 v[9:10], 3, v[25:26]
	s_wait_kmcnt 0x0
	s_delay_alu instid0(VALU_DEP_1) | instskip(SKIP_1) | instid1(VALU_DEP_2)
	v_add_co_u32 v11, vcc_lo, s4, v9
	s_wait_alu 0xfffd
	v_add_co_ci_u32_e64 v12, null, s5, v10, vcc_lo
	v_add_co_u32 v9, vcc_lo, s6, v9
	s_wait_alu 0xfffd
	v_add_co_ci_u32_e64 v10, null, s7, v10, vcc_lo
	v_add_co_u32 v13, vcc_lo, v11, 8
	s_wait_alu 0xfffd
	v_add_co_ci_u32_e64 v14, null, 0, v12, vcc_lo
	global_load_b64 v[48:49], v[11:12], off
	s_cmp_eq_u64 s[6:7], 0
	s_load_b64 s[4:5], s[0:1], 0x48
	s_cselect_b32 vcc_lo, -1, 0
	s_cmp_eq_u32 s3, 1
	s_wait_alu 0xfffe
	v_dual_cndmask_b32 v10, v10, v14 :: v_dual_cndmask_b32 v9, v9, v13
	global_load_b64 v[9:10], v[9:10], off
	s_wait_loadcnt 0x1
	v_sub_co_u32 v11, vcc_lo, v48, s12
	s_wait_alu 0xfffd
	v_subrev_co_ci_u32_e64 v12, null, 0, v49, vcc_lo
	s_delay_alu instid0(VALU_DEP_2) | instskip(SKIP_1) | instid1(VALU_DEP_2)
	v_add_co_u32 v26, vcc_lo, v11, v0
	s_wait_alu 0xfffd
	v_add_co_ci_u32_e64 v27, null, 0, v12, vcc_lo
	s_wait_loadcnt 0x0
	v_sub_co_u32 v28, vcc_lo, v9, s12
	s_wait_alu 0xfffd
	v_subrev_co_ci_u32_e64 v29, null, 0, v10, vcc_lo
	v_lshlrev_b64_e32 v[9:10], 8, v[26:27]
	s_delay_alu instid0(VALU_DEP_2) | instskip(NEXT) | instid1(VALU_DEP_2)
	v_cmp_lt_i64_e64 s2, v[26:27], v[28:29]
	v_add_co_u32 v30, vcc_lo, s10, v9
	s_wait_alu 0xfffd
	s_delay_alu instid0(VALU_DEP_3)
	v_add_co_ci_u32_e64 v31, null, s11, v10, vcc_lo
	s_cbranch_scc1 .LBB38_23
; %bb.12:
	v_mov_b32_e32 v34, 0
	v_mov_b32_e32 v32, 0
	v_mov_b32_e32 v44, 0
	v_dual_mov_b32 v46, 0 :: v_dual_mov_b32 v35, 0
	v_dual_mov_b32 v40, 0 :: v_dual_mov_b32 v33, 0
	;; [unrolled: 1-line block ×5, first 2 shown]
	v_mov_b32_e32 v37, 0
	v_mov_b32_e32 v43, 0
	;; [unrolled: 1-line block ×3, first 2 shown]
	s_and_saveexec_b32 s6, s2
	s_cbranch_execz .LBB38_22
; %bb.13:
	v_or_b32_e32 v9, 32, v0
	v_not_b32_e32 v13, v48
	v_not_b32_e32 v11, v49
	v_mov_b32_e32 v36, 0
	v_mov_b32_e32 v40, 0
	v_sub_co_u32 v9, s3, v9, s12
	s_wait_alu 0xf1ff
	v_sub_co_ci_u32_e64 v10, null, 0, 0, s3
	v_sub_co_u32 v14, s3, s12, v0
	s_delay_alu instid0(VALU_DEP_3) | instskip(SKIP_1) | instid1(VALU_DEP_3)
	v_add_co_u32 v9, vcc_lo, v9, v48
	s_wait_alu 0xfffd
	v_add_co_ci_u32_e64 v10, null, v10, v49, vcc_lo
	s_wait_alu 0xf1ff
	v_sub_co_ci_u32_e64 v15, null, 0, 0, s3
	v_add_co_u32 v13, s3, v14, v13
	s_delay_alu instid0(VALU_DEP_3)
	v_cmp_gt_i64_e32 vcc_lo, v[9:10], v[28:29]
	v_mov_b32_e32 v38, 0
	s_wait_alu 0xf1ff
	v_add_co_ci_u32_e64 v11, null, v15, v11, s3
	v_mov_b32_e32 v46, 0
	s_wait_alu 0xfffd
	v_dual_mov_b32 v42, 0 :: v_dual_cndmask_b32 v9, v28, v9
	v_dual_cndmask_b32 v10, v29, v10 :: v_dual_mov_b32 v47, 0
	v_dual_mov_b32 v37, 0 :: v_dual_mov_b32 v32, 0
	s_delay_alu instid0(VALU_DEP_3)
	v_add_co_u32 v9, vcc_lo, v13, v9
	v_dual_mov_b32 v44, 0 :: v_dual_mov_b32 v41, 0
	v_mov_b32_e32 v34, 0
	v_dual_mov_b32 v12, 0 :: v_dual_mov_b32 v39, 0
	v_mov_b32_e32 v43, 0
	v_mov_b32_e32 v45, 0
	s_wait_alu 0xfffd
	v_add_co_ci_u32_e64 v10, null, v11, v10, vcc_lo
	v_and_b32_e32 v11, 0x60, v9
	v_mov_b32_e32 v33, 0
	v_mov_b32_e32 v35, 0
	v_dual_mov_b32 v53, v31 :: v_dual_mov_b32 v52, v30
	v_dual_mov_b32 v51, v27 :: v_dual_mov_b32 v50, v26
	s_mov_b32 s7, exec_lo
	v_cmpx_ne_u64_e32 0x60, v[11:12]
	s_cbranch_execz .LBB38_17
; %bb.14:
	v_lshrrev_b32_e32 v13, 5, v9
	v_lshlrev_b64_e32 v[11:12], 2, v[26:27]
	v_dual_mov_b32 v51, v27 :: v_dual_mov_b32 v40, 0
	v_dual_mov_b32 v41, 0 :: v_dual_mov_b32 v32, 0
	s_delay_alu instid0(VALU_DEP_4) | instskip(SKIP_2) | instid1(VALU_DEP_3)
	v_dual_mov_b32 v34, 0 :: v_dual_add_nc_u32 v13, 1, v13
	v_dual_mov_b32 v33, 0 :: v_dual_mov_b32 v36, 0
	v_add_co_u32 v11, vcc_lo, s8, v11
	v_dual_mov_b32 v44, 0 :: v_dual_and_b32 v13, 3, v13
	v_dual_mov_b32 v37, 0 :: v_dual_mov_b32 v42, 0
	v_dual_mov_b32 v45, 0 :: v_dual_mov_b32 v46, 0
	s_delay_alu instid0(VALU_DEP_3)
	v_sub_co_u32 v13, s3, 0, v13
	v_dual_mov_b32 v43, 0 :: v_dual_mov_b32 v38, 0
	v_mov_b32_e32 v53, v31
	v_dual_mov_b32 v35, 0 :: v_dual_mov_b32 v50, v26
	s_wait_alu 0xfffd
	v_add_co_ci_u32_e64 v12, null, s9, v12, vcc_lo
	s_wait_alu 0xf1ff
	v_sub_co_ci_u32_e64 v14, null, 0, 0, s3
	v_dual_mov_b32 v47, 0 :: v_dual_mov_b32 v52, v30
	v_mov_b32_e32 v39, 0
	s_mov_b32 s10, 0
.LBB38_15:                              ; =>This Inner Loop Header: Depth=1
	global_load_b32 v23, v[11:12], off
	s_clause 0x7
	global_load_b128 v[15:18], v[52:53], off offset:16
	global_load_b128 v[19:22], v[52:53], off
	global_load_b128 v[54:57], v[52:53], off offset:80
	global_load_b128 v[58:61], v[52:53], off offset:64
	;; [unrolled: 1-line block ×6, first 2 shown]
	v_add_co_u32 v11, s3, 0x80, v11
	s_wait_alu 0xf1ff
	v_add_co_ci_u32_e64 v12, null, 0, v12, s3
	s_wait_loadcnt 0x8
	v_subrev_nc_u32_e32 v23, s12, v23
	s_delay_alu instid0(VALU_DEP_1) | instskip(NEXT) | instid1(VALU_DEP_1)
	v_lshlrev_b32_e32 v23, 2, v23
	v_ashrrev_i32_e32 v24, 31, v23
	s_delay_alu instid0(VALU_DEP_1) | instskip(SKIP_1) | instid1(VALU_DEP_1)
	v_lshlrev_b64_e32 v[23:24], 4, v[23:24]
	s_wait_kmcnt 0x0
	v_add_co_u32 v23, vcc_lo, s4, v23
	s_wait_alu 0xfffd
	s_delay_alu instid0(VALU_DEP_2)
	v_add_co_ci_u32_e64 v24, null, s5, v24, vcc_lo
	s_clause 0x1
	global_load_b128 v[78:81], v[23:24], off
	global_load_b128 v[82:85], v[23:24], off offset:16
	s_clause 0x7
	global_load_b128 v[86:89], v[52:53], off offset:48
	global_load_b128 v[90:93], v[52:53], off offset:32
	;; [unrolled: 1-line block ×8, first 2 shown]
	s_clause 0x1
	global_load_b128 v[118:121], v[23:24], off offset:32
	global_load_b128 v[122:125], v[23:24], off offset:48
	v_add_co_u32 v52, vcc_lo, 0x2000, v52
	s_wait_alu 0xfffd
	v_add_co_ci_u32_e64 v53, null, 0, v53, vcc_lo
	v_add_co_u32 v13, vcc_lo, v13, 1
	s_wait_alu 0xfffd
	v_add_co_ci_u32_e64 v14, null, 0, v14, vcc_lo
	;; [unrolled: 3-line block ×3, first 2 shown]
	s_delay_alu instid0(VALU_DEP_3)
	v_cmp_eq_u64_e32 vcc_lo, 0, v[13:14]
	s_wait_alu 0xfffe
	s_or_b32 s10, vcc_lo, s10
	s_wait_loadcnt 0xb
	v_fma_f64 v[23:24], v[19:20], v[78:79], v[40:41]
	v_fma_f64 v[34:35], v[21:22], v[78:79], v[34:35]
	v_fma_f64 v[40:41], v[58:59], v[78:79], v[46:47]
	v_fma_f64 v[38:39], v[60:61], v[78:79], v[38:39]
	v_fma_f64 v[44:45], v[66:67], v[78:79], v[44:45]
	v_fma_f64 v[42:43], v[68:69], v[78:79], v[42:43]
	v_fma_f64 v[32:33], v[74:75], v[78:79], v[32:33]
	v_fma_f64 v[36:37], v[76:77], v[78:79], v[36:37]
	v_fma_f64 v[21:22], -v[21:22], v[80:81], v[23:24]
	v_fma_f64 v[19:20], v[19:20], v[80:81], v[34:35]
	v_fma_f64 v[23:24], -v[60:61], v[80:81], v[40:41]
	v_fma_f64 v[34:35], v[58:59], v[80:81], v[38:39]
	v_fma_f64 v[38:39], -v[68:69], v[80:81], v[44:45]
	v_fma_f64 v[40:41], v[66:67], v[80:81], v[42:43]
	v_fma_f64 v[32:33], -v[76:77], v[80:81], v[32:33]
	v_fma_f64 v[36:37], v[74:75], v[80:81], v[36:37]
	s_wait_loadcnt 0xa
	v_fma_f64 v[21:22], v[15:16], v[82:83], v[21:22]
	v_fma_f64 v[19:20], v[17:18], v[82:83], v[19:20]
	v_fma_f64 v[23:24], v[54:55], v[82:83], v[23:24]
	v_fma_f64 v[34:35], v[56:57], v[82:83], v[34:35]
	v_fma_f64 v[38:39], v[62:63], v[82:83], v[38:39]
	v_fma_f64 v[40:41], v[64:65], v[82:83], v[40:41]
	v_fma_f64 v[32:33], v[70:71], v[82:83], v[32:33]
	v_fma_f64 v[36:37], v[72:73], v[82:83], v[36:37]
	v_fma_f64 v[17:18], -v[17:18], v[84:85], v[21:22]
	v_fma_f64 v[15:16], v[15:16], v[84:85], v[19:20]
	v_fma_f64 v[19:20], -v[56:57], v[84:85], v[23:24]
	v_fma_f64 v[21:22], v[54:55], v[84:85], v[34:35]
	v_fma_f64 v[23:24], -v[64:65], v[84:85], v[38:39]
	v_fma_f64 v[34:35], v[62:63], v[84:85], v[40:41]
	v_fma_f64 v[32:33], -v[72:73], v[84:85], v[32:33]
	v_fma_f64 v[36:37], v[70:71], v[84:85], v[36:37]
	;; [unrolled: 17-line block ×4, first 2 shown]
	s_wait_alu 0xfffe
	s_and_not1_b32 exec_lo, exec_lo, s10
	s_cbranch_execnz .LBB38_15
; %bb.16:
	s_or_b32 exec_lo, exec_lo, s10
.LBB38_17:
	s_wait_alu 0xfffe
	s_or_b32 exec_lo, exec_lo, s7
	s_delay_alu instid0(SALU_CYCLE_1)
	s_mov_b32 s7, exec_lo
	v_cmpx_lt_u64_e32 0x5f, v[9:10]
	s_cbranch_execz .LBB38_21
; %bb.18:
	v_lshlrev_b64_e32 v[9:10], 2, v[50:51]
	s_mov_b32 s10, 0
	s_delay_alu instid0(VALU_DEP_1) | instskip(SKIP_1) | instid1(VALU_DEP_2)
	v_add_co_u32 v9, vcc_lo, s8, v9
	s_wait_alu 0xfffd
	v_add_co_ci_u32_e64 v10, null, s9, v10, vcc_lo
	s_delay_alu instid0(VALU_DEP_2) | instskip(SKIP_1) | instid1(VALU_DEP_2)
	v_add_co_u32 v54, vcc_lo, 0x100, v9
	s_wait_alu 0xfffd
	v_add_co_ci_u32_e64 v55, null, 0, v10, vcc_lo
.LBB38_19:                              ; =>This Inner Loop Header: Depth=1
	s_clause 0x1
	global_load_b32 v56, v[54:55], off offset:-256
	global_load_b32 v57, v[54:55], off offset:-128
	s_clause 0x3
	global_load_b128 v[21:24], v[52:53], off
	global_load_b128 v[17:20], v[52:53], off offset:64
	global_load_b128 v[13:16], v[52:53], off offset:128
	;; [unrolled: 1-line block ×3, first 2 shown]
	s_clause 0x1
	global_load_b32 v154, v[54:55], off
	global_load_b32 v156, v[54:55], off offset:128
	v_add_co_u32 v54, s3, 0x200, v54
	s_wait_alu 0xf1ff
	v_add_co_ci_u32_e64 v55, null, 0, v55, s3
	s_wait_loadcnt 0x7
	v_subrev_nc_u32_e32 v56, s12, v56
	s_delay_alu instid0(VALU_DEP_1)
	v_lshlrev_b32_e32 v58, 2, v56
	s_wait_loadcnt 0x6
	v_subrev_nc_u32_e32 v56, s12, v57
	s_wait_loadcnt 0x1
	v_subrev_nc_u32_e32 v154, s12, v154
	v_ashrrev_i32_e32 v59, 31, v58
	s_delay_alu instid0(VALU_DEP_3) | instskip(NEXT) | instid1(VALU_DEP_3)
	v_lshlrev_b32_e32 v56, 2, v56
	v_lshlrev_b32_e32 v154, 2, v154
	s_delay_alu instid0(VALU_DEP_3) | instskip(NEXT) | instid1(VALU_DEP_3)
	v_lshlrev_b64_e32 v[58:59], 4, v[58:59]
	v_ashrrev_i32_e32 v57, 31, v56
	s_delay_alu instid0(VALU_DEP_3) | instskip(NEXT) | instid1(VALU_DEP_2)
	v_ashrrev_i32_e32 v155, 31, v154
	v_lshlrev_b64_e32 v[56:57], 4, v[56:57]
	s_wait_kmcnt 0x0
	s_delay_alu instid0(VALU_DEP_4)
	v_add_co_u32 v118, vcc_lo, s4, v58
	s_wait_alu 0xfffd
	v_add_co_ci_u32_e64 v119, null, s5, v59, vcc_lo
	global_load_b128 v[58:61], v[118:119], off
	s_clause 0x3
	global_load_b128 v[62:65], v[52:53], off offset:16
	global_load_b128 v[66:69], v[52:53], off offset:80
	global_load_b128 v[70:73], v[52:53], off offset:144
	global_load_b128 v[74:77], v[52:53], off offset:208
	global_load_b128 v[78:81], v[118:119], off offset:16
	s_clause 0x3
	global_load_b128 v[82:85], v[52:53], off offset:32
	global_load_b128 v[86:89], v[52:53], off offset:96
	global_load_b128 v[90:93], v[52:53], off offset:160
	global_load_b128 v[94:97], v[52:53], off offset:224
	global_load_b128 v[98:101], v[118:119], off offset:32
	;; [unrolled: 6-line block ×3, first 2 shown]
	s_clause 0x3
	global_load_b128 v[122:125], v[52:53], off offset:8192
	global_load_b128 v[126:129], v[52:53], off offset:8256
	global_load_b128 v[130:133], v[52:53], off offset:8320
	global_load_b128 v[134:137], v[52:53], off offset:8384
	v_add_co_u32 v142, vcc_lo, s4, v56
	s_wait_alu 0xfffd
	v_add_co_ci_u32_e64 v143, null, s5, v57, vcc_lo
	global_load_b128 v[138:141], v[142:143], off
	s_wait_loadcnt 0x14
	v_fma_f64 v[40:41], v[21:22], v[58:59], v[40:41]
	v_fma_f64 v[34:35], v[23:24], v[58:59], v[34:35]
	v_fma_f64 v[46:47], v[17:18], v[58:59], v[46:47]
	v_fma_f64 v[38:39], v[19:20], v[58:59], v[38:39]
	v_fma_f64 v[44:45], v[13:14], v[58:59], v[44:45]
	v_fma_f64 v[42:43], v[15:16], v[58:59], v[42:43]
	v_fma_f64 v[32:33], v[9:10], v[58:59], v[32:33]
	v_fma_f64 v[36:37], v[11:12], v[58:59], v[36:37]
	v_fma_f64 v[40:41], -v[23:24], v[60:61], v[40:41]
	v_fma_f64 v[56:57], v[21:22], v[60:61], v[34:35]
	v_fma_f64 v[46:47], -v[19:20], v[60:61], v[46:47]
	v_fma_f64 v[38:39], v[17:18], v[60:61], v[38:39]
	v_fma_f64 v[44:45], -v[15:16], v[60:61], v[44:45]
	v_fma_f64 v[42:43], v[13:14], v[60:61], v[42:43]
	v_fma_f64 v[58:59], -v[11:12], v[60:61], v[32:33]
	v_fma_f64 v[36:37], v[9:10], v[60:61], v[36:37]
	s_clause 0x3
	global_load_b128 v[9:12], v[52:53], off offset:8208
	global_load_b128 v[13:16], v[52:53], off offset:8272
	global_load_b128 v[17:20], v[52:53], off offset:8336
	global_load_b128 v[21:24], v[52:53], off offset:8400
	global_load_b128 v[32:35], v[142:143], off offset:16
	s_wait_loadcnt 0x14
	v_fma_f64 v[40:41], v[62:63], v[78:79], v[40:41]
	v_fma_f64 v[56:57], v[64:65], v[78:79], v[56:57]
	v_fma_f64 v[46:47], v[66:67], v[78:79], v[46:47]
	v_fma_f64 v[38:39], v[68:69], v[78:79], v[38:39]
	v_fma_f64 v[44:45], v[70:71], v[78:79], v[44:45]
	v_fma_f64 v[42:43], v[72:73], v[78:79], v[42:43]
	v_fma_f64 v[58:59], v[74:75], v[78:79], v[58:59]
	v_fma_f64 v[36:37], v[76:77], v[78:79], v[36:37]
	v_fma_f64 v[64:65], -v[64:65], v[80:81], v[40:41]
	v_fma_f64 v[78:79], v[62:63], v[80:81], v[56:57]
	v_fma_f64 v[68:69], -v[68:69], v[80:81], v[46:47]
	v_fma_f64 v[66:67], v[66:67], v[80:81], v[38:39]
	v_fma_f64 v[72:73], -v[72:73], v[80:81], v[44:45]
	v_fma_f64 v[70:71], v[70:71], v[80:81], v[42:43]
	v_fma_f64 v[76:77], -v[76:77], v[80:81], v[58:59]
	v_fma_f64 v[74:75], v[74:75], v[80:81], v[36:37]
	s_clause 0x3
	global_load_b128 v[36:39], v[52:53], off offset:8224
	global_load_b128 v[40:43], v[52:53], off offset:8288
	global_load_b128 v[44:47], v[52:53], off offset:8352
	global_load_b128 v[56:59], v[52:53], off offset:8416
	global_load_b128 v[60:63], v[142:143], off offset:32
	;; [unrolled: 23-line block ×3, first 2 shown]
	s_wait_loadcnt 0x14
	v_fma_f64 v[100:101], v[102:103], v[118:119], v[84:85]
	v_fma_f64 v[142:143], v[104:105], v[118:119], v[98:99]
	v_fma_f64 v[144:145], v[106:107], v[118:119], v[88:89]
	v_fma_f64 v[146:147], v[108:109], v[118:119], v[86:87]
	v_fma_f64 v[148:149], v[110:111], v[118:119], v[92:93]
	v_fma_f64 v[150:151], v[112:113], v[118:119], v[90:91]
	v_fma_f64 v[152:153], v[114:115], v[118:119], v[96:97]
	v_fma_f64 v[118:119], v[116:117], v[118:119], v[94:95]
	s_clause 0x3
	global_load_b128 v[84:87], v[52:53], off offset:16384
	global_load_b128 v[88:91], v[52:53], off offset:16448
	;; [unrolled: 1-line block ×4, first 2 shown]
	v_fma_f64 v[104:105], -v[104:105], v[120:121], v[100:101]
	v_fma_f64 v[142:143], v[102:103], v[120:121], v[142:143]
	v_fma_f64 v[108:109], -v[108:109], v[120:121], v[144:145]
	v_fma_f64 v[106:107], v[106:107], v[120:121], v[146:147]
	;; [unrolled: 2-line block ×4, first 2 shown]
	v_lshlrev_b64_e32 v[100:101], 4, v[154:155]
	v_subrev_nc_u32_e32 v154, s12, v156
	s_delay_alu instid0(VALU_DEP_2) | instskip(SKIP_1) | instid1(VALU_DEP_3)
	v_add_co_u32 v144, vcc_lo, s4, v100
	s_wait_alu 0xfffd
	v_add_co_ci_u32_e64 v145, null, s5, v101, vcc_lo
	s_delay_alu instid0(VALU_DEP_3)
	v_lshlrev_b32_e32 v154, 2, v154
	global_load_b128 v[100:103], v[144:145], off
	v_ashrrev_i32_e32 v155, 31, v154
	s_wait_loadcnt 0x14
	v_fma_f64 v[104:105], v[122:123], v[138:139], v[104:105]
	v_fma_f64 v[118:119], v[124:125], v[138:139], v[142:143]
	v_fma_f64 v[108:109], v[126:127], v[138:139], v[108:109]
	v_fma_f64 v[106:107], v[128:129], v[138:139], v[106:107]
	v_fma_f64 v[112:113], v[130:131], v[138:139], v[112:113]
	v_fma_f64 v[110:111], v[132:133], v[138:139], v[110:111]
	v_fma_f64 v[116:117], v[134:135], v[138:139], v[116:117]
	v_fma_f64 v[114:115], v[136:137], v[138:139], v[114:115]
	v_fma_f64 v[124:125], -v[124:125], v[140:141], v[104:105]
	v_fma_f64 v[138:139], v[122:123], v[140:141], v[118:119]
	v_fma_f64 v[128:129], -v[128:129], v[140:141], v[108:109]
	v_fma_f64 v[126:127], v[126:127], v[140:141], v[106:107]
	v_fma_f64 v[132:133], -v[132:133], v[140:141], v[112:113]
	v_fma_f64 v[130:131], v[130:131], v[140:141], v[110:111]
	v_fma_f64 v[136:137], -v[136:137], v[140:141], v[116:117]
	v_fma_f64 v[134:135], v[134:135], v[140:141], v[114:115]
	s_clause 0x3
	global_load_b128 v[104:107], v[52:53], off offset:16400
	global_load_b128 v[108:111], v[52:53], off offset:16464
	global_load_b128 v[112:115], v[52:53], off offset:16528
	global_load_b128 v[116:119], v[52:53], off offset:16592
	global_load_b128 v[120:123], v[144:145], off offset:16
	s_wait_loadcnt 0x14
	v_fma_f64 v[124:125], v[9:10], v[32:33], v[124:125]
	v_fma_f64 v[138:139], v[11:12], v[32:33], v[138:139]
	v_fma_f64 v[128:129], v[13:14], v[32:33], v[128:129]
	v_fma_f64 v[126:127], v[15:16], v[32:33], v[126:127]
	v_fma_f64 v[132:133], v[17:18], v[32:33], v[132:133]
	v_fma_f64 v[130:131], v[19:20], v[32:33], v[130:131]
	v_fma_f64 v[136:137], v[21:22], v[32:33], v[136:137]
	v_fma_f64 v[32:33], v[23:24], v[32:33], v[134:135]
	v_fma_f64 v[124:125], -v[11:12], v[34:35], v[124:125]
	v_fma_f64 v[134:135], v[9:10], v[34:35], v[138:139]
	v_fma_f64 v[128:129], -v[15:16], v[34:35], v[128:129]
	v_fma_f64 v[126:127], v[13:14], v[34:35], v[126:127]
	v_fma_f64 v[132:133], -v[19:20], v[34:35], v[132:133]
	v_fma_f64 v[130:131], v[17:18], v[34:35], v[130:131]
	v_fma_f64 v[136:137], -v[23:24], v[34:35], v[136:137]
	v_fma_f64 v[138:139], v[21:22], v[34:35], v[32:33]
	s_clause 0x3
	global_load_b128 v[9:12], v[52:53], off offset:16416
	global_load_b128 v[13:16], v[52:53], off offset:16480
	global_load_b128 v[17:20], v[52:53], off offset:16544
	global_load_b128 v[21:24], v[52:53], off offset:16608
	global_load_b128 v[32:35], v[144:145], off offset:32
	;; [unrolled: 23-line block ×3, first 2 shown]
	s_wait_loadcnt 0x14
	v_fma_f64 v[140:141], v[64:65], v[80:81], v[124:125]
	v_fma_f64 v[142:143], v[66:67], v[80:81], v[134:135]
	;; [unrolled: 1-line block ×8, first 2 shown]
	s_clause 0x3
	global_load_b128 v[124:127], v[52:53], off offset:24576
	global_load_b128 v[128:131], v[52:53], off offset:24640
	;; [unrolled: 1-line block ×4, first 2 shown]
	v_fma_f64 v[140:141], -v[66:67], v[82:83], v[140:141]
	v_fma_f64 v[142:143], v[64:65], v[82:83], v[142:143]
	v_fma_f64 v[70:71], -v[70:71], v[82:83], v[144:145]
	v_fma_f64 v[68:69], v[68:69], v[82:83], v[146:147]
	v_fma_f64 v[74:75], -v[74:75], v[82:83], v[148:149]
	v_fma_f64 v[72:73], v[72:73], v[82:83], v[150:151]
	v_fma_f64 v[78:79], -v[78:79], v[82:83], v[152:153]
	v_fma_f64 v[76:77], v[76:77], v[82:83], v[80:81]
	v_lshlrev_b64_e32 v[64:65], 4, v[154:155]
	s_delay_alu instid0(VALU_DEP_1) | instskip(SKIP_1) | instid1(VALU_DEP_2)
	v_add_co_u32 v144, vcc_lo, s4, v64
	s_wait_alu 0xfffd
	v_add_co_ci_u32_e64 v145, null, s5, v65, vcc_lo
	v_add_co_u32 v50, vcc_lo, 0x80, v50
	s_wait_alu 0xfffd
	v_add_co_ci_u32_e64 v51, null, 0, v51, vcc_lo
	global_load_b128 v[64:67], v[144:145], off
	s_wait_loadcnt 0x14
	v_fma_f64 v[80:81], v[84:85], v[100:101], v[140:141]
	v_fma_f64 v[82:83], v[86:87], v[100:101], v[142:143]
	v_fma_f64 v[70:71], v[88:89], v[100:101], v[70:71]
	v_fma_f64 v[68:69], v[90:91], v[100:101], v[68:69]
	v_fma_f64 v[74:75], v[92:93], v[100:101], v[74:75]
	v_fma_f64 v[72:73], v[94:95], v[100:101], v[72:73]
	v_fma_f64 v[78:79], v[96:97], v[100:101], v[78:79]
	v_fma_f64 v[76:77], v[98:99], v[100:101], v[76:77]
	v_fma_f64 v[100:101], -v[86:87], v[102:103], v[80:81]
	v_fma_f64 v[140:141], v[84:85], v[102:103], v[82:83]
	v_fma_f64 v[90:91], -v[90:91], v[102:103], v[70:71]
	v_fma_f64 v[88:89], v[88:89], v[102:103], v[68:69]
	v_fma_f64 v[94:95], -v[94:95], v[102:103], v[74:75]
	v_fma_f64 v[92:93], v[92:93], v[102:103], v[72:73]
	v_fma_f64 v[98:99], -v[98:99], v[102:103], v[78:79]
	v_fma_f64 v[96:97], v[96:97], v[102:103], v[76:77]
	s_clause 0x3
	global_load_b128 v[68:71], v[52:53], off offset:24592
	global_load_b128 v[72:75], v[52:53], off offset:24656
	global_load_b128 v[76:79], v[52:53], off offset:24720
	global_load_b128 v[80:83], v[52:53], off offset:24784
	global_load_b128 v[84:87], v[144:145], off offset:16
	s_wait_loadcnt 0x14
	v_fma_f64 v[100:101], v[104:105], v[120:121], v[100:101]
	v_fma_f64 v[102:103], v[106:107], v[120:121], v[140:141]
	v_fma_f64 v[90:91], v[108:109], v[120:121], v[90:91]
	v_fma_f64 v[88:89], v[110:111], v[120:121], v[88:89]
	v_fma_f64 v[94:95], v[112:113], v[120:121], v[94:95]
	v_fma_f64 v[92:93], v[114:115], v[120:121], v[92:93]
	v_fma_f64 v[98:99], v[116:117], v[120:121], v[98:99]
	v_fma_f64 v[96:97], v[118:119], v[120:121], v[96:97]
	v_fma_f64 v[120:121], -v[106:107], v[122:123], v[100:101]
	v_fma_f64 v[140:141], v[104:105], v[122:123], v[102:103]
	v_fma_f64 v[110:111], -v[110:111], v[122:123], v[90:91]
	v_fma_f64 v[108:109], v[108:109], v[122:123], v[88:89]
	v_fma_f64 v[114:115], -v[114:115], v[122:123], v[94:95]
	v_fma_f64 v[112:113], v[112:113], v[122:123], v[92:93]
	v_fma_f64 v[118:119], -v[118:119], v[122:123], v[98:99]
	v_fma_f64 v[116:117], v[116:117], v[122:123], v[96:97]
	s_clause 0x3
	global_load_b128 v[88:91], v[52:53], off offset:24608
	global_load_b128 v[92:95], v[52:53], off offset:24672
	global_load_b128 v[96:99], v[52:53], off offset:24736
	global_load_b128 v[100:103], v[52:53], off offset:24800
	global_load_b128 v[104:107], v[144:145], off offset:32
	;; [unrolled: 23-line block ×3, first 2 shown]
	v_add_co_u32 v52, vcc_lo, 0x8000, v52
	s_wait_alu 0xfffd
	v_add_co_ci_u32_e64 v53, null, 0, v53, vcc_lo
	v_cmp_ge_i64_e32 vcc_lo, v[50:51], v[28:29]
	s_wait_alu 0xfffe
	s_or_b32 s10, vcc_lo, s10
	s_wait_loadcnt 0x14
	v_fma_f64 v[34:35], v[36:37], v[60:61], v[116:117]
	v_fma_f64 v[116:117], v[38:39], v[60:61], v[120:121]
	v_fma_f64 v[120:121], v[40:41], v[60:61], v[122:123]
	v_fma_f64 v[122:123], v[42:43], v[60:61], v[140:141]
	v_fma_f64 v[114:115], v[44:45], v[60:61], v[114:115]
	v_fma_f64 v[112:113], v[46:47], v[60:61], v[112:113]
	v_fma_f64 v[118:119], v[56:57], v[60:61], v[118:119]
	v_fma_f64 v[32:33], v[58:59], v[60:61], v[32:33]
	v_fma_f64 v[34:35], -v[38:39], v[62:63], v[34:35]
	v_fma_f64 v[36:37], v[36:37], v[62:63], v[116:117]
	v_fma_f64 v[38:39], -v[42:43], v[62:63], v[120:121]
	v_fma_f64 v[40:41], v[40:41], v[62:63], v[122:123]
	v_fma_f64 v[42:43], -v[46:47], v[62:63], v[114:115]
	v_fma_f64 v[44:45], v[44:45], v[62:63], v[112:113]
	v_fma_f64 v[46:47], -v[58:59], v[62:63], v[118:119]
	v_fma_f64 v[32:33], v[56:57], v[62:63], v[32:33]
	s_wait_loadcnt 0xf
	v_fma_f64 v[34:35], v[124:125], v[64:65], v[34:35]
	v_fma_f64 v[36:37], v[126:127], v[64:65], v[36:37]
	v_fma_f64 v[38:39], v[128:129], v[64:65], v[38:39]
	v_fma_f64 v[40:41], v[130:131], v[64:65], v[40:41]
	v_fma_f64 v[42:43], v[132:133], v[64:65], v[42:43]
	v_fma_f64 v[44:45], v[134:135], v[64:65], v[44:45]
	v_fma_f64 v[46:47], v[136:137], v[64:65], v[46:47]
	v_fma_f64 v[32:33], v[138:139], v[64:65], v[32:33]
	v_fma_f64 v[34:35], -v[126:127], v[66:67], v[34:35]
	v_fma_f64 v[36:37], v[124:125], v[66:67], v[36:37]
	v_fma_f64 v[38:39], -v[130:131], v[66:67], v[38:39]
	v_fma_f64 v[40:41], v[128:129], v[66:67], v[40:41]
	v_fma_f64 v[42:43], -v[134:135], v[66:67], v[42:43]
	v_fma_f64 v[44:45], v[132:133], v[66:67], v[44:45]
	v_fma_f64 v[46:47], -v[138:139], v[66:67], v[46:47]
	v_fma_f64 v[32:33], v[136:137], v[66:67], v[32:33]
	;; [unrolled: 17-line block ×5, first 2 shown]
	s_wait_alu 0xfffe
	s_and_not1_b32 exec_lo, exec_lo, s10
	s_cbranch_execnz .LBB38_19
; %bb.20:
	s_or_b32 exec_lo, exec_lo, s10
.LBB38_21:
	s_wait_alu 0xfffe
	s_or_b32 exec_lo, exec_lo, s7
.LBB38_22:
	s_wait_alu 0xfffe
	s_or_b32 exec_lo, exec_lo, s6
	s_cbranch_execz .LBB38_24
	s_branch .LBB38_35
.LBB38_23:
                                        ; implicit-def: $vgpr34_vgpr35
                                        ; implicit-def: $vgpr40_vgpr41
                                        ; implicit-def: $vgpr32_vgpr33
                                        ; implicit-def: $vgpr36_vgpr37
                                        ; implicit-def: $vgpr44_vgpr45
                                        ; implicit-def: $vgpr42_vgpr43
                                        ; implicit-def: $vgpr46_vgpr47
                                        ; implicit-def: $vgpr38_vgpr39
.LBB38_24:
	v_mov_b32_e32 v34, 0
	v_mov_b32_e32 v32, 0
	;; [unrolled: 1-line block ×3, first 2 shown]
	v_dual_mov_b32 v46, 0 :: v_dual_mov_b32 v35, 0
	v_dual_mov_b32 v40, 0 :: v_dual_mov_b32 v33, 0
	;; [unrolled: 1-line block ×5, first 2 shown]
	v_mov_b32_e32 v37, 0
	v_mov_b32_e32 v43, 0
	;; [unrolled: 1-line block ×3, first 2 shown]
	s_and_saveexec_b32 s3, s2
	s_cbranch_execz .LBB38_34
; %bb.25:
	v_or_b32_e32 v9, 32, v0
	v_not_b32_e32 v13, v48
	v_not_b32_e32 v11, v49
	v_mov_b32_e32 v44, 0
	v_mov_b32_e32 v32, 0
	v_sub_co_u32 v9, s2, v9, s12
	s_wait_alu 0xf1ff
	v_sub_co_ci_u32_e64 v10, null, 0, 0, s2
	v_sub_co_u32 v14, s2, s12, v0
	s_delay_alu instid0(VALU_DEP_3) | instskip(SKIP_1) | instid1(VALU_DEP_3)
	v_add_co_u32 v9, vcc_lo, v9, v48
	s_wait_alu 0xfffd
	v_add_co_ci_u32_e64 v10, null, v10, v49, vcc_lo
	s_wait_alu 0xf1ff
	v_sub_co_ci_u32_e64 v15, null, 0, 0, s2
	v_add_co_u32 v13, s2, v14, v13
	s_delay_alu instid0(VALU_DEP_3)
	v_cmp_gt_i64_e32 vcc_lo, v[9:10], v[28:29]
	v_mov_b32_e32 v12, 0
	s_wait_alu 0xf1ff
	v_add_co_ci_u32_e64 v11, null, v15, v11, s2
	v_mov_b32_e32 v38, 0
	s_wait_alu 0xfffd
	v_dual_mov_b32 v46, 0 :: v_dual_cndmask_b32 v9, v28, v9
	v_dual_cndmask_b32 v10, v29, v10 :: v_dual_mov_b32 v39, 0
	v_dual_mov_b32 v45, 0 :: v_dual_mov_b32 v36, 0
	s_delay_alu instid0(VALU_DEP_3)
	v_add_co_u32 v9, vcc_lo, v13, v9
	v_dual_mov_b32 v42, 0 :: v_dual_mov_b32 v33, 0
	v_mov_b32_e32 v40, 0
	v_dual_mov_b32 v34, 0 :: v_dual_mov_b32 v47, 0
	v_mov_b32_e32 v43, 0
	s_wait_alu 0xfffd
	v_add_co_ci_u32_e64 v10, null, v11, v10, vcc_lo
	v_and_b32_e32 v11, 0x60, v9
	v_mov_b32_e32 v37, 0
	v_mov_b32_e32 v41, 0
	;; [unrolled: 1-line block ×3, first 2 shown]
	s_mov_b32 s6, exec_lo
	v_cmpx_ne_u64_e32 0x60, v[11:12]
	s_cbranch_execz .LBB38_29
; %bb.26:
	v_lshrrev_b32_e32 v13, 5, v9
	v_mov_b32_e32 v32, 0
	v_lshlrev_b64_e32 v[11:12], 2, v[26:27]
	v_dual_mov_b32 v33, 0 :: v_dual_mov_b32 v36, 0
	s_delay_alu instid0(VALU_DEP_4) | instskip(SKIP_1) | instid1(VALU_DEP_4)
	v_dual_mov_b32 v34, 0 :: v_dual_add_nc_u32 v13, 1, v13
	v_dual_mov_b32 v37, 0 :: v_dual_mov_b32 v42, 0
	v_add_co_u32 v11, vcc_lo, s8, v11
	s_delay_alu instid0(VALU_DEP_3) | instskip(SKIP_2) | instid1(VALU_DEP_3)
	v_dual_mov_b32 v44, 0 :: v_dual_and_b32 v13, 3, v13
	v_dual_mov_b32 v35, 0 :: v_dual_mov_b32 v40, 0
	v_dual_mov_b32 v45, 0 :: v_dual_mov_b32 v46, 0
	v_sub_co_u32 v13, s2, 0, v13
	v_dual_mov_b32 v43, 0 :: v_dual_mov_b32 v38, 0
	v_mov_b32_e32 v41, 0
	s_wait_alu 0xfffd
	v_add_co_ci_u32_e64 v12, null, s9, v12, vcc_lo
	v_mov_b32_e32 v47, 0
	v_mov_b32_e32 v39, 0
	s_wait_alu 0xf1ff
	v_sub_co_ci_u32_e64 v14, null, 0, 0, s2
	s_mov_b32 s7, 0
.LBB38_27:                              ; =>This Inner Loop Header: Depth=1
	global_load_b32 v23, v[11:12], off
	s_clause 0x3
	global_load_b128 v[15:18], v[30:31], off offset:48
	global_load_b128 v[19:22], v[30:31], off offset:32
	;; [unrolled: 1-line block ×3, first 2 shown]
	global_load_b128 v[52:55], v[30:31], off
	v_add_co_u32 v11, s2, 0x80, v11
	s_wait_alu 0xf1ff
	v_add_co_ci_u32_e64 v12, null, 0, v12, s2
	s_wait_loadcnt 0x4
	v_subrev_nc_u32_e32 v23, s12, v23
	s_delay_alu instid0(VALU_DEP_1) | instskip(NEXT) | instid1(VALU_DEP_1)
	v_lshlrev_b32_e32 v23, 2, v23
	v_ashrrev_i32_e32 v24, 31, v23
	s_delay_alu instid0(VALU_DEP_1) | instskip(SKIP_1) | instid1(VALU_DEP_1)
	v_lshlrev_b64_e32 v[23:24], 4, v[23:24]
	s_wait_kmcnt 0x0
	v_add_co_u32 v23, vcc_lo, s4, v23
	s_wait_alu 0xfffd
	s_delay_alu instid0(VALU_DEP_2)
	v_add_co_ci_u32_e64 v24, null, s5, v24, vcc_lo
	s_clause 0x1
	global_load_b128 v[56:59], v[23:24], off
	global_load_b128 v[60:63], v[23:24], off offset:16
	s_clause 0x7
	global_load_b128 v[64:67], v[30:31], off offset:64
	global_load_b128 v[68:71], v[30:31], off offset:80
	;; [unrolled: 1-line block ×8, first 2 shown]
	s_clause 0x1
	global_load_b128 v[96:99], v[23:24], off offset:32
	global_load_b128 v[100:103], v[23:24], off offset:48
	s_clause 0x3
	global_load_b128 v[104:107], v[30:31], off offset:192
	global_load_b128 v[108:111], v[30:31], off offset:208
	;; [unrolled: 1-line block ×4, first 2 shown]
	v_add_co_u32 v30, vcc_lo, 0x2000, v30
	s_wait_alu 0xfffd
	v_add_co_ci_u32_e64 v31, null, 0, v31, vcc_lo
	v_add_co_u32 v13, vcc_lo, v13, 1
	s_wait_alu 0xfffd
	v_add_co_ci_u32_e64 v14, null, 0, v14, vcc_lo
	;; [unrolled: 3-line block ×3, first 2 shown]
	s_delay_alu instid0(VALU_DEP_3)
	v_cmp_eq_u64_e32 vcc_lo, 0, v[13:14]
	s_wait_alu 0xfffe
	s_or_b32 s7, vcc_lo, s7
	s_wait_loadcnt 0xf
	v_fma_f64 v[23:24], v[52:53], v[56:57], v[40:41]
	v_fma_f64 v[34:35], v[54:55], v[56:57], v[34:35]
	;; [unrolled: 1-line block ×8, first 2 shown]
	v_fma_f64 v[23:24], -v[54:55], v[58:59], v[23:24]
	v_fma_f64 v[34:35], v[52:53], v[58:59], v[34:35]
	v_fma_f64 v[40:41], -v[50:51], v[58:59], v[40:41]
	v_fma_f64 v[38:39], v[48:49], v[58:59], v[38:39]
	;; [unrolled: 2-line block ×4, first 2 shown]
	s_wait_loadcnt 0xd
	v_fma_f64 v[23:24], v[64:65], v[60:61], v[23:24]
	v_fma_f64 v[32:33], v[66:67], v[60:61], v[34:35]
	s_wait_loadcnt 0xc
	v_fma_f64 v[34:35], v[68:69], v[60:61], v[40:41]
	v_fma_f64 v[36:37], v[70:71], v[60:61], v[38:39]
	;; [unrolled: 3-line block ×4, first 2 shown]
	v_fma_f64 v[23:24], -v[66:67], v[62:63], v[23:24]
	v_fma_f64 v[32:33], v[64:65], v[62:63], v[32:33]
	v_fma_f64 v[34:35], -v[70:71], v[62:63], v[34:35]
	v_fma_f64 v[36:37], v[68:69], v[62:63], v[36:37]
	;; [unrolled: 2-line block ×4, first 2 shown]
	s_wait_loadcnt 0x5
	v_fma_f64 v[23:24], v[92:93], v[96:97], v[23:24]
	v_fma_f64 v[32:33], v[94:95], v[96:97], v[32:33]
	;; [unrolled: 1-line block ×8, first 2 shown]
	v_fma_f64 v[23:24], -v[94:95], v[98:99], v[23:24]
	v_fma_f64 v[32:33], v[92:93], v[98:99], v[32:33]
	v_fma_f64 v[34:35], -v[90:91], v[98:99], v[34:35]
	v_fma_f64 v[36:37], v[88:89], v[98:99], v[36:37]
	v_fma_f64 v[21:22], -v[86:87], v[98:99], v[21:22]
	v_fma_f64 v[19:20], v[84:85], v[98:99], v[19:20]
	v_fma_f64 v[17:18], -v[82:83], v[98:99], v[17:18]
	v_fma_f64 v[15:16], v[80:81], v[98:99], v[15:16]
	s_wait_loadcnt 0x3
	v_fma_f64 v[23:24], v[104:105], v[100:101], v[23:24]
	v_fma_f64 v[32:33], v[106:107], v[100:101], v[32:33]
	s_wait_loadcnt 0x2
	v_fma_f64 v[38:39], v[108:109], v[100:101], v[34:35]
	v_fma_f64 v[36:37], v[110:111], v[100:101], v[36:37]
	;; [unrolled: 3-line block ×4, first 2 shown]
	v_fma_f64 v[40:41], -v[106:107], v[102:103], v[23:24]
	v_fma_f64 v[34:35], v[104:105], v[102:103], v[32:33]
	v_fma_f64 v[46:47], -v[110:111], v[102:103], v[38:39]
	v_fma_f64 v[38:39], v[108:109], v[102:103], v[36:37]
	;; [unrolled: 2-line block ×4, first 2 shown]
	s_wait_alu 0xfffe
	s_and_not1_b32 exec_lo, exec_lo, s7
	s_cbranch_execnz .LBB38_27
; %bb.28:
	s_or_b32 exec_lo, exec_lo, s7
.LBB38_29:
	s_wait_alu 0xfffe
	s_or_b32 exec_lo, exec_lo, s6
	s_delay_alu instid0(SALU_CYCLE_1)
	s_mov_b32 s6, exec_lo
	v_cmpx_lt_u64_e32 0x5f, v[9:10]
	s_cbranch_execz .LBB38_33
; %bb.30:
	v_lshlrev_b64_e32 v[9:10], 2, v[26:27]
	s_mov_b32 s7, 0
	s_delay_alu instid0(VALU_DEP_1) | instskip(SKIP_1) | instid1(VALU_DEP_2)
	v_add_co_u32 v9, vcc_lo, s8, v9
	s_wait_alu 0xfffd
	v_add_co_ci_u32_e64 v10, null, s9, v10, vcc_lo
	s_delay_alu instid0(VALU_DEP_2) | instskip(SKIP_1) | instid1(VALU_DEP_2)
	v_add_co_u32 v9, vcc_lo, 0x100, v9
	s_wait_alu 0xfffd
	v_add_co_ci_u32_e64 v10, null, 0, v10, vcc_lo
.LBB38_31:                              ; =>This Inner Loop Header: Depth=1
	s_clause 0x1
	global_load_b32 v11, v[9:10], off offset:-256
	global_load_b32 v24, v[9:10], off offset:-128
	s_clause 0x3
	global_load_b128 v[12:15], v[30:31], off offset:48
	global_load_b128 v[16:19], v[30:31], off offset:32
	;; [unrolled: 1-line block ×3, first 2 shown]
	global_load_b128 v[48:51], v[30:31], off
	s_clause 0x1
	global_load_b32 v148, v[9:10], off
	global_load_b32 v150, v[9:10], off offset:128
	v_add_co_u32 v9, s2, 0x200, v9
	s_wait_alu 0xf1ff
	v_add_co_ci_u32_e64 v10, null, 0, v10, s2
	s_wait_loadcnt 0x7
	v_subrev_nc_u32_e32 v11, s12, v11
	s_delay_alu instid0(VALU_DEP_1)
	v_lshlrev_b32_e32 v52, 2, v11
	s_wait_loadcnt 0x6
	v_subrev_nc_u32_e32 v11, s12, v24
	s_wait_loadcnt 0x1
	v_subrev_nc_u32_e32 v148, s12, v148
	v_ashrrev_i32_e32 v53, 31, v52
	s_delay_alu instid0(VALU_DEP_3) | instskip(NEXT) | instid1(VALU_DEP_3)
	v_lshlrev_b32_e32 v132, 2, v11
	v_lshlrev_b32_e32 v148, 2, v148
	s_delay_alu instid0(VALU_DEP_3) | instskip(NEXT) | instid1(VALU_DEP_3)
	v_lshlrev_b64_e32 v[52:53], 4, v[52:53]
	v_ashrrev_i32_e32 v133, 31, v132
	s_delay_alu instid0(VALU_DEP_3) | instskip(NEXT) | instid1(VALU_DEP_2)
	v_ashrrev_i32_e32 v149, 31, v148
	v_lshlrev_b64_e32 v[132:133], 4, v[132:133]
	s_wait_kmcnt 0x0
	s_delay_alu instid0(VALU_DEP_4)
	v_add_co_u32 v112, vcc_lo, s4, v52
	s_wait_alu 0xfffd
	v_add_co_ci_u32_e64 v113, null, s5, v53, vcc_lo
	global_load_b128 v[52:55], v[112:113], off
	s_clause 0x3
	global_load_b128 v[56:59], v[30:31], off offset:112
	global_load_b128 v[60:63], v[30:31], off offset:96
	global_load_b128 v[64:67], v[30:31], off offset:80
	global_load_b128 v[68:71], v[30:31], off offset:64
	global_load_b128 v[72:75], v[112:113], off offset:16
	s_clause 0x3
	global_load_b128 v[76:79], v[30:31], off offset:176
	global_load_b128 v[80:83], v[30:31], off offset:160
	global_load_b128 v[84:87], v[30:31], off offset:144
	global_load_b128 v[88:91], v[30:31], off offset:128
	global_load_b128 v[92:95], v[112:113], off offset:32
	s_clause 0x3
	global_load_b128 v[96:99], v[30:31], off offset:240
	global_load_b128 v[100:103], v[30:31], off offset:224
	global_load_b128 v[104:107], v[30:31], off offset:208
	global_load_b128 v[108:111], v[30:31], off offset:192
	global_load_b128 v[112:115], v[112:113], off offset:48
	s_clause 0x3
	global_load_b128 v[116:119], v[30:31], off offset:8240
	global_load_b128 v[120:123], v[30:31], off offset:8224
	;; [unrolled: 1-line block ×4, first 2 shown]
	v_add_co_u32 v136, vcc_lo, s4, v132
	s_wait_alu 0xfffd
	v_add_co_ci_u32_e64 v137, null, s5, v133, vcc_lo
	global_load_b128 v[132:135], v[136:137], off
	s_wait_loadcnt 0x14
	v_fma_f64 v[40:41], v[48:49], v[52:53], v[40:41]
	v_fma_f64 v[34:35], v[50:51], v[52:53], v[34:35]
	v_fma_f64 v[46:47], v[20:21], v[52:53], v[46:47]
	v_fma_f64 v[38:39], v[22:23], v[52:53], v[38:39]
	v_fma_f64 v[44:45], v[16:17], v[52:53], v[44:45]
	v_fma_f64 v[42:43], v[18:19], v[52:53], v[42:43]
	v_fma_f64 v[32:33], v[12:13], v[52:53], v[32:33]
	v_fma_f64 v[36:37], v[14:15], v[52:53], v[36:37]
	v_fma_f64 v[40:41], -v[50:51], v[54:55], v[40:41]
	v_fma_f64 v[48:49], v[48:49], v[54:55], v[34:35]
	v_fma_f64 v[23:24], -v[22:23], v[54:55], v[46:47]
	v_fma_f64 v[46:47], v[20:21], v[54:55], v[38:39]
	v_fma_f64 v[44:45], -v[18:19], v[54:55], v[44:45]
	v_fma_f64 v[42:43], v[16:17], v[54:55], v[42:43]
	v_fma_f64 v[50:51], -v[14:15], v[54:55], v[32:33]
	v_fma_f64 v[52:53], v[12:13], v[54:55], v[36:37]
	s_clause 0x3
	global_load_b128 v[11:14], v[30:31], off offset:8304
	global_load_b128 v[15:18], v[30:31], off offset:8288
	global_load_b128 v[19:22], v[30:31], off offset:8272
	global_load_b128 v[32:35], v[30:31], off offset:8256
	global_load_b128 v[36:39], v[136:137], off offset:16
	s_wait_loadcnt 0x14
	v_fma_f64 v[40:41], v[68:69], v[72:73], v[40:41]
	v_fma_f64 v[48:49], v[70:71], v[72:73], v[48:49]
	v_fma_f64 v[23:24], v[64:65], v[72:73], v[23:24]
	v_fma_f64 v[46:47], v[66:67], v[72:73], v[46:47]
	v_fma_f64 v[44:45], v[60:61], v[72:73], v[44:45]
	v_fma_f64 v[42:43], v[62:63], v[72:73], v[42:43]
	v_fma_f64 v[50:51], v[56:57], v[72:73], v[50:51]
	v_fma_f64 v[52:53], v[58:59], v[72:73], v[52:53]
	v_fma_f64 v[70:71], -v[70:71], v[74:75], v[40:41]
	v_fma_f64 v[68:69], v[68:69], v[74:75], v[48:49]
	v_fma_f64 v[23:24], -v[66:67], v[74:75], v[23:24]
	v_fma_f64 v[64:65], v[64:65], v[74:75], v[46:47]
	v_fma_f64 v[62:63], -v[62:63], v[74:75], v[44:45]
	v_fma_f64 v[60:61], v[60:61], v[74:75], v[42:43]
	v_fma_f64 v[66:67], -v[58:59], v[74:75], v[50:51]
	v_fma_f64 v[72:73], v[56:57], v[74:75], v[52:53]
	s_clause 0x3
	global_load_b128 v[40:43], v[30:31], off offset:8368
	global_load_b128 v[44:47], v[30:31], off offset:8352
	global_load_b128 v[48:51], v[30:31], off offset:8336
	global_load_b128 v[52:55], v[30:31], off offset:8320
	global_load_b128 v[56:59], v[136:137], off offset:32
	;; [unrolled: 23-line block ×3, first 2 shown]
	s_wait_loadcnt 0x14
	v_fma_f64 v[136:137], v[108:109], v[112:113], v[90:91]
	v_fma_f64 v[138:139], v[110:111], v[112:113], v[88:89]
	;; [unrolled: 1-line block ×8, first 2 shown]
	s_clause 0x3
	global_load_b128 v[80:83], v[30:31], off offset:16432
	global_load_b128 v[84:87], v[30:31], off offset:16416
	;; [unrolled: 1-line block ×4, first 2 shown]
	v_fma_f64 v[110:111], -v[110:111], v[114:115], v[136:137]
	v_fma_f64 v[108:109], v[108:109], v[114:115], v[138:139]
	v_fma_f64 v[23:24], -v[106:107], v[114:115], v[23:24]
	v_fma_f64 v[104:105], v[104:105], v[114:115], v[140:141]
	v_fma_f64 v[102:103], -v[102:103], v[114:115], v[142:143]
	v_fma_f64 v[100:101], v[100:101], v[114:115], v[144:145]
	v_fma_f64 v[106:107], -v[98:99], v[114:115], v[146:147]
	v_fma_f64 v[112:113], v[96:97], v[114:115], v[112:113]
	v_lshlrev_b64_e32 v[96:97], 4, v[148:149]
	v_subrev_nc_u32_e32 v148, s12, v150
	s_delay_alu instid0(VALU_DEP_2) | instskip(SKIP_1) | instid1(VALU_DEP_3)
	v_add_co_u32 v136, vcc_lo, s4, v96
	s_wait_alu 0xfffd
	v_add_co_ci_u32_e64 v137, null, s5, v97, vcc_lo
	s_delay_alu instid0(VALU_DEP_3)
	v_lshlrev_b32_e32 v148, 2, v148
	global_load_b128 v[96:99], v[136:137], off
	v_ashrrev_i32_e32 v149, 31, v148
	s_wait_loadcnt 0x14
	v_fma_f64 v[110:111], v[128:129], v[132:133], v[110:111]
	v_fma_f64 v[108:109], v[130:131], v[132:133], v[108:109]
	v_fma_f64 v[23:24], v[124:125], v[132:133], v[23:24]
	v_fma_f64 v[104:105], v[126:127], v[132:133], v[104:105]
	v_fma_f64 v[102:103], v[120:121], v[132:133], v[102:103]
	v_fma_f64 v[100:101], v[122:123], v[132:133], v[100:101]
	v_fma_f64 v[106:107], v[116:117], v[132:133], v[106:107]
	v_fma_f64 v[112:113], v[118:119], v[132:133], v[112:113]
	v_fma_f64 v[130:131], -v[130:131], v[134:135], v[110:111]
	v_fma_f64 v[128:129], v[128:129], v[134:135], v[108:109]
	v_fma_f64 v[23:24], -v[126:127], v[134:135], v[23:24]
	v_fma_f64 v[124:125], v[124:125], v[134:135], v[104:105]
	v_fma_f64 v[122:123], -v[122:123], v[134:135], v[102:103]
	v_fma_f64 v[120:121], v[120:121], v[134:135], v[100:101]
	v_fma_f64 v[126:127], -v[118:119], v[134:135], v[106:107]
	v_fma_f64 v[132:133], v[116:117], v[134:135], v[112:113]
	s_clause 0x3
	global_load_b128 v[100:103], v[30:31], off offset:16496
	global_load_b128 v[104:107], v[30:31], off offset:16480
	global_load_b128 v[108:111], v[30:31], off offset:16464
	global_load_b128 v[112:115], v[30:31], off offset:16448
	global_load_b128 v[116:119], v[136:137], off offset:16
	s_wait_loadcnt 0x14
	v_fma_f64 v[130:131], v[32:33], v[36:37], v[130:131]
	v_fma_f64 v[128:129], v[34:35], v[36:37], v[128:129]
	v_fma_f64 v[23:24], v[19:20], v[36:37], v[23:24]
	v_fma_f64 v[124:125], v[21:22], v[36:37], v[124:125]
	v_fma_f64 v[122:123], v[15:16], v[36:37], v[122:123]
	v_fma_f64 v[120:121], v[17:18], v[36:37], v[120:121]
	v_fma_f64 v[126:127], v[11:12], v[36:37], v[126:127]
	v_fma_f64 v[36:37], v[13:14], v[36:37], v[132:133]
	v_fma_f64 v[130:131], -v[34:35], v[38:39], v[130:131]
	v_fma_f64 v[128:129], v[32:33], v[38:39], v[128:129]
	v_fma_f64 v[23:24], -v[21:22], v[38:39], v[23:24]
	v_fma_f64 v[124:125], v[19:20], v[38:39], v[124:125]
	v_fma_f64 v[122:123], -v[17:18], v[38:39], v[122:123]
	v_fma_f64 v[120:121], v[15:16], v[38:39], v[120:121]
	v_fma_f64 v[126:127], -v[13:14], v[38:39], v[126:127]
	v_fma_f64 v[132:133], v[11:12], v[38:39], v[36:37]
	s_clause 0x3
	global_load_b128 v[11:14], v[30:31], off offset:16560
	global_load_b128 v[15:18], v[30:31], off offset:16544
	global_load_b128 v[19:22], v[30:31], off offset:16528
	global_load_b128 v[32:35], v[30:31], off offset:16512
	global_load_b128 v[36:39], v[136:137], off offset:32
	;; [unrolled: 23-line block ×3, first 2 shown]
	s_wait_loadcnt 0x14
	v_fma_f64 v[136:137], v[72:73], v[76:77], v[130:131]
	v_fma_f64 v[138:139], v[74:75], v[76:77], v[128:129]
	;; [unrolled: 1-line block ×8, first 2 shown]
	s_clause 0x3
	global_load_b128 v[120:123], v[30:31], off offset:24624
	global_load_b128 v[124:127], v[30:31], off offset:24608
	;; [unrolled: 1-line block ×4, first 2 shown]
	v_fma_f64 v[74:75], -v[74:75], v[78:79], v[136:137]
	v_fma_f64 v[72:73], v[72:73], v[78:79], v[138:139]
	v_fma_f64 v[23:24], -v[70:71], v[78:79], v[23:24]
	v_fma_f64 v[68:69], v[68:69], v[78:79], v[140:141]
	;; [unrolled: 2-line block ×4, first 2 shown]
	v_lshlrev_b64_e32 v[60:61], 4, v[148:149]
	s_delay_alu instid0(VALU_DEP_1) | instskip(SKIP_1) | instid1(VALU_DEP_2)
	v_add_co_u32 v140, vcc_lo, s4, v60
	s_wait_alu 0xfffd
	v_add_co_ci_u32_e64 v141, null, s5, v61, vcc_lo
	s_clause 0x1
	global_load_b128 v[60:63], v[140:141], off
	global_load_b128 v[64:67], v[140:141], off offset:16
	v_add_co_u32 v26, vcc_lo, 0x80, v26
	s_wait_alu 0xfffd
	v_add_co_ci_u32_e64 v27, null, 0, v27, vcc_lo
	s_wait_loadcnt 0x15
	v_fma_f64 v[74:75], v[92:93], v[96:97], v[74:75]
	v_fma_f64 v[72:73], v[94:95], v[96:97], v[72:73]
	;; [unrolled: 1-line block ×8, first 2 shown]
	v_fma_f64 v[94:95], -v[94:95], v[98:99], v[74:75]
	v_fma_f64 v[92:93], v[92:93], v[98:99], v[72:73]
	v_fma_f64 v[23:24], -v[90:91], v[98:99], v[23:24]
	v_fma_f64 v[88:89], v[88:89], v[98:99], v[68:69]
	;; [unrolled: 2-line block ×4, first 2 shown]
	s_clause 0x3
	global_load_b128 v[68:71], v[30:31], off offset:24640
	global_load_b128 v[72:75], v[30:31], off offset:24656
	global_load_b128 v[76:79], v[30:31], off offset:24672
	global_load_b128 v[80:83], v[30:31], off offset:24688
	s_wait_loadcnt 0x14
	v_fma_f64 v[94:95], v[112:113], v[116:117], v[94:95]
	v_fma_f64 v[92:93], v[114:115], v[116:117], v[92:93]
	;; [unrolled: 1-line block ×8, first 2 shown]
	v_fma_f64 v[114:115], -v[114:115], v[118:119], v[94:95]
	v_fma_f64 v[112:113], v[112:113], v[118:119], v[92:93]
	v_fma_f64 v[23:24], -v[110:111], v[118:119], v[23:24]
	v_fma_f64 v[108:109], v[108:109], v[118:119], v[88:89]
	;; [unrolled: 2-line block ×4, first 2 shown]
	s_clause 0x3
	global_load_b128 v[84:87], v[30:31], off offset:24752
	global_load_b128 v[88:91], v[30:31], off offset:24736
	global_load_b128 v[92:95], v[30:31], off offset:24720
	global_load_b128 v[96:99], v[30:31], off offset:24704
	s_clause 0x1
	global_load_b128 v[100:103], v[140:141], off offset:32
	global_load_b128 v[104:107], v[140:141], off offset:48
	s_wait_loadcnt 0x15
	v_fma_f64 v[114:115], v[32:33], v[36:37], v[114:115]
	v_fma_f64 v[112:113], v[34:35], v[36:37], v[112:113]
	;; [unrolled: 1-line block ×8, first 2 shown]
	v_fma_f64 v[34:35], -v[34:35], v[38:39], v[114:115]
	v_fma_f64 v[32:33], v[32:33], v[38:39], v[112:113]
	v_fma_f64 v[23:24], -v[21:22], v[38:39], v[23:24]
	v_fma_f64 v[112:113], v[19:20], v[38:39], v[108:109]
	;; [unrolled: 2-line block ×4, first 2 shown]
	s_clause 0x3
	global_load_b128 v[11:14], v[30:31], off offset:24768
	global_load_b128 v[15:18], v[30:31], off offset:24784
	;; [unrolled: 1-line block ×4, first 2 shown]
	v_add_co_u32 v30, vcc_lo, 0x8000, v30
	s_wait_alu 0xfffd
	v_add_co_ci_u32_e64 v31, null, 0, v31, vcc_lo
	v_cmp_ge_i64_e32 vcc_lo, v[26:27], v[28:29]
	s_wait_alu 0xfffe
	s_or_b32 s7, vcc_lo, s7
	s_wait_loadcnt 0x14
	v_fma_f64 v[34:35], v[52:53], v[56:57], v[34:35]
	v_fma_f64 v[32:33], v[54:55], v[56:57], v[32:33]
	;; [unrolled: 1-line block ×8, first 2 shown]
	v_fma_f64 v[34:35], -v[54:55], v[58:59], v[34:35]
	v_fma_f64 v[32:33], v[52:53], v[58:59], v[32:33]
	v_fma_f64 v[23:24], -v[50:51], v[58:59], v[23:24]
	v_fma_f64 v[38:39], v[48:49], v[58:59], v[38:39]
	v_fma_f64 v[46:47], -v[46:47], v[58:59], v[112:113]
	v_fma_f64 v[44:45], v[44:45], v[58:59], v[114:115]
	v_fma_f64 v[42:43], -v[42:43], v[58:59], v[116:117]
	v_fma_f64 v[36:37], v[40:41], v[58:59], v[36:37]
	s_wait_loadcnt 0xf
	v_fma_f64 v[34:35], v[132:133], v[60:61], v[34:35]
	v_fma_f64 v[32:33], v[134:135], v[60:61], v[32:33]
	v_fma_f64 v[23:24], v[128:129], v[60:61], v[23:24]
	v_fma_f64 v[38:39], v[130:131], v[60:61], v[38:39]
	v_fma_f64 v[40:41], v[124:125], v[60:61], v[46:47]
	v_fma_f64 v[44:45], v[126:127], v[60:61], v[44:45]
	v_fma_f64 v[42:43], v[120:121], v[60:61], v[42:43]
	v_fma_f64 v[36:37], v[122:123], v[60:61], v[36:37]
	v_fma_f64 v[34:35], -v[134:135], v[62:63], v[34:35]
	v_fma_f64 v[32:33], v[132:133], v[62:63], v[32:33]
	v_fma_f64 v[23:24], -v[130:131], v[62:63], v[23:24]
	v_fma_f64 v[38:39], v[128:129], v[62:63], v[38:39]
	;; [unrolled: 2-line block ×4, first 2 shown]
	s_wait_loadcnt 0xd
	v_fma_f64 v[34:35], v[68:69], v[64:65], v[34:35]
	v_fma_f64 v[32:33], v[70:71], v[64:65], v[32:33]
	s_wait_loadcnt 0xc
	v_fma_f64 v[23:24], v[72:73], v[64:65], v[23:24]
	v_fma_f64 v[38:39], v[74:75], v[64:65], v[38:39]
	;; [unrolled: 3-line block ×4, first 2 shown]
	v_fma_f64 v[34:35], -v[70:71], v[66:67], v[34:35]
	v_fma_f64 v[32:33], v[68:69], v[66:67], v[32:33]
	v_fma_f64 v[23:24], -v[74:75], v[66:67], v[23:24]
	v_fma_f64 v[38:39], v[72:73], v[66:67], v[38:39]
	;; [unrolled: 2-line block ×4, first 2 shown]
	s_wait_loadcnt 0x5
	v_fma_f64 v[34:35], v[96:97], v[100:101], v[34:35]
	v_fma_f64 v[32:33], v[98:99], v[100:101], v[32:33]
	;; [unrolled: 1-line block ×8, first 2 shown]
	v_fma_f64 v[34:35], -v[98:99], v[102:103], v[34:35]
	v_fma_f64 v[32:33], v[96:97], v[102:103], v[32:33]
	v_fma_f64 v[23:24], -v[94:95], v[102:103], v[23:24]
	v_fma_f64 v[38:39], v[92:93], v[102:103], v[38:39]
	v_fma_f64 v[40:41], -v[90:91], v[102:103], v[40:41]
	v_fma_f64 v[44:45], v[88:89], v[102:103], v[44:45]
	v_fma_f64 v[42:43], -v[86:87], v[102:103], v[42:43]
	v_fma_f64 v[36:37], v[84:85], v[102:103], v[36:37]
	s_wait_loadcnt 0x3
	v_fma_f64 v[34:35], v[11:12], v[104:105], v[34:35]
	v_fma_f64 v[32:33], v[13:14], v[104:105], v[32:33]
	s_wait_loadcnt 0x2
	v_fma_f64 v[23:24], v[15:16], v[104:105], v[23:24]
	v_fma_f64 v[38:39], v[17:18], v[104:105], v[38:39]
	;; [unrolled: 3-line block ×4, first 2 shown]
	v_fma_f64 v[40:41], -v[13:14], v[106:107], v[34:35]
	v_fma_f64 v[34:35], v[11:12], v[106:107], v[32:33]
	v_fma_f64 v[46:47], -v[17:18], v[106:107], v[23:24]
	v_fma_f64 v[38:39], v[15:16], v[106:107], v[38:39]
	;; [unrolled: 2-line block ×4, first 2 shown]
	s_wait_alu 0xfffe
	s_and_not1_b32 exec_lo, exec_lo, s7
	s_cbranch_execnz .LBB38_31
; %bb.32:
	s_or_b32 exec_lo, exec_lo, s7
.LBB38_33:
	s_wait_alu 0xfffe
	s_or_b32 exec_lo, exec_lo, s6
.LBB38_34:
	s_wait_alu 0xfffe
	s_or_b32 exec_lo, exec_lo, s3
.LBB38_35:
	v_mbcnt_lo_u32_b32 v48, -1, 0
	s_delay_alu instid0(VALU_DEP_1) | instskip(SKIP_1) | instid1(VALU_DEP_2)
	v_xor_b32_e32 v9, 16, v48
	v_xor_b32_e32 v26, 8, v48
	v_cmp_gt_i32_e32 vcc_lo, 32, v9
	s_wait_alu 0xfffd
	v_cndmask_b32_e32 v9, v48, v9, vcc_lo
	s_delay_alu instid0(VALU_DEP_3) | instskip(NEXT) | instid1(VALU_DEP_2)
	v_cmp_gt_i32_e32 vcc_lo, 32, v26
	v_lshlrev_b32_e32 v24, 2, v9
	s_wait_alu 0xfffd
	v_cndmask_b32_e32 v26, v48, v26, vcc_lo
	ds_bpermute_b32 v9, v24, v40
	ds_bpermute_b32 v10, v24, v41
	;; [unrolled: 1-line block ×16, first 2 shown]
	s_wait_dscnt 0xe
	v_add_f64_e32 v[9:10], v[40:41], v[9:10]
	v_lshlrev_b32_e32 v41, 2, v26
	s_wait_dscnt 0xc
	v_add_f64_e32 v[11:12], v[34:35], v[11:12]
	s_wait_dscnt 0xa
	v_add_f64_e32 v[13:14], v[46:47], v[13:14]
	;; [unrolled: 2-line block ×7, first 2 shown]
	ds_bpermute_b32 v26, v41, v9
	ds_bpermute_b32 v27, v41, v10
	;; [unrolled: 1-line block ×16, first 2 shown]
	s_wait_dscnt 0xe
	v_add_f64_e32 v[9:10], v[9:10], v[26:27]
	v_xor_b32_e32 v26, 4, v48
	s_wait_dscnt 0xc
	v_add_f64_e32 v[11:12], v[11:12], v[28:29]
	s_wait_dscnt 0xa
	v_add_f64_e32 v[13:14], v[13:14], v[30:31]
	;; [unrolled: 2-line block ×3, first 2 shown]
	v_cmp_gt_i32_e32 vcc_lo, 32, v26
	s_wait_dscnt 0x6
	v_add_f64_e32 v[17:18], v[17:18], v[34:35]
	s_wait_dscnt 0x4
	v_add_f64_e32 v[19:20], v[19:20], v[36:37]
	;; [unrolled: 2-line block ×3, first 2 shown]
	s_wait_alu 0xfffd
	v_cndmask_b32_e32 v26, v48, v26, vcc_lo
	s_wait_dscnt 0x0
	v_add_f64_e32 v[23:24], v[23:24], v[40:41]
	s_delay_alu instid0(VALU_DEP_2)
	v_lshlrev_b32_e32 v41, 2, v26
	ds_bpermute_b32 v26, v41, v9
	ds_bpermute_b32 v27, v41, v10
	;; [unrolled: 1-line block ×16, first 2 shown]
	s_wait_dscnt 0xe
	v_add_f64_e32 v[9:10], v[9:10], v[26:27]
	s_wait_dscnt 0xc
	v_add_f64_e32 v[11:12], v[11:12], v[28:29]
	;; [unrolled: 2-line block ×8, first 2 shown]
	v_xor_b32_e32 v23, 2, v48
	s_delay_alu instid0(VALU_DEP_1) | instskip(SKIP_2) | instid1(VALU_DEP_1)
	v_cmp_gt_i32_e32 vcc_lo, 32, v23
	s_wait_alu 0xfffd
	v_cndmask_b32_e32 v23, v48, v23, vcc_lo
	v_lshlrev_b32_e32 v41, 2, v23
	ds_bpermute_b32 v23, v41, v9
	ds_bpermute_b32 v24, v41, v10
	;; [unrolled: 1-line block ×16, first 2 shown]
	s_wait_dscnt 0xe
	v_add_f64_e32 v[9:10], v[9:10], v[23:24]
	s_wait_dscnt 0xc
	v_add_f64_e32 v[28:29], v[11:12], v[28:29]
	;; [unrolled: 2-line block ×7, first 2 shown]
	v_xor_b32_e32 v21, 1, v48
	s_wait_dscnt 0x0
	v_add_f64_e32 v[17:18], v[26:27], v[40:41]
	s_delay_alu instid0(VALU_DEP_2) | instskip(SKIP_3) | instid1(VALU_DEP_2)
	v_cmp_gt_i32_e32 vcc_lo, 32, v21
	s_wait_alu 0xfffd
	v_cndmask_b32_e32 v21, v48, v21, vcc_lo
	v_cmp_eq_u32_e32 vcc_lo, 31, v0
	v_lshlrev_b32_e32 v35, 2, v21
	ds_bpermute_b32 v21, v35, v9
	ds_bpermute_b32 v22, v35, v10
	;; [unrolled: 1-line block ×16, first 2 shown]
	s_and_b32 exec_lo, exec_lo, vcc_lo
	s_cbranch_execz .LBB38_8
; %bb.36:
	s_wait_dscnt 0xc
	v_add_f64_e32 v[28:29], v[28:29], v[40:41]
	s_wait_dscnt 0x8
	v_add_f64_e32 v[23:24], v[23:24], v[38:39]
	;; [unrolled: 2-line block ×4, first 2 shown]
	v_add_f64_e32 v[9:10], v[9:10], v[21:22]
	v_add_f64_e32 v[11:12], v[11:12], v[26:27]
	;; [unrolled: 1-line block ×4, first 2 shown]
	v_cmp_eq_f64_e32 vcc_lo, 0, v[1:2]
	v_cmp_eq_f64_e64 s2, 0, v[3:4]
	s_load_b64 s[0:1], s[0:1], 0x60
	v_mul_f64_e64 v[13:14], v[28:29], -v[7:8]
	v_mul_f64_e32 v[15:16], v[5:6], v[28:29]
	v_mul_f64_e64 v[28:29], v[23:24], -v[7:8]
	v_mul_f64_e32 v[23:24], v[5:6], v[23:24]
	;; [unrolled: 2-line block ×4, first 2 shown]
	s_and_b32 s2, vcc_lo, s2
	v_fma_f64 v[17:18], v[5:6], v[9:10], v[13:14]
	v_fma_f64 v[19:20], v[7:8], v[9:10], v[15:16]
	;; [unrolled: 1-line block ×8, first 2 shown]
	v_lshlrev_b32_e32 v21, 2, v25
	s_wait_alu 0xfffe
	s_and_saveexec_b32 s3, s2
	s_wait_alu 0xfffe
	s_xor_b32 s2, exec_lo, s3
	s_cbranch_execz .LBB38_38
; %bb.37:
	v_ashrrev_i32_e32 v22, 31, v21
	s_delay_alu instid0(VALU_DEP_1) | instskip(SKIP_1) | instid1(VALU_DEP_1)
	v_lshlrev_b64_e32 v[0:1], 4, v[21:22]
                                        ; implicit-def: $vgpr21
	s_wait_kmcnt 0x0
	v_add_co_u32 v0, vcc_lo, s0, v0
	s_wait_alu 0xfffd
	s_delay_alu instid0(VALU_DEP_2)
	v_add_co_ci_u32_e64 v1, null, s1, v1, vcc_lo
	s_clause 0x3
	global_store_b128 v[0:1], v[17:20], off
	global_store_b128 v[0:1], v[13:16], off offset:16
	global_store_b128 v[0:1], v[9:12], off offset:32
	;; [unrolled: 1-line block ×3, first 2 shown]
                                        ; implicit-def: $vgpr3_vgpr4
                                        ; implicit-def: $vgpr17_vgpr18
                                        ; implicit-def: $vgpr13_vgpr14
                                        ; implicit-def: $vgpr9_vgpr10
                                        ; implicit-def: $vgpr5_vgpr6
.LBB38_38:
	s_wait_alu 0xfffe
	s_and_not1_saveexec_b32 s2, s2
	s_cbranch_execz .LBB38_8
; %bb.39:
	v_ashrrev_i32_e32 v22, 31, v21
	s_delay_alu instid0(VALU_DEP_1) | instskip(SKIP_1) | instid1(VALU_DEP_1)
	v_lshlrev_b64_e32 v[21:22], 4, v[21:22]
	s_wait_kmcnt 0x0
	v_add_co_u32 v37, vcc_lo, s0, v21
	s_wait_alu 0xfffd
	s_delay_alu instid0(VALU_DEP_2)
	v_add_co_ci_u32_e64 v38, null, s1, v22, vcc_lo
	s_clause 0x3
	global_load_b128 v[21:24], v[37:38], off
	global_load_b128 v[25:28], v[37:38], off offset:16
	global_load_b128 v[29:32], v[37:38], off offset:32
	;; [unrolled: 1-line block ×3, first 2 shown]
	s_wait_loadcnt 0x3
	v_fma_f64 v[17:18], v[1:2], v[21:22], v[17:18]
	v_fma_f64 v[19:20], v[3:4], v[21:22], v[19:20]
	s_wait_loadcnt 0x2
	v_fma_f64 v[13:14], v[1:2], v[25:26], v[13:14]
	v_fma_f64 v[15:16], v[3:4], v[25:26], v[15:16]
	;; [unrolled: 3-line block ×4, first 2 shown]
	v_fma_f64 v[5:6], -v[3:4], v[23:24], v[17:18]
	v_fma_f64 v[7:8], v[1:2], v[23:24], v[19:20]
	v_fma_f64 v[9:10], -v[3:4], v[27:28], v[13:14]
	v_fma_f64 v[11:12], v[1:2], v[27:28], v[15:16]
	;; [unrolled: 2-line block ×4, first 2 shown]
	s_clause 0x3
	global_store_b128 v[37:38], v[5:8], off
	global_store_b128 v[37:38], v[9:12], off offset:16
	global_store_b128 v[37:38], v[13:16], off offset:32
	;; [unrolled: 1-line block ×3, first 2 shown]
	s_nop 0
	s_sendmsg sendmsg(MSG_DEALLOC_VGPRS)
	s_endpgm
	.section	.rodata,"a",@progbits
	.p2align	6, 0x0
	.amdhsa_kernel _ZN9rocsparseL18bsrxmvn_4x4_kernelILj128ELj32E21rocsparse_complex_numIdEliS2_S2_S2_EEvT3_20rocsparse_direction_NS_24const_host_device_scalarIT1_EES3_PKS3_PKT2_SC_S9_PKT4_PKT5_S7_PT6_21rocsparse_index_base_b
		.amdhsa_group_segment_fixed_size 0
		.amdhsa_private_segment_fixed_size 0
		.amdhsa_kernarg_size 112
		.amdhsa_user_sgpr_count 2
		.amdhsa_user_sgpr_dispatch_ptr 0
		.amdhsa_user_sgpr_queue_ptr 0
		.amdhsa_user_sgpr_kernarg_segment_ptr 1
		.amdhsa_user_sgpr_dispatch_id 0
		.amdhsa_user_sgpr_private_segment_size 0
		.amdhsa_wavefront_size32 1
		.amdhsa_uses_dynamic_stack 0
		.amdhsa_enable_private_segment 0
		.amdhsa_system_sgpr_workgroup_id_x 1
		.amdhsa_system_sgpr_workgroup_id_y 0
		.amdhsa_system_sgpr_workgroup_id_z 0
		.amdhsa_system_sgpr_workgroup_info 0
		.amdhsa_system_vgpr_workitem_id 0
		.amdhsa_next_free_vgpr 157
		.amdhsa_next_free_sgpr 14
		.amdhsa_reserve_vcc 1
		.amdhsa_float_round_mode_32 0
		.amdhsa_float_round_mode_16_64 0
		.amdhsa_float_denorm_mode_32 3
		.amdhsa_float_denorm_mode_16_64 3
		.amdhsa_fp16_overflow 0
		.amdhsa_workgroup_processor_mode 1
		.amdhsa_memory_ordered 1
		.amdhsa_forward_progress 1
		.amdhsa_inst_pref_size 98
		.amdhsa_round_robin_scheduling 0
		.amdhsa_exception_fp_ieee_invalid_op 0
		.amdhsa_exception_fp_denorm_src 0
		.amdhsa_exception_fp_ieee_div_zero 0
		.amdhsa_exception_fp_ieee_overflow 0
		.amdhsa_exception_fp_ieee_underflow 0
		.amdhsa_exception_fp_ieee_inexact 0
		.amdhsa_exception_int_div_zero 0
	.end_amdhsa_kernel
	.section	.text._ZN9rocsparseL18bsrxmvn_4x4_kernelILj128ELj32E21rocsparse_complex_numIdEliS2_S2_S2_EEvT3_20rocsparse_direction_NS_24const_host_device_scalarIT1_EES3_PKS3_PKT2_SC_S9_PKT4_PKT5_S7_PT6_21rocsparse_index_base_b,"axG",@progbits,_ZN9rocsparseL18bsrxmvn_4x4_kernelILj128ELj32E21rocsparse_complex_numIdEliS2_S2_S2_EEvT3_20rocsparse_direction_NS_24const_host_device_scalarIT1_EES3_PKS3_PKT2_SC_S9_PKT4_PKT5_S7_PT6_21rocsparse_index_base_b,comdat
.Lfunc_end38:
	.size	_ZN9rocsparseL18bsrxmvn_4x4_kernelILj128ELj32E21rocsparse_complex_numIdEliS2_S2_S2_EEvT3_20rocsparse_direction_NS_24const_host_device_scalarIT1_EES3_PKS3_PKT2_SC_S9_PKT4_PKT5_S7_PT6_21rocsparse_index_base_b, .Lfunc_end38-_ZN9rocsparseL18bsrxmvn_4x4_kernelILj128ELj32E21rocsparse_complex_numIdEliS2_S2_S2_EEvT3_20rocsparse_direction_NS_24const_host_device_scalarIT1_EES3_PKS3_PKT2_SC_S9_PKT4_PKT5_S7_PT6_21rocsparse_index_base_b
                                        ; -- End function
	.set _ZN9rocsparseL18bsrxmvn_4x4_kernelILj128ELj32E21rocsparse_complex_numIdEliS2_S2_S2_EEvT3_20rocsparse_direction_NS_24const_host_device_scalarIT1_EES3_PKS3_PKT2_SC_S9_PKT4_PKT5_S7_PT6_21rocsparse_index_base_b.num_vgpr, 157
	.set _ZN9rocsparseL18bsrxmvn_4x4_kernelILj128ELj32E21rocsparse_complex_numIdEliS2_S2_S2_EEvT3_20rocsparse_direction_NS_24const_host_device_scalarIT1_EES3_PKS3_PKT2_SC_S9_PKT4_PKT5_S7_PT6_21rocsparse_index_base_b.num_agpr, 0
	.set _ZN9rocsparseL18bsrxmvn_4x4_kernelILj128ELj32E21rocsparse_complex_numIdEliS2_S2_S2_EEvT3_20rocsparse_direction_NS_24const_host_device_scalarIT1_EES3_PKS3_PKT2_SC_S9_PKT4_PKT5_S7_PT6_21rocsparse_index_base_b.numbered_sgpr, 14
	.set _ZN9rocsparseL18bsrxmvn_4x4_kernelILj128ELj32E21rocsparse_complex_numIdEliS2_S2_S2_EEvT3_20rocsparse_direction_NS_24const_host_device_scalarIT1_EES3_PKS3_PKT2_SC_S9_PKT4_PKT5_S7_PT6_21rocsparse_index_base_b.num_named_barrier, 0
	.set _ZN9rocsparseL18bsrxmvn_4x4_kernelILj128ELj32E21rocsparse_complex_numIdEliS2_S2_S2_EEvT3_20rocsparse_direction_NS_24const_host_device_scalarIT1_EES3_PKS3_PKT2_SC_S9_PKT4_PKT5_S7_PT6_21rocsparse_index_base_b.private_seg_size, 0
	.set _ZN9rocsparseL18bsrxmvn_4x4_kernelILj128ELj32E21rocsparse_complex_numIdEliS2_S2_S2_EEvT3_20rocsparse_direction_NS_24const_host_device_scalarIT1_EES3_PKS3_PKT2_SC_S9_PKT4_PKT5_S7_PT6_21rocsparse_index_base_b.uses_vcc, 1
	.set _ZN9rocsparseL18bsrxmvn_4x4_kernelILj128ELj32E21rocsparse_complex_numIdEliS2_S2_S2_EEvT3_20rocsparse_direction_NS_24const_host_device_scalarIT1_EES3_PKS3_PKT2_SC_S9_PKT4_PKT5_S7_PT6_21rocsparse_index_base_b.uses_flat_scratch, 0
	.set _ZN9rocsparseL18bsrxmvn_4x4_kernelILj128ELj32E21rocsparse_complex_numIdEliS2_S2_S2_EEvT3_20rocsparse_direction_NS_24const_host_device_scalarIT1_EES3_PKS3_PKT2_SC_S9_PKT4_PKT5_S7_PT6_21rocsparse_index_base_b.has_dyn_sized_stack, 0
	.set _ZN9rocsparseL18bsrxmvn_4x4_kernelILj128ELj32E21rocsparse_complex_numIdEliS2_S2_S2_EEvT3_20rocsparse_direction_NS_24const_host_device_scalarIT1_EES3_PKS3_PKT2_SC_S9_PKT4_PKT5_S7_PT6_21rocsparse_index_base_b.has_recursion, 0
	.set _ZN9rocsparseL18bsrxmvn_4x4_kernelILj128ELj32E21rocsparse_complex_numIdEliS2_S2_S2_EEvT3_20rocsparse_direction_NS_24const_host_device_scalarIT1_EES3_PKS3_PKT2_SC_S9_PKT4_PKT5_S7_PT6_21rocsparse_index_base_b.has_indirect_call, 0
	.section	.AMDGPU.csdata,"",@progbits
; Kernel info:
; codeLenInByte = 12428
; TotalNumSgprs: 16
; NumVgprs: 157
; ScratchSize: 0
; MemoryBound: 1
; FloatMode: 240
; IeeeMode: 1
; LDSByteSize: 0 bytes/workgroup (compile time only)
; SGPRBlocks: 0
; VGPRBlocks: 19
; NumSGPRsForWavesPerEU: 16
; NumVGPRsForWavesPerEU: 157
; Occupancy: 9
; WaveLimiterHint : 1
; COMPUTE_PGM_RSRC2:SCRATCH_EN: 0
; COMPUTE_PGM_RSRC2:USER_SGPR: 2
; COMPUTE_PGM_RSRC2:TRAP_HANDLER: 0
; COMPUTE_PGM_RSRC2:TGID_X_EN: 1
; COMPUTE_PGM_RSRC2:TGID_Y_EN: 0
; COMPUTE_PGM_RSRC2:TGID_Z_EN: 0
; COMPUTE_PGM_RSRC2:TIDIG_COMP_CNT: 0
	.section	.text._ZN9rocsparseL18bsrxmvn_4x4_kernelILj128ELj64E21rocsparse_complex_numIdEliS2_S2_S2_EEvT3_20rocsparse_direction_NS_24const_host_device_scalarIT1_EES3_PKS3_PKT2_SC_S9_PKT4_PKT5_S7_PT6_21rocsparse_index_base_b,"axG",@progbits,_ZN9rocsparseL18bsrxmvn_4x4_kernelILj128ELj64E21rocsparse_complex_numIdEliS2_S2_S2_EEvT3_20rocsparse_direction_NS_24const_host_device_scalarIT1_EES3_PKS3_PKT2_SC_S9_PKT4_PKT5_S7_PT6_21rocsparse_index_base_b,comdat
	.globl	_ZN9rocsparseL18bsrxmvn_4x4_kernelILj128ELj64E21rocsparse_complex_numIdEliS2_S2_S2_EEvT3_20rocsparse_direction_NS_24const_host_device_scalarIT1_EES3_PKS3_PKT2_SC_S9_PKT4_PKT5_S7_PT6_21rocsparse_index_base_b ; -- Begin function _ZN9rocsparseL18bsrxmvn_4x4_kernelILj128ELj64E21rocsparse_complex_numIdEliS2_S2_S2_EEvT3_20rocsparse_direction_NS_24const_host_device_scalarIT1_EES3_PKS3_PKT2_SC_S9_PKT4_PKT5_S7_PT6_21rocsparse_index_base_b
	.p2align	8
	.type	_ZN9rocsparseL18bsrxmvn_4x4_kernelILj128ELj64E21rocsparse_complex_numIdEliS2_S2_S2_EEvT3_20rocsparse_direction_NS_24const_host_device_scalarIT1_EES3_PKS3_PKT2_SC_S9_PKT4_PKT5_S7_PT6_21rocsparse_index_base_b,@function
_ZN9rocsparseL18bsrxmvn_4x4_kernelILj128ELj64E21rocsparse_complex_numIdEliS2_S2_S2_EEvT3_20rocsparse_direction_NS_24const_host_device_scalarIT1_EES3_PKS3_PKT2_SC_S9_PKT4_PKT5_S7_PT6_21rocsparse_index_base_b: ; @_ZN9rocsparseL18bsrxmvn_4x4_kernelILj128ELj64E21rocsparse_complex_numIdEliS2_S2_S2_EEvT3_20rocsparse_direction_NS_24const_host_device_scalarIT1_EES3_PKS3_PKT2_SC_S9_PKT4_PKT5_S7_PT6_21rocsparse_index_base_b
; %bb.0:
	s_clause 0x1
	s_load_b64 s[12:13], s[0:1], 0x68
	s_load_b64 s[2:3], s[0:1], 0x8
	s_add_nc_u64 s[4:5], s[0:1], 8
	s_load_b64 s[6:7], s[0:1], 0x50
	s_wait_kmcnt 0x0
	s_bitcmp1_b32 s13, 0
	s_cselect_b32 s2, s4, s2
	s_cselect_b32 s3, s5, s3
	s_delay_alu instid0(SALU_CYCLE_1)
	v_dual_mov_b32 v1, s2 :: v_dual_mov_b32 v2, s3
	s_add_nc_u64 s[2:3], s[0:1], 0x50
	s_wait_alu 0xfffe
	s_cselect_b32 s2, s2, s6
	s_cselect_b32 s3, s3, s7
	flat_load_b128 v[5:8], v[1:2]
	s_wait_alu 0xfffe
	v_dual_mov_b32 v1, s2 :: v_dual_mov_b32 v2, s3
	flat_load_b128 v[1:4], v[1:2]
	s_wait_loadcnt_dscnt 0x101
	v_cmp_eq_f64_e32 vcc_lo, 0, v[5:6]
	v_cmp_eq_f64_e64 s2, 0, v[7:8]
	s_and_b32 s4, vcc_lo, s2
	s_mov_b32 s2, -1
	s_and_saveexec_b32 s3, s4
	s_cbranch_execz .LBB39_2
; %bb.1:
	s_wait_loadcnt_dscnt 0x0
	v_cmp_neq_f64_e32 vcc_lo, 1.0, v[1:2]
	v_cmp_neq_f64_e64 s2, 0, v[3:4]
	s_wait_alu 0xfffe
	s_or_b32 s2, vcc_lo, s2
	s_wait_alu 0xfffe
	s_or_not1_b32 s2, s2, exec_lo
.LBB39_2:
	s_wait_alu 0xfffe
	s_or_b32 exec_lo, exec_lo, s3
	s_and_saveexec_b32 s3, s2
	s_cbranch_execz .LBB39_8
; %bb.3:
	s_clause 0x1
	s_load_b64 s[4:5], s[0:1], 0x20
	s_load_b64 s[2:3], s[0:1], 0x0
	v_lshrrev_b32_e32 v9, 6, v0
	s_delay_alu instid0(VALU_DEP_1)
	v_lshl_or_b32 v25, ttmp9, 1, v9
	s_wait_kmcnt 0x0
	s_cmp_lg_u64 s[4:5], 0
	s_cbranch_scc0 .LBB39_9
; %bb.4:
	s_load_b32 s6, s[0:1], 0x18
	s_mov_b32 s7, 0
                                        ; implicit-def: $vgpr9
	s_wait_kmcnt 0x0
	v_cmp_gt_i32_e32 vcc_lo, s6, v25
	s_mov_b32 s6, 0
	s_and_saveexec_b32 s8, vcc_lo
	s_delay_alu instid0(SALU_CYCLE_1)
	s_xor_b32 s8, exec_lo, s8
	s_cbranch_execz .LBB39_6
; %bb.5:
	v_ashrrev_i32_e32 v26, 31, v25
	s_mov_b32 s6, exec_lo
	s_delay_alu instid0(VALU_DEP_1) | instskip(NEXT) | instid1(VALU_DEP_1)
	v_lshlrev_b64_e32 v[9:10], 2, v[25:26]
	v_add_co_u32 v9, vcc_lo, s4, v9
	s_delay_alu instid0(VALU_DEP_1)
	v_add_co_ci_u32_e64 v10, null, s5, v10, vcc_lo
	global_load_b32 v9, v[9:10], off
	s_wait_loadcnt 0x0
	v_subrev_nc_u32_e32 v9, s12, v9
.LBB39_6:
	s_or_b32 exec_lo, exec_lo, s8
	s_delay_alu instid0(SALU_CYCLE_1)
	s_and_b32 vcc_lo, exec_lo, s7
	s_wait_alu 0xfffe
	s_cbranch_vccz .LBB39_10
.LBB39_7:
	v_cmp_gt_i32_e32 vcc_lo, s2, v25
	s_and_not1_b32 s2, s6, exec_lo
	s_and_b32 s4, vcc_lo, exec_lo
	s_wait_alu 0xfffe
	s_or_b32 s6, s2, s4
	s_wait_alu 0xfffe
	s_and_b32 exec_lo, exec_lo, s6
	s_cbranch_execnz .LBB39_11
.LBB39_8:
	s_nop 0
	s_sendmsg sendmsg(MSG_DEALLOC_VGPRS)
	s_endpgm
.LBB39_9:
	s_mov_b32 s6, 0
                                        ; implicit-def: $vgpr9
	s_cbranch_execnz .LBB39_7
.LBB39_10:
	v_mov_b32_e32 v25, v9
	s_and_b32 exec_lo, exec_lo, s6
	s_cbranch_execz .LBB39_8
.LBB39_11:
	s_load_b256 s[4:11], s[0:1], 0x28
	s_delay_alu instid0(VALU_DEP_1) | instskip(SKIP_1) | instid1(VALU_DEP_2)
	v_ashrrev_i32_e32 v26, 31, v25
	v_and_b32_e32 v0, 63, v0
	v_lshlrev_b64_e32 v[9:10], 3, v[25:26]
	s_wait_kmcnt 0x0
	s_delay_alu instid0(VALU_DEP_1) | instskip(SKIP_1) | instid1(VALU_DEP_2)
	v_add_co_u32 v11, vcc_lo, s4, v9
	s_wait_alu 0xfffd
	v_add_co_ci_u32_e64 v12, null, s5, v10, vcc_lo
	v_add_co_u32 v9, vcc_lo, s6, v9
	s_wait_alu 0xfffd
	v_add_co_ci_u32_e64 v10, null, s7, v10, vcc_lo
	;; [unrolled: 3-line block ×3, first 2 shown]
	global_load_b64 v[48:49], v[11:12], off
	s_cmp_eq_u64 s[6:7], 0
	s_load_b64 s[4:5], s[0:1], 0x48
	s_cselect_b32 vcc_lo, -1, 0
	s_cmp_eq_u32 s3, 1
	s_wait_alu 0xfffe
	v_dual_cndmask_b32 v10, v10, v14 :: v_dual_cndmask_b32 v9, v9, v13
	global_load_b64 v[9:10], v[9:10], off
	s_wait_loadcnt 0x1
	v_sub_co_u32 v11, vcc_lo, v48, s12
	s_wait_alu 0xfffd
	v_subrev_co_ci_u32_e64 v12, null, 0, v49, vcc_lo
	s_delay_alu instid0(VALU_DEP_2) | instskip(SKIP_1) | instid1(VALU_DEP_2)
	v_add_co_u32 v26, vcc_lo, v11, v0
	s_wait_alu 0xfffd
	v_add_co_ci_u32_e64 v27, null, 0, v12, vcc_lo
	s_wait_loadcnt 0x0
	v_sub_co_u32 v28, vcc_lo, v9, s12
	s_wait_alu 0xfffd
	v_subrev_co_ci_u32_e64 v29, null, 0, v10, vcc_lo
	v_lshlrev_b64_e32 v[9:10], 8, v[26:27]
	s_delay_alu instid0(VALU_DEP_2) | instskip(NEXT) | instid1(VALU_DEP_2)
	v_cmp_lt_i64_e64 s2, v[26:27], v[28:29]
	v_add_co_u32 v30, vcc_lo, s10, v9
	s_wait_alu 0xfffd
	s_delay_alu instid0(VALU_DEP_3)
	v_add_co_ci_u32_e64 v31, null, s11, v10, vcc_lo
	s_cbranch_scc1 .LBB39_23
; %bb.12:
	v_mov_b32_e32 v34, 0
	v_mov_b32_e32 v32, 0
	;; [unrolled: 1-line block ×3, first 2 shown]
	v_dual_mov_b32 v46, 0 :: v_dual_mov_b32 v35, 0
	v_dual_mov_b32 v40, 0 :: v_dual_mov_b32 v33, 0
	;; [unrolled: 1-line block ×5, first 2 shown]
	v_mov_b32_e32 v37, 0
	v_mov_b32_e32 v43, 0
	;; [unrolled: 1-line block ×3, first 2 shown]
	s_and_saveexec_b32 s6, s2
	s_cbranch_execz .LBB39_22
; %bb.13:
	v_or_b32_e32 v9, 64, v0
	v_not_b32_e32 v13, v48
	v_not_b32_e32 v11, v49
	v_mov_b32_e32 v36, 0
	v_mov_b32_e32 v40, 0
	v_sub_co_u32 v9, s3, v9, s12
	s_wait_alu 0xf1ff
	v_sub_co_ci_u32_e64 v10, null, 0, 0, s3
	v_sub_co_u32 v14, s3, s12, v0
	s_delay_alu instid0(VALU_DEP_3) | instskip(SKIP_1) | instid1(VALU_DEP_3)
	v_add_co_u32 v9, vcc_lo, v9, v48
	s_wait_alu 0xfffd
	v_add_co_ci_u32_e64 v10, null, v10, v49, vcc_lo
	s_wait_alu 0xf1ff
	v_sub_co_ci_u32_e64 v15, null, 0, 0, s3
	v_add_co_u32 v13, s3, v14, v13
	s_delay_alu instid0(VALU_DEP_3)
	v_cmp_gt_i64_e32 vcc_lo, v[9:10], v[28:29]
	v_mov_b32_e32 v38, 0
	s_wait_alu 0xf1ff
	v_add_co_ci_u32_e64 v11, null, v15, v11, s3
	v_mov_b32_e32 v46, 0
	s_wait_alu 0xfffd
	v_dual_mov_b32 v42, 0 :: v_dual_cndmask_b32 v9, v28, v9
	v_dual_cndmask_b32 v10, v29, v10 :: v_dual_mov_b32 v47, 0
	v_dual_mov_b32 v37, 0 :: v_dual_mov_b32 v32, 0
	s_delay_alu instid0(VALU_DEP_3)
	v_add_co_u32 v9, vcc_lo, v13, v9
	v_dual_mov_b32 v44, 0 :: v_dual_mov_b32 v41, 0
	v_mov_b32_e32 v34, 0
	v_dual_mov_b32 v12, 0 :: v_dual_mov_b32 v39, 0
	v_mov_b32_e32 v43, 0
	v_mov_b32_e32 v45, 0
	s_wait_alu 0xfffd
	v_add_co_ci_u32_e64 v10, null, v11, v10, vcc_lo
	v_and_b32_e32 v11, 0xc0, v9
	v_mov_b32_e32 v33, 0
	v_mov_b32_e32 v35, 0
	v_dual_mov_b32 v53, v31 :: v_dual_mov_b32 v52, v30
	v_dual_mov_b32 v51, v27 :: v_dual_mov_b32 v50, v26
	s_mov_b32 s7, exec_lo
	v_cmpx_ne_u64_e32 0xc0, v[11:12]
	s_cbranch_execz .LBB39_17
; %bb.14:
	v_lshrrev_b32_e32 v13, 6, v9
	v_lshlrev_b64_e32 v[11:12], 2, v[26:27]
	v_dual_mov_b32 v51, v27 :: v_dual_mov_b32 v40, 0
	v_dual_mov_b32 v41, 0 :: v_dual_mov_b32 v32, 0
	s_delay_alu instid0(VALU_DEP_4) | instskip(SKIP_2) | instid1(VALU_DEP_3)
	v_dual_mov_b32 v34, 0 :: v_dual_add_nc_u32 v13, 1, v13
	v_dual_mov_b32 v33, 0 :: v_dual_mov_b32 v36, 0
	v_add_co_u32 v11, vcc_lo, s8, v11
	v_dual_mov_b32 v44, 0 :: v_dual_and_b32 v13, 3, v13
	v_dual_mov_b32 v37, 0 :: v_dual_mov_b32 v42, 0
	v_dual_mov_b32 v45, 0 :: v_dual_mov_b32 v46, 0
	s_delay_alu instid0(VALU_DEP_3)
	v_sub_co_u32 v13, s3, 0, v13
	v_dual_mov_b32 v43, 0 :: v_dual_mov_b32 v38, 0
	v_mov_b32_e32 v53, v31
	v_dual_mov_b32 v35, 0 :: v_dual_mov_b32 v50, v26
	s_wait_alu 0xfffd
	v_add_co_ci_u32_e64 v12, null, s9, v12, vcc_lo
	s_wait_alu 0xf1ff
	v_sub_co_ci_u32_e64 v14, null, 0, 0, s3
	v_dual_mov_b32 v47, 0 :: v_dual_mov_b32 v52, v30
	v_mov_b32_e32 v39, 0
	s_mov_b32 s10, 0
.LBB39_15:                              ; =>This Inner Loop Header: Depth=1
	global_load_b32 v23, v[11:12], off
	s_clause 0x7
	global_load_b128 v[15:18], v[52:53], off offset:16
	global_load_b128 v[19:22], v[52:53], off
	global_load_b128 v[54:57], v[52:53], off offset:80
	global_load_b128 v[58:61], v[52:53], off offset:64
	;; [unrolled: 1-line block ×6, first 2 shown]
	v_add_co_u32 v11, s3, 0x100, v11
	s_wait_alu 0xf1ff
	v_add_co_ci_u32_e64 v12, null, 0, v12, s3
	s_wait_loadcnt 0x8
	v_subrev_nc_u32_e32 v23, s12, v23
	s_delay_alu instid0(VALU_DEP_1) | instskip(NEXT) | instid1(VALU_DEP_1)
	v_lshlrev_b32_e32 v23, 2, v23
	v_ashrrev_i32_e32 v24, 31, v23
	s_delay_alu instid0(VALU_DEP_1) | instskip(SKIP_1) | instid1(VALU_DEP_1)
	v_lshlrev_b64_e32 v[23:24], 4, v[23:24]
	s_wait_kmcnt 0x0
	v_add_co_u32 v23, vcc_lo, s4, v23
	s_wait_alu 0xfffd
	s_delay_alu instid0(VALU_DEP_2)
	v_add_co_ci_u32_e64 v24, null, s5, v24, vcc_lo
	s_clause 0x1
	global_load_b128 v[78:81], v[23:24], off
	global_load_b128 v[82:85], v[23:24], off offset:16
	s_clause 0x7
	global_load_b128 v[86:89], v[52:53], off offset:48
	global_load_b128 v[90:93], v[52:53], off offset:32
	;; [unrolled: 1-line block ×8, first 2 shown]
	s_clause 0x1
	global_load_b128 v[118:121], v[23:24], off offset:32
	global_load_b128 v[122:125], v[23:24], off offset:48
	v_add_co_u32 v52, vcc_lo, 0x4000, v52
	s_wait_alu 0xfffd
	v_add_co_ci_u32_e64 v53, null, 0, v53, vcc_lo
	v_add_co_u32 v13, vcc_lo, v13, 1
	s_wait_alu 0xfffd
	v_add_co_ci_u32_e64 v14, null, 0, v14, vcc_lo
	;; [unrolled: 3-line block ×3, first 2 shown]
	s_delay_alu instid0(VALU_DEP_3)
	v_cmp_eq_u64_e32 vcc_lo, 0, v[13:14]
	s_wait_alu 0xfffe
	s_or_b32 s10, vcc_lo, s10
	s_wait_loadcnt 0xb
	v_fma_f64 v[23:24], v[19:20], v[78:79], v[40:41]
	v_fma_f64 v[34:35], v[21:22], v[78:79], v[34:35]
	v_fma_f64 v[40:41], v[58:59], v[78:79], v[46:47]
	v_fma_f64 v[38:39], v[60:61], v[78:79], v[38:39]
	v_fma_f64 v[44:45], v[66:67], v[78:79], v[44:45]
	v_fma_f64 v[42:43], v[68:69], v[78:79], v[42:43]
	v_fma_f64 v[32:33], v[74:75], v[78:79], v[32:33]
	v_fma_f64 v[36:37], v[76:77], v[78:79], v[36:37]
	v_fma_f64 v[21:22], -v[21:22], v[80:81], v[23:24]
	v_fma_f64 v[19:20], v[19:20], v[80:81], v[34:35]
	v_fma_f64 v[23:24], -v[60:61], v[80:81], v[40:41]
	v_fma_f64 v[34:35], v[58:59], v[80:81], v[38:39]
	v_fma_f64 v[38:39], -v[68:69], v[80:81], v[44:45]
	v_fma_f64 v[40:41], v[66:67], v[80:81], v[42:43]
	v_fma_f64 v[32:33], -v[76:77], v[80:81], v[32:33]
	v_fma_f64 v[36:37], v[74:75], v[80:81], v[36:37]
	s_wait_loadcnt 0xa
	v_fma_f64 v[21:22], v[15:16], v[82:83], v[21:22]
	v_fma_f64 v[19:20], v[17:18], v[82:83], v[19:20]
	v_fma_f64 v[23:24], v[54:55], v[82:83], v[23:24]
	v_fma_f64 v[34:35], v[56:57], v[82:83], v[34:35]
	v_fma_f64 v[38:39], v[62:63], v[82:83], v[38:39]
	v_fma_f64 v[40:41], v[64:65], v[82:83], v[40:41]
	v_fma_f64 v[32:33], v[70:71], v[82:83], v[32:33]
	v_fma_f64 v[36:37], v[72:73], v[82:83], v[36:37]
	v_fma_f64 v[17:18], -v[17:18], v[84:85], v[21:22]
	v_fma_f64 v[15:16], v[15:16], v[84:85], v[19:20]
	v_fma_f64 v[19:20], -v[56:57], v[84:85], v[23:24]
	v_fma_f64 v[21:22], v[54:55], v[84:85], v[34:35]
	v_fma_f64 v[23:24], -v[64:65], v[84:85], v[38:39]
	v_fma_f64 v[34:35], v[62:63], v[84:85], v[40:41]
	v_fma_f64 v[32:33], -v[72:73], v[84:85], v[32:33]
	v_fma_f64 v[36:37], v[70:71], v[84:85], v[36:37]
	;; [unrolled: 17-line block ×4, first 2 shown]
	s_wait_alu 0xfffe
	s_and_not1_b32 exec_lo, exec_lo, s10
	s_cbranch_execnz .LBB39_15
; %bb.16:
	s_or_b32 exec_lo, exec_lo, s10
.LBB39_17:
	s_wait_alu 0xfffe
	s_or_b32 exec_lo, exec_lo, s7
	s_delay_alu instid0(SALU_CYCLE_1)
	s_mov_b32 s7, exec_lo
	v_cmpx_lt_u64_e32 0xbf, v[9:10]
	s_cbranch_execz .LBB39_21
; %bb.18:
	v_lshlrev_b64_e32 v[9:10], 2, v[50:51]
	s_mov_b32 s10, 0
	s_delay_alu instid0(VALU_DEP_1) | instskip(SKIP_1) | instid1(VALU_DEP_2)
	v_add_co_u32 v9, vcc_lo, s8, v9
	s_wait_alu 0xfffd
	v_add_co_ci_u32_e64 v10, null, s9, v10, vcc_lo
	s_delay_alu instid0(VALU_DEP_2) | instskip(SKIP_1) | instid1(VALU_DEP_2)
	v_add_co_u32 v54, vcc_lo, 0x200, v9
	s_wait_alu 0xfffd
	v_add_co_ci_u32_e64 v55, null, 0, v10, vcc_lo
.LBB39_19:                              ; =>This Inner Loop Header: Depth=1
	s_clause 0x1
	global_load_b32 v56, v[54:55], off offset:-512
	global_load_b32 v57, v[54:55], off offset:-256
	s_clause 0x3
	global_load_b128 v[21:24], v[52:53], off
	global_load_b128 v[17:20], v[52:53], off offset:64
	global_load_b128 v[13:16], v[52:53], off offset:128
	;; [unrolled: 1-line block ×3, first 2 shown]
	s_clause 0x1
	global_load_b32 v154, v[54:55], off
	global_load_b32 v156, v[54:55], off offset:256
	v_add_co_u32 v54, s3, 0x400, v54
	s_wait_alu 0xf1ff
	v_add_co_ci_u32_e64 v55, null, 0, v55, s3
	s_wait_loadcnt 0x7
	v_subrev_nc_u32_e32 v56, s12, v56
	s_delay_alu instid0(VALU_DEP_1)
	v_lshlrev_b32_e32 v58, 2, v56
	s_wait_loadcnt 0x6
	v_subrev_nc_u32_e32 v56, s12, v57
	s_wait_loadcnt 0x1
	v_subrev_nc_u32_e32 v154, s12, v154
	v_ashrrev_i32_e32 v59, 31, v58
	s_delay_alu instid0(VALU_DEP_3) | instskip(NEXT) | instid1(VALU_DEP_3)
	v_lshlrev_b32_e32 v56, 2, v56
	v_lshlrev_b32_e32 v154, 2, v154
	s_delay_alu instid0(VALU_DEP_3) | instskip(NEXT) | instid1(VALU_DEP_3)
	v_lshlrev_b64_e32 v[58:59], 4, v[58:59]
	v_ashrrev_i32_e32 v57, 31, v56
	s_delay_alu instid0(VALU_DEP_3) | instskip(NEXT) | instid1(VALU_DEP_2)
	v_ashrrev_i32_e32 v155, 31, v154
	v_lshlrev_b64_e32 v[56:57], 4, v[56:57]
	s_wait_kmcnt 0x0
	s_delay_alu instid0(VALU_DEP_4)
	v_add_co_u32 v118, vcc_lo, s4, v58
	s_wait_alu 0xfffd
	v_add_co_ci_u32_e64 v119, null, s5, v59, vcc_lo
	global_load_b128 v[58:61], v[118:119], off
	s_clause 0x3
	global_load_b128 v[62:65], v[52:53], off offset:16
	global_load_b128 v[66:69], v[52:53], off offset:80
	global_load_b128 v[70:73], v[52:53], off offset:144
	global_load_b128 v[74:77], v[52:53], off offset:208
	global_load_b128 v[78:81], v[118:119], off offset:16
	s_clause 0x3
	global_load_b128 v[82:85], v[52:53], off offset:32
	global_load_b128 v[86:89], v[52:53], off offset:96
	global_load_b128 v[90:93], v[52:53], off offset:160
	global_load_b128 v[94:97], v[52:53], off offset:224
	global_load_b128 v[98:101], v[118:119], off offset:32
	;; [unrolled: 6-line block ×3, first 2 shown]
	s_clause 0x3
	global_load_b128 v[122:125], v[52:53], off offset:16384
	global_load_b128 v[126:129], v[52:53], off offset:16448
	;; [unrolled: 1-line block ×4, first 2 shown]
	v_add_co_u32 v142, vcc_lo, s4, v56
	s_wait_alu 0xfffd
	v_add_co_ci_u32_e64 v143, null, s5, v57, vcc_lo
	global_load_b128 v[138:141], v[142:143], off
	s_wait_loadcnt 0x14
	v_fma_f64 v[40:41], v[21:22], v[58:59], v[40:41]
	v_fma_f64 v[34:35], v[23:24], v[58:59], v[34:35]
	v_fma_f64 v[46:47], v[17:18], v[58:59], v[46:47]
	v_fma_f64 v[38:39], v[19:20], v[58:59], v[38:39]
	v_fma_f64 v[44:45], v[13:14], v[58:59], v[44:45]
	v_fma_f64 v[42:43], v[15:16], v[58:59], v[42:43]
	v_fma_f64 v[32:33], v[9:10], v[58:59], v[32:33]
	v_fma_f64 v[36:37], v[11:12], v[58:59], v[36:37]
	v_fma_f64 v[40:41], -v[23:24], v[60:61], v[40:41]
	v_fma_f64 v[56:57], v[21:22], v[60:61], v[34:35]
	v_fma_f64 v[46:47], -v[19:20], v[60:61], v[46:47]
	v_fma_f64 v[38:39], v[17:18], v[60:61], v[38:39]
	v_fma_f64 v[44:45], -v[15:16], v[60:61], v[44:45]
	v_fma_f64 v[42:43], v[13:14], v[60:61], v[42:43]
	v_fma_f64 v[58:59], -v[11:12], v[60:61], v[32:33]
	v_fma_f64 v[36:37], v[9:10], v[60:61], v[36:37]
	s_clause 0x3
	global_load_b128 v[9:12], v[52:53], off offset:16400
	global_load_b128 v[13:16], v[52:53], off offset:16464
	global_load_b128 v[17:20], v[52:53], off offset:16528
	global_load_b128 v[21:24], v[52:53], off offset:16592
	global_load_b128 v[32:35], v[142:143], off offset:16
	s_wait_loadcnt 0x14
	v_fma_f64 v[40:41], v[62:63], v[78:79], v[40:41]
	v_fma_f64 v[56:57], v[64:65], v[78:79], v[56:57]
	v_fma_f64 v[46:47], v[66:67], v[78:79], v[46:47]
	v_fma_f64 v[38:39], v[68:69], v[78:79], v[38:39]
	v_fma_f64 v[44:45], v[70:71], v[78:79], v[44:45]
	v_fma_f64 v[42:43], v[72:73], v[78:79], v[42:43]
	v_fma_f64 v[58:59], v[74:75], v[78:79], v[58:59]
	v_fma_f64 v[36:37], v[76:77], v[78:79], v[36:37]
	v_fma_f64 v[64:65], -v[64:65], v[80:81], v[40:41]
	v_fma_f64 v[78:79], v[62:63], v[80:81], v[56:57]
	v_fma_f64 v[68:69], -v[68:69], v[80:81], v[46:47]
	v_fma_f64 v[66:67], v[66:67], v[80:81], v[38:39]
	v_fma_f64 v[72:73], -v[72:73], v[80:81], v[44:45]
	v_fma_f64 v[70:71], v[70:71], v[80:81], v[42:43]
	v_fma_f64 v[76:77], -v[76:77], v[80:81], v[58:59]
	v_fma_f64 v[74:75], v[74:75], v[80:81], v[36:37]
	s_clause 0x3
	global_load_b128 v[36:39], v[52:53], off offset:16416
	global_load_b128 v[40:43], v[52:53], off offset:16480
	global_load_b128 v[44:47], v[52:53], off offset:16544
	global_load_b128 v[56:59], v[52:53], off offset:16608
	global_load_b128 v[60:63], v[142:143], off offset:32
	;; [unrolled: 23-line block ×3, first 2 shown]
	s_wait_loadcnt 0x14
	v_fma_f64 v[100:101], v[102:103], v[118:119], v[84:85]
	v_fma_f64 v[142:143], v[104:105], v[118:119], v[98:99]
	;; [unrolled: 1-line block ×8, first 2 shown]
	s_clause 0x3
	global_load_b128 v[84:87], v[52:53], off offset:32768
	global_load_b128 v[88:91], v[52:53], off offset:32832
	;; [unrolled: 1-line block ×4, first 2 shown]
	v_fma_f64 v[104:105], -v[104:105], v[120:121], v[100:101]
	v_fma_f64 v[142:143], v[102:103], v[120:121], v[142:143]
	v_fma_f64 v[108:109], -v[108:109], v[120:121], v[144:145]
	v_fma_f64 v[106:107], v[106:107], v[120:121], v[146:147]
	;; [unrolled: 2-line block ×4, first 2 shown]
	v_lshlrev_b64_e32 v[100:101], 4, v[154:155]
	v_subrev_nc_u32_e32 v154, s12, v156
	s_delay_alu instid0(VALU_DEP_2) | instskip(SKIP_1) | instid1(VALU_DEP_3)
	v_add_co_u32 v144, vcc_lo, s4, v100
	s_wait_alu 0xfffd
	v_add_co_ci_u32_e64 v145, null, s5, v101, vcc_lo
	s_delay_alu instid0(VALU_DEP_3)
	v_lshlrev_b32_e32 v154, 2, v154
	global_load_b128 v[100:103], v[144:145], off
	v_ashrrev_i32_e32 v155, 31, v154
	s_wait_loadcnt 0x14
	v_fma_f64 v[104:105], v[122:123], v[138:139], v[104:105]
	v_fma_f64 v[118:119], v[124:125], v[138:139], v[142:143]
	v_fma_f64 v[108:109], v[126:127], v[138:139], v[108:109]
	v_fma_f64 v[106:107], v[128:129], v[138:139], v[106:107]
	v_fma_f64 v[112:113], v[130:131], v[138:139], v[112:113]
	v_fma_f64 v[110:111], v[132:133], v[138:139], v[110:111]
	v_fma_f64 v[116:117], v[134:135], v[138:139], v[116:117]
	v_fma_f64 v[114:115], v[136:137], v[138:139], v[114:115]
	v_fma_f64 v[124:125], -v[124:125], v[140:141], v[104:105]
	v_fma_f64 v[138:139], v[122:123], v[140:141], v[118:119]
	v_fma_f64 v[128:129], -v[128:129], v[140:141], v[108:109]
	v_fma_f64 v[126:127], v[126:127], v[140:141], v[106:107]
	v_fma_f64 v[132:133], -v[132:133], v[140:141], v[112:113]
	v_fma_f64 v[130:131], v[130:131], v[140:141], v[110:111]
	v_fma_f64 v[136:137], -v[136:137], v[140:141], v[116:117]
	v_fma_f64 v[134:135], v[134:135], v[140:141], v[114:115]
	s_clause 0x3
	global_load_b128 v[104:107], v[52:53], off offset:32784
	global_load_b128 v[108:111], v[52:53], off offset:32848
	global_load_b128 v[112:115], v[52:53], off offset:32912
	global_load_b128 v[116:119], v[52:53], off offset:32976
	global_load_b128 v[120:123], v[144:145], off offset:16
	s_wait_loadcnt 0x14
	v_fma_f64 v[124:125], v[9:10], v[32:33], v[124:125]
	v_fma_f64 v[138:139], v[11:12], v[32:33], v[138:139]
	v_fma_f64 v[128:129], v[13:14], v[32:33], v[128:129]
	v_fma_f64 v[126:127], v[15:16], v[32:33], v[126:127]
	v_fma_f64 v[132:133], v[17:18], v[32:33], v[132:133]
	v_fma_f64 v[130:131], v[19:20], v[32:33], v[130:131]
	v_fma_f64 v[136:137], v[21:22], v[32:33], v[136:137]
	v_fma_f64 v[32:33], v[23:24], v[32:33], v[134:135]
	v_fma_f64 v[124:125], -v[11:12], v[34:35], v[124:125]
	v_fma_f64 v[134:135], v[9:10], v[34:35], v[138:139]
	v_fma_f64 v[128:129], -v[15:16], v[34:35], v[128:129]
	v_fma_f64 v[126:127], v[13:14], v[34:35], v[126:127]
	v_fma_f64 v[132:133], -v[19:20], v[34:35], v[132:133]
	v_fma_f64 v[130:131], v[17:18], v[34:35], v[130:131]
	v_fma_f64 v[136:137], -v[23:24], v[34:35], v[136:137]
	v_fma_f64 v[138:139], v[21:22], v[34:35], v[32:33]
	s_clause 0x3
	global_load_b128 v[9:12], v[52:53], off offset:32800
	global_load_b128 v[13:16], v[52:53], off offset:32864
	global_load_b128 v[17:20], v[52:53], off offset:32928
	global_load_b128 v[21:24], v[52:53], off offset:32992
	global_load_b128 v[32:35], v[144:145], off offset:32
	s_wait_loadcnt 0x14
	v_fma_f64 v[124:125], v[36:37], v[60:61], v[124:125]
	v_fma_f64 v[134:135], v[38:39], v[60:61], v[134:135]
	v_fma_f64 v[128:129], v[40:41], v[60:61], v[128:129]
	v_fma_f64 v[126:127], v[42:43], v[60:61], v[126:127]
	v_fma_f64 v[132:133], v[44:45], v[60:61], v[132:133]
	v_fma_f64 v[130:131], v[46:47], v[60:61], v[130:131]
	v_fma_f64 v[136:137], v[56:57], v[60:61], v[136:137]
	v_fma_f64 v[60:61], v[58:59], v[60:61], v[138:139]
	v_fma_f64 v[124:125], -v[38:39], v[62:63], v[124:125]
	v_fma_f64 v[134:135], v[36:37], v[62:63], v[134:135]
	v_fma_f64 v[128:129], -v[42:43], v[62:63], v[128:129]
	v_fma_f64 v[126:127], v[40:41], v[62:63], v[126:127]
	v_fma_f64 v[132:133], -v[46:47], v[62:63], v[132:133]
	v_fma_f64 v[130:131], v[44:45], v[62:63], v[130:131]
	v_fma_f64 v[136:137], -v[58:59], v[62:63], v[136:137]
	v_fma_f64 v[138:139], v[56:57], v[62:63], v[60:61]
	s_clause 0x3
	global_load_b128 v[36:39], v[52:53], off offset:32816
	global_load_b128 v[40:43], v[52:53], off offset:32880
	global_load_b128 v[44:47], v[52:53], off offset:32944
	global_load_b128 v[56:59], v[52:53], off offset:33008
	global_load_b128 v[60:63], v[144:145], off offset:48
	s_wait_loadcnt 0x14
	v_fma_f64 v[140:141], v[64:65], v[80:81], v[124:125]
	v_fma_f64 v[142:143], v[66:67], v[80:81], v[134:135]
	;; [unrolled: 1-line block ×8, first 2 shown]
	s_clause 0x3
	global_load_b128 v[124:127], v[52:53], off offset:49152
	global_load_b128 v[128:131], v[52:53], off offset:49216
	;; [unrolled: 1-line block ×4, first 2 shown]
	v_fma_f64 v[140:141], -v[66:67], v[82:83], v[140:141]
	v_fma_f64 v[142:143], v[64:65], v[82:83], v[142:143]
	v_fma_f64 v[70:71], -v[70:71], v[82:83], v[144:145]
	v_fma_f64 v[68:69], v[68:69], v[82:83], v[146:147]
	;; [unrolled: 2-line block ×4, first 2 shown]
	v_lshlrev_b64_e32 v[64:65], 4, v[154:155]
	s_delay_alu instid0(VALU_DEP_1) | instskip(SKIP_1) | instid1(VALU_DEP_2)
	v_add_co_u32 v144, vcc_lo, s4, v64
	s_wait_alu 0xfffd
	v_add_co_ci_u32_e64 v145, null, s5, v65, vcc_lo
	v_add_co_u32 v50, vcc_lo, 0x100, v50
	s_wait_alu 0xfffd
	v_add_co_ci_u32_e64 v51, null, 0, v51, vcc_lo
	global_load_b128 v[64:67], v[144:145], off
	s_wait_loadcnt 0x14
	v_fma_f64 v[80:81], v[84:85], v[100:101], v[140:141]
	v_fma_f64 v[82:83], v[86:87], v[100:101], v[142:143]
	v_fma_f64 v[70:71], v[88:89], v[100:101], v[70:71]
	v_fma_f64 v[68:69], v[90:91], v[100:101], v[68:69]
	v_fma_f64 v[74:75], v[92:93], v[100:101], v[74:75]
	v_fma_f64 v[72:73], v[94:95], v[100:101], v[72:73]
	v_fma_f64 v[78:79], v[96:97], v[100:101], v[78:79]
	v_fma_f64 v[76:77], v[98:99], v[100:101], v[76:77]
	v_fma_f64 v[100:101], -v[86:87], v[102:103], v[80:81]
	v_fma_f64 v[140:141], v[84:85], v[102:103], v[82:83]
	v_fma_f64 v[90:91], -v[90:91], v[102:103], v[70:71]
	v_fma_f64 v[88:89], v[88:89], v[102:103], v[68:69]
	v_fma_f64 v[94:95], -v[94:95], v[102:103], v[74:75]
	v_fma_f64 v[92:93], v[92:93], v[102:103], v[72:73]
	v_fma_f64 v[98:99], -v[98:99], v[102:103], v[78:79]
	v_fma_f64 v[96:97], v[96:97], v[102:103], v[76:77]
	s_clause 0x3
	global_load_b128 v[68:71], v[52:53], off offset:49168
	global_load_b128 v[72:75], v[52:53], off offset:49232
	global_load_b128 v[76:79], v[52:53], off offset:49296
	global_load_b128 v[80:83], v[52:53], off offset:49360
	global_load_b128 v[84:87], v[144:145], off offset:16
	s_wait_loadcnt 0x14
	v_fma_f64 v[100:101], v[104:105], v[120:121], v[100:101]
	v_fma_f64 v[102:103], v[106:107], v[120:121], v[140:141]
	v_fma_f64 v[90:91], v[108:109], v[120:121], v[90:91]
	v_fma_f64 v[88:89], v[110:111], v[120:121], v[88:89]
	v_fma_f64 v[94:95], v[112:113], v[120:121], v[94:95]
	v_fma_f64 v[92:93], v[114:115], v[120:121], v[92:93]
	v_fma_f64 v[98:99], v[116:117], v[120:121], v[98:99]
	v_fma_f64 v[96:97], v[118:119], v[120:121], v[96:97]
	v_fma_f64 v[120:121], -v[106:107], v[122:123], v[100:101]
	v_fma_f64 v[140:141], v[104:105], v[122:123], v[102:103]
	v_fma_f64 v[110:111], -v[110:111], v[122:123], v[90:91]
	v_fma_f64 v[108:109], v[108:109], v[122:123], v[88:89]
	v_fma_f64 v[114:115], -v[114:115], v[122:123], v[94:95]
	v_fma_f64 v[112:113], v[112:113], v[122:123], v[92:93]
	v_fma_f64 v[118:119], -v[118:119], v[122:123], v[98:99]
	v_fma_f64 v[116:117], v[116:117], v[122:123], v[96:97]
	s_clause 0x3
	global_load_b128 v[88:91], v[52:53], off offset:49184
	global_load_b128 v[92:95], v[52:53], off offset:49248
	global_load_b128 v[96:99], v[52:53], off offset:49312
	global_load_b128 v[100:103], v[52:53], off offset:49376
	global_load_b128 v[104:107], v[144:145], off offset:32
	;; [unrolled: 23-line block ×3, first 2 shown]
	v_add_co_u32 v52, vcc_lo, 0x10000, v52
	s_wait_alu 0xfffd
	v_add_co_ci_u32_e64 v53, null, 0, v53, vcc_lo
	v_cmp_ge_i64_e32 vcc_lo, v[50:51], v[28:29]
	s_wait_alu 0xfffe
	s_or_b32 s10, vcc_lo, s10
	s_wait_loadcnt 0x14
	v_fma_f64 v[34:35], v[36:37], v[60:61], v[116:117]
	v_fma_f64 v[116:117], v[38:39], v[60:61], v[120:121]
	v_fma_f64 v[120:121], v[40:41], v[60:61], v[122:123]
	v_fma_f64 v[122:123], v[42:43], v[60:61], v[140:141]
	v_fma_f64 v[114:115], v[44:45], v[60:61], v[114:115]
	v_fma_f64 v[112:113], v[46:47], v[60:61], v[112:113]
	v_fma_f64 v[118:119], v[56:57], v[60:61], v[118:119]
	v_fma_f64 v[32:33], v[58:59], v[60:61], v[32:33]
	v_fma_f64 v[34:35], -v[38:39], v[62:63], v[34:35]
	v_fma_f64 v[36:37], v[36:37], v[62:63], v[116:117]
	v_fma_f64 v[38:39], -v[42:43], v[62:63], v[120:121]
	v_fma_f64 v[40:41], v[40:41], v[62:63], v[122:123]
	v_fma_f64 v[42:43], -v[46:47], v[62:63], v[114:115]
	v_fma_f64 v[44:45], v[44:45], v[62:63], v[112:113]
	v_fma_f64 v[46:47], -v[58:59], v[62:63], v[118:119]
	v_fma_f64 v[32:33], v[56:57], v[62:63], v[32:33]
	s_wait_loadcnt 0xf
	v_fma_f64 v[34:35], v[124:125], v[64:65], v[34:35]
	v_fma_f64 v[36:37], v[126:127], v[64:65], v[36:37]
	v_fma_f64 v[38:39], v[128:129], v[64:65], v[38:39]
	v_fma_f64 v[40:41], v[130:131], v[64:65], v[40:41]
	v_fma_f64 v[42:43], v[132:133], v[64:65], v[42:43]
	v_fma_f64 v[44:45], v[134:135], v[64:65], v[44:45]
	v_fma_f64 v[46:47], v[136:137], v[64:65], v[46:47]
	v_fma_f64 v[32:33], v[138:139], v[64:65], v[32:33]
	v_fma_f64 v[34:35], -v[126:127], v[66:67], v[34:35]
	v_fma_f64 v[36:37], v[124:125], v[66:67], v[36:37]
	v_fma_f64 v[38:39], -v[130:131], v[66:67], v[38:39]
	v_fma_f64 v[40:41], v[128:129], v[66:67], v[40:41]
	v_fma_f64 v[42:43], -v[134:135], v[66:67], v[42:43]
	v_fma_f64 v[44:45], v[132:133], v[66:67], v[44:45]
	v_fma_f64 v[46:47], -v[138:139], v[66:67], v[46:47]
	v_fma_f64 v[32:33], v[136:137], v[66:67], v[32:33]
	;; [unrolled: 17-line block ×5, first 2 shown]
	s_wait_alu 0xfffe
	s_and_not1_b32 exec_lo, exec_lo, s10
	s_cbranch_execnz .LBB39_19
; %bb.20:
	s_or_b32 exec_lo, exec_lo, s10
.LBB39_21:
	s_wait_alu 0xfffe
	s_or_b32 exec_lo, exec_lo, s7
.LBB39_22:
	s_wait_alu 0xfffe
	s_or_b32 exec_lo, exec_lo, s6
	s_cbranch_execz .LBB39_24
	s_branch .LBB39_35
.LBB39_23:
                                        ; implicit-def: $vgpr34_vgpr35
                                        ; implicit-def: $vgpr40_vgpr41
                                        ; implicit-def: $vgpr32_vgpr33
                                        ; implicit-def: $vgpr36_vgpr37
                                        ; implicit-def: $vgpr44_vgpr45
                                        ; implicit-def: $vgpr42_vgpr43
                                        ; implicit-def: $vgpr46_vgpr47
                                        ; implicit-def: $vgpr38_vgpr39
.LBB39_24:
	v_mov_b32_e32 v34, 0
	v_mov_b32_e32 v32, 0
	;; [unrolled: 1-line block ×3, first 2 shown]
	v_dual_mov_b32 v46, 0 :: v_dual_mov_b32 v35, 0
	v_dual_mov_b32 v40, 0 :: v_dual_mov_b32 v33, 0
	;; [unrolled: 1-line block ×5, first 2 shown]
	v_mov_b32_e32 v37, 0
	v_mov_b32_e32 v43, 0
	;; [unrolled: 1-line block ×3, first 2 shown]
	s_and_saveexec_b32 s3, s2
	s_cbranch_execz .LBB39_34
; %bb.25:
	v_or_b32_e32 v9, 64, v0
	v_not_b32_e32 v13, v48
	v_not_b32_e32 v11, v49
	v_mov_b32_e32 v44, 0
	v_mov_b32_e32 v32, 0
	v_sub_co_u32 v9, s2, v9, s12
	s_wait_alu 0xf1ff
	v_sub_co_ci_u32_e64 v10, null, 0, 0, s2
	v_sub_co_u32 v14, s2, s12, v0
	s_delay_alu instid0(VALU_DEP_3) | instskip(SKIP_1) | instid1(VALU_DEP_3)
	v_add_co_u32 v9, vcc_lo, v9, v48
	s_wait_alu 0xfffd
	v_add_co_ci_u32_e64 v10, null, v10, v49, vcc_lo
	s_wait_alu 0xf1ff
	v_sub_co_ci_u32_e64 v15, null, 0, 0, s2
	v_add_co_u32 v13, s2, v14, v13
	s_delay_alu instid0(VALU_DEP_3)
	v_cmp_gt_i64_e32 vcc_lo, v[9:10], v[28:29]
	v_mov_b32_e32 v12, 0
	s_wait_alu 0xf1ff
	v_add_co_ci_u32_e64 v11, null, v15, v11, s2
	v_mov_b32_e32 v38, 0
	s_wait_alu 0xfffd
	v_dual_mov_b32 v46, 0 :: v_dual_cndmask_b32 v9, v28, v9
	v_dual_cndmask_b32 v10, v29, v10 :: v_dual_mov_b32 v39, 0
	v_dual_mov_b32 v45, 0 :: v_dual_mov_b32 v36, 0
	s_delay_alu instid0(VALU_DEP_3)
	v_add_co_u32 v9, vcc_lo, v13, v9
	v_dual_mov_b32 v42, 0 :: v_dual_mov_b32 v33, 0
	v_mov_b32_e32 v40, 0
	v_dual_mov_b32 v34, 0 :: v_dual_mov_b32 v47, 0
	v_mov_b32_e32 v43, 0
	s_wait_alu 0xfffd
	v_add_co_ci_u32_e64 v10, null, v11, v10, vcc_lo
	v_and_b32_e32 v11, 0xc0, v9
	v_mov_b32_e32 v37, 0
	v_mov_b32_e32 v41, 0
	;; [unrolled: 1-line block ×3, first 2 shown]
	s_mov_b32 s6, exec_lo
	v_cmpx_ne_u64_e32 0xc0, v[11:12]
	s_cbranch_execz .LBB39_29
; %bb.26:
	v_lshrrev_b32_e32 v13, 6, v9
	v_mov_b32_e32 v32, 0
	v_lshlrev_b64_e32 v[11:12], 2, v[26:27]
	v_dual_mov_b32 v33, 0 :: v_dual_mov_b32 v36, 0
	s_delay_alu instid0(VALU_DEP_4) | instskip(SKIP_1) | instid1(VALU_DEP_4)
	v_dual_mov_b32 v34, 0 :: v_dual_add_nc_u32 v13, 1, v13
	v_dual_mov_b32 v37, 0 :: v_dual_mov_b32 v42, 0
	v_add_co_u32 v11, vcc_lo, s8, v11
	s_delay_alu instid0(VALU_DEP_3) | instskip(SKIP_2) | instid1(VALU_DEP_3)
	v_dual_mov_b32 v44, 0 :: v_dual_and_b32 v13, 3, v13
	v_dual_mov_b32 v35, 0 :: v_dual_mov_b32 v40, 0
	v_dual_mov_b32 v45, 0 :: v_dual_mov_b32 v46, 0
	v_sub_co_u32 v13, s2, 0, v13
	v_dual_mov_b32 v43, 0 :: v_dual_mov_b32 v38, 0
	v_mov_b32_e32 v41, 0
	s_wait_alu 0xfffd
	v_add_co_ci_u32_e64 v12, null, s9, v12, vcc_lo
	v_mov_b32_e32 v47, 0
	v_mov_b32_e32 v39, 0
	s_wait_alu 0xf1ff
	v_sub_co_ci_u32_e64 v14, null, 0, 0, s2
	s_mov_b32 s7, 0
.LBB39_27:                              ; =>This Inner Loop Header: Depth=1
	global_load_b32 v23, v[11:12], off
	s_clause 0x3
	global_load_b128 v[15:18], v[30:31], off offset:48
	global_load_b128 v[19:22], v[30:31], off offset:32
	;; [unrolled: 1-line block ×3, first 2 shown]
	global_load_b128 v[52:55], v[30:31], off
	v_add_co_u32 v11, s2, 0x100, v11
	s_wait_alu 0xf1ff
	v_add_co_ci_u32_e64 v12, null, 0, v12, s2
	s_wait_loadcnt 0x4
	v_subrev_nc_u32_e32 v23, s12, v23
	s_delay_alu instid0(VALU_DEP_1) | instskip(NEXT) | instid1(VALU_DEP_1)
	v_lshlrev_b32_e32 v23, 2, v23
	v_ashrrev_i32_e32 v24, 31, v23
	s_delay_alu instid0(VALU_DEP_1) | instskip(SKIP_1) | instid1(VALU_DEP_1)
	v_lshlrev_b64_e32 v[23:24], 4, v[23:24]
	s_wait_kmcnt 0x0
	v_add_co_u32 v23, vcc_lo, s4, v23
	s_wait_alu 0xfffd
	s_delay_alu instid0(VALU_DEP_2)
	v_add_co_ci_u32_e64 v24, null, s5, v24, vcc_lo
	s_clause 0x1
	global_load_b128 v[56:59], v[23:24], off
	global_load_b128 v[60:63], v[23:24], off offset:16
	s_clause 0x7
	global_load_b128 v[64:67], v[30:31], off offset:64
	global_load_b128 v[68:71], v[30:31], off offset:80
	;; [unrolled: 1-line block ×8, first 2 shown]
	s_clause 0x1
	global_load_b128 v[96:99], v[23:24], off offset:32
	global_load_b128 v[100:103], v[23:24], off offset:48
	s_clause 0x3
	global_load_b128 v[104:107], v[30:31], off offset:192
	global_load_b128 v[108:111], v[30:31], off offset:208
	;; [unrolled: 1-line block ×4, first 2 shown]
	v_add_co_u32 v30, vcc_lo, 0x4000, v30
	s_wait_alu 0xfffd
	v_add_co_ci_u32_e64 v31, null, 0, v31, vcc_lo
	v_add_co_u32 v13, vcc_lo, v13, 1
	s_wait_alu 0xfffd
	v_add_co_ci_u32_e64 v14, null, 0, v14, vcc_lo
	;; [unrolled: 3-line block ×3, first 2 shown]
	s_delay_alu instid0(VALU_DEP_3)
	v_cmp_eq_u64_e32 vcc_lo, 0, v[13:14]
	s_wait_alu 0xfffe
	s_or_b32 s7, vcc_lo, s7
	s_wait_loadcnt 0xf
	v_fma_f64 v[23:24], v[52:53], v[56:57], v[40:41]
	v_fma_f64 v[34:35], v[54:55], v[56:57], v[34:35]
	;; [unrolled: 1-line block ×8, first 2 shown]
	v_fma_f64 v[23:24], -v[54:55], v[58:59], v[23:24]
	v_fma_f64 v[34:35], v[52:53], v[58:59], v[34:35]
	v_fma_f64 v[40:41], -v[50:51], v[58:59], v[40:41]
	v_fma_f64 v[38:39], v[48:49], v[58:59], v[38:39]
	;; [unrolled: 2-line block ×4, first 2 shown]
	s_wait_loadcnt 0xd
	v_fma_f64 v[23:24], v[64:65], v[60:61], v[23:24]
	v_fma_f64 v[32:33], v[66:67], v[60:61], v[34:35]
	s_wait_loadcnt 0xc
	v_fma_f64 v[34:35], v[68:69], v[60:61], v[40:41]
	v_fma_f64 v[36:37], v[70:71], v[60:61], v[38:39]
	;; [unrolled: 3-line block ×4, first 2 shown]
	v_fma_f64 v[23:24], -v[66:67], v[62:63], v[23:24]
	v_fma_f64 v[32:33], v[64:65], v[62:63], v[32:33]
	v_fma_f64 v[34:35], -v[70:71], v[62:63], v[34:35]
	v_fma_f64 v[36:37], v[68:69], v[62:63], v[36:37]
	;; [unrolled: 2-line block ×4, first 2 shown]
	s_wait_loadcnt 0x5
	v_fma_f64 v[23:24], v[92:93], v[96:97], v[23:24]
	v_fma_f64 v[32:33], v[94:95], v[96:97], v[32:33]
	;; [unrolled: 1-line block ×8, first 2 shown]
	v_fma_f64 v[23:24], -v[94:95], v[98:99], v[23:24]
	v_fma_f64 v[32:33], v[92:93], v[98:99], v[32:33]
	v_fma_f64 v[34:35], -v[90:91], v[98:99], v[34:35]
	v_fma_f64 v[36:37], v[88:89], v[98:99], v[36:37]
	;; [unrolled: 2-line block ×4, first 2 shown]
	s_wait_loadcnt 0x3
	v_fma_f64 v[23:24], v[104:105], v[100:101], v[23:24]
	v_fma_f64 v[32:33], v[106:107], v[100:101], v[32:33]
	s_wait_loadcnt 0x2
	v_fma_f64 v[38:39], v[108:109], v[100:101], v[34:35]
	v_fma_f64 v[36:37], v[110:111], v[100:101], v[36:37]
	s_wait_loadcnt 0x1
	v_fma_f64 v[21:22], v[112:113], v[100:101], v[21:22]
	v_fma_f64 v[19:20], v[114:115], v[100:101], v[19:20]
	s_wait_loadcnt 0x0
	v_fma_f64 v[17:18], v[116:117], v[100:101], v[17:18]
	v_fma_f64 v[15:16], v[118:119], v[100:101], v[15:16]
	v_fma_f64 v[40:41], -v[106:107], v[102:103], v[23:24]
	v_fma_f64 v[34:35], v[104:105], v[102:103], v[32:33]
	v_fma_f64 v[46:47], -v[110:111], v[102:103], v[38:39]
	v_fma_f64 v[38:39], v[108:109], v[102:103], v[36:37]
	;; [unrolled: 2-line block ×4, first 2 shown]
	s_wait_alu 0xfffe
	s_and_not1_b32 exec_lo, exec_lo, s7
	s_cbranch_execnz .LBB39_27
; %bb.28:
	s_or_b32 exec_lo, exec_lo, s7
.LBB39_29:
	s_wait_alu 0xfffe
	s_or_b32 exec_lo, exec_lo, s6
	s_delay_alu instid0(SALU_CYCLE_1)
	s_mov_b32 s6, exec_lo
	v_cmpx_lt_u64_e32 0xbf, v[9:10]
	s_cbranch_execz .LBB39_33
; %bb.30:
	v_lshlrev_b64_e32 v[9:10], 2, v[26:27]
	s_mov_b32 s7, 0
	s_delay_alu instid0(VALU_DEP_1) | instskip(SKIP_1) | instid1(VALU_DEP_2)
	v_add_co_u32 v9, vcc_lo, s8, v9
	s_wait_alu 0xfffd
	v_add_co_ci_u32_e64 v10, null, s9, v10, vcc_lo
	s_delay_alu instid0(VALU_DEP_2) | instskip(SKIP_1) | instid1(VALU_DEP_2)
	v_add_co_u32 v9, vcc_lo, 0x200, v9
	s_wait_alu 0xfffd
	v_add_co_ci_u32_e64 v10, null, 0, v10, vcc_lo
.LBB39_31:                              ; =>This Inner Loop Header: Depth=1
	s_clause 0x1
	global_load_b32 v11, v[9:10], off offset:-512
	global_load_b32 v24, v[9:10], off offset:-256
	s_clause 0x3
	global_load_b128 v[12:15], v[30:31], off offset:48
	global_load_b128 v[16:19], v[30:31], off offset:32
	;; [unrolled: 1-line block ×3, first 2 shown]
	global_load_b128 v[48:51], v[30:31], off
	s_clause 0x1
	global_load_b32 v148, v[9:10], off
	global_load_b32 v150, v[9:10], off offset:256
	v_add_co_u32 v9, s2, 0x400, v9
	s_wait_alu 0xf1ff
	v_add_co_ci_u32_e64 v10, null, 0, v10, s2
	s_wait_loadcnt 0x7
	v_subrev_nc_u32_e32 v11, s12, v11
	s_delay_alu instid0(VALU_DEP_1)
	v_lshlrev_b32_e32 v52, 2, v11
	s_wait_loadcnt 0x6
	v_subrev_nc_u32_e32 v11, s12, v24
	s_wait_loadcnt 0x1
	v_subrev_nc_u32_e32 v148, s12, v148
	v_ashrrev_i32_e32 v53, 31, v52
	s_delay_alu instid0(VALU_DEP_3) | instskip(NEXT) | instid1(VALU_DEP_3)
	v_lshlrev_b32_e32 v132, 2, v11
	v_lshlrev_b32_e32 v148, 2, v148
	s_delay_alu instid0(VALU_DEP_3) | instskip(NEXT) | instid1(VALU_DEP_3)
	v_lshlrev_b64_e32 v[52:53], 4, v[52:53]
	v_ashrrev_i32_e32 v133, 31, v132
	s_delay_alu instid0(VALU_DEP_3) | instskip(NEXT) | instid1(VALU_DEP_2)
	v_ashrrev_i32_e32 v149, 31, v148
	v_lshlrev_b64_e32 v[132:133], 4, v[132:133]
	s_wait_kmcnt 0x0
	s_delay_alu instid0(VALU_DEP_4)
	v_add_co_u32 v112, vcc_lo, s4, v52
	s_wait_alu 0xfffd
	v_add_co_ci_u32_e64 v113, null, s5, v53, vcc_lo
	global_load_b128 v[52:55], v[112:113], off
	s_clause 0x3
	global_load_b128 v[56:59], v[30:31], off offset:112
	global_load_b128 v[60:63], v[30:31], off offset:96
	global_load_b128 v[64:67], v[30:31], off offset:80
	global_load_b128 v[68:71], v[30:31], off offset:64
	global_load_b128 v[72:75], v[112:113], off offset:16
	s_clause 0x3
	global_load_b128 v[76:79], v[30:31], off offset:176
	global_load_b128 v[80:83], v[30:31], off offset:160
	global_load_b128 v[84:87], v[30:31], off offset:144
	global_load_b128 v[88:91], v[30:31], off offset:128
	global_load_b128 v[92:95], v[112:113], off offset:32
	;; [unrolled: 6-line block ×3, first 2 shown]
	s_clause 0x3
	global_load_b128 v[116:119], v[30:31], off offset:16432
	global_load_b128 v[120:123], v[30:31], off offset:16416
	;; [unrolled: 1-line block ×4, first 2 shown]
	v_add_co_u32 v136, vcc_lo, s4, v132
	s_wait_alu 0xfffd
	v_add_co_ci_u32_e64 v137, null, s5, v133, vcc_lo
	global_load_b128 v[132:135], v[136:137], off
	s_wait_loadcnt 0x14
	v_fma_f64 v[40:41], v[48:49], v[52:53], v[40:41]
	v_fma_f64 v[34:35], v[50:51], v[52:53], v[34:35]
	v_fma_f64 v[46:47], v[20:21], v[52:53], v[46:47]
	v_fma_f64 v[38:39], v[22:23], v[52:53], v[38:39]
	v_fma_f64 v[44:45], v[16:17], v[52:53], v[44:45]
	v_fma_f64 v[42:43], v[18:19], v[52:53], v[42:43]
	v_fma_f64 v[32:33], v[12:13], v[52:53], v[32:33]
	v_fma_f64 v[36:37], v[14:15], v[52:53], v[36:37]
	v_fma_f64 v[40:41], -v[50:51], v[54:55], v[40:41]
	v_fma_f64 v[48:49], v[48:49], v[54:55], v[34:35]
	v_fma_f64 v[23:24], -v[22:23], v[54:55], v[46:47]
	v_fma_f64 v[46:47], v[20:21], v[54:55], v[38:39]
	v_fma_f64 v[44:45], -v[18:19], v[54:55], v[44:45]
	v_fma_f64 v[42:43], v[16:17], v[54:55], v[42:43]
	v_fma_f64 v[50:51], -v[14:15], v[54:55], v[32:33]
	v_fma_f64 v[52:53], v[12:13], v[54:55], v[36:37]
	s_clause 0x3
	global_load_b128 v[11:14], v[30:31], off offset:16496
	global_load_b128 v[15:18], v[30:31], off offset:16480
	global_load_b128 v[19:22], v[30:31], off offset:16464
	global_load_b128 v[32:35], v[30:31], off offset:16448
	global_load_b128 v[36:39], v[136:137], off offset:16
	s_wait_loadcnt 0x14
	v_fma_f64 v[40:41], v[68:69], v[72:73], v[40:41]
	v_fma_f64 v[48:49], v[70:71], v[72:73], v[48:49]
	v_fma_f64 v[23:24], v[64:65], v[72:73], v[23:24]
	v_fma_f64 v[46:47], v[66:67], v[72:73], v[46:47]
	v_fma_f64 v[44:45], v[60:61], v[72:73], v[44:45]
	v_fma_f64 v[42:43], v[62:63], v[72:73], v[42:43]
	v_fma_f64 v[50:51], v[56:57], v[72:73], v[50:51]
	v_fma_f64 v[52:53], v[58:59], v[72:73], v[52:53]
	v_fma_f64 v[70:71], -v[70:71], v[74:75], v[40:41]
	v_fma_f64 v[68:69], v[68:69], v[74:75], v[48:49]
	v_fma_f64 v[23:24], -v[66:67], v[74:75], v[23:24]
	v_fma_f64 v[64:65], v[64:65], v[74:75], v[46:47]
	v_fma_f64 v[62:63], -v[62:63], v[74:75], v[44:45]
	v_fma_f64 v[60:61], v[60:61], v[74:75], v[42:43]
	v_fma_f64 v[66:67], -v[58:59], v[74:75], v[50:51]
	v_fma_f64 v[72:73], v[56:57], v[74:75], v[52:53]
	s_clause 0x3
	global_load_b128 v[40:43], v[30:31], off offset:16560
	global_load_b128 v[44:47], v[30:31], off offset:16544
	global_load_b128 v[48:51], v[30:31], off offset:16528
	global_load_b128 v[52:55], v[30:31], off offset:16512
	global_load_b128 v[56:59], v[136:137], off offset:32
	s_wait_loadcnt 0x14
	v_fma_f64 v[70:71], v[88:89], v[92:93], v[70:71]
	v_fma_f64 v[68:69], v[90:91], v[92:93], v[68:69]
	v_fma_f64 v[23:24], v[84:85], v[92:93], v[23:24]
	v_fma_f64 v[64:65], v[86:87], v[92:93], v[64:65]
	v_fma_f64 v[62:63], v[80:81], v[92:93], v[62:63]
	v_fma_f64 v[60:61], v[82:83], v[92:93], v[60:61]
	v_fma_f64 v[66:67], v[76:77], v[92:93], v[66:67]
	v_fma_f64 v[72:73], v[78:79], v[92:93], v[72:73]
	v_fma_f64 v[90:91], -v[90:91], v[94:95], v[70:71]
	v_fma_f64 v[88:89], v[88:89], v[94:95], v[68:69]
	v_fma_f64 v[23:24], -v[86:87], v[94:95], v[23:24]
	v_fma_f64 v[84:85], v[84:85], v[94:95], v[64:65]
	v_fma_f64 v[82:83], -v[82:83], v[94:95], v[62:63]
	v_fma_f64 v[80:81], v[80:81], v[94:95], v[60:61]
	v_fma_f64 v[86:87], -v[78:79], v[94:95], v[66:67]
	v_fma_f64 v[92:93], v[76:77], v[94:95], v[72:73]
	s_clause 0x3
	global_load_b128 v[60:63], v[30:31], off offset:16624
	global_load_b128 v[64:67], v[30:31], off offset:16608
	global_load_b128 v[68:71], v[30:31], off offset:16592
	global_load_b128 v[72:75], v[30:31], off offset:16576
	global_load_b128 v[76:79], v[136:137], off offset:48
	s_wait_loadcnt 0x14
	v_fma_f64 v[136:137], v[108:109], v[112:113], v[90:91]
	v_fma_f64 v[138:139], v[110:111], v[112:113], v[88:89]
	;; [unrolled: 1-line block ×8, first 2 shown]
	s_clause 0x3
	global_load_b128 v[80:83], v[30:31], off offset:32816
	global_load_b128 v[84:87], v[30:31], off offset:32800
	;; [unrolled: 1-line block ×4, first 2 shown]
	v_fma_f64 v[110:111], -v[110:111], v[114:115], v[136:137]
	v_fma_f64 v[108:109], v[108:109], v[114:115], v[138:139]
	v_fma_f64 v[23:24], -v[106:107], v[114:115], v[23:24]
	v_fma_f64 v[104:105], v[104:105], v[114:115], v[140:141]
	;; [unrolled: 2-line block ×4, first 2 shown]
	v_lshlrev_b64_e32 v[96:97], 4, v[148:149]
	v_subrev_nc_u32_e32 v148, s12, v150
	s_delay_alu instid0(VALU_DEP_2) | instskip(SKIP_1) | instid1(VALU_DEP_3)
	v_add_co_u32 v136, vcc_lo, s4, v96
	s_wait_alu 0xfffd
	v_add_co_ci_u32_e64 v137, null, s5, v97, vcc_lo
	s_delay_alu instid0(VALU_DEP_3)
	v_lshlrev_b32_e32 v148, 2, v148
	global_load_b128 v[96:99], v[136:137], off
	v_ashrrev_i32_e32 v149, 31, v148
	s_wait_loadcnt 0x14
	v_fma_f64 v[110:111], v[128:129], v[132:133], v[110:111]
	v_fma_f64 v[108:109], v[130:131], v[132:133], v[108:109]
	v_fma_f64 v[23:24], v[124:125], v[132:133], v[23:24]
	v_fma_f64 v[104:105], v[126:127], v[132:133], v[104:105]
	v_fma_f64 v[102:103], v[120:121], v[132:133], v[102:103]
	v_fma_f64 v[100:101], v[122:123], v[132:133], v[100:101]
	v_fma_f64 v[106:107], v[116:117], v[132:133], v[106:107]
	v_fma_f64 v[112:113], v[118:119], v[132:133], v[112:113]
	v_fma_f64 v[130:131], -v[130:131], v[134:135], v[110:111]
	v_fma_f64 v[128:129], v[128:129], v[134:135], v[108:109]
	v_fma_f64 v[23:24], -v[126:127], v[134:135], v[23:24]
	v_fma_f64 v[124:125], v[124:125], v[134:135], v[104:105]
	v_fma_f64 v[122:123], -v[122:123], v[134:135], v[102:103]
	v_fma_f64 v[120:121], v[120:121], v[134:135], v[100:101]
	v_fma_f64 v[126:127], -v[118:119], v[134:135], v[106:107]
	v_fma_f64 v[132:133], v[116:117], v[134:135], v[112:113]
	s_clause 0x3
	global_load_b128 v[100:103], v[30:31], off offset:32880
	global_load_b128 v[104:107], v[30:31], off offset:32864
	global_load_b128 v[108:111], v[30:31], off offset:32848
	global_load_b128 v[112:115], v[30:31], off offset:32832
	global_load_b128 v[116:119], v[136:137], off offset:16
	s_wait_loadcnt 0x14
	v_fma_f64 v[130:131], v[32:33], v[36:37], v[130:131]
	v_fma_f64 v[128:129], v[34:35], v[36:37], v[128:129]
	v_fma_f64 v[23:24], v[19:20], v[36:37], v[23:24]
	v_fma_f64 v[124:125], v[21:22], v[36:37], v[124:125]
	v_fma_f64 v[122:123], v[15:16], v[36:37], v[122:123]
	v_fma_f64 v[120:121], v[17:18], v[36:37], v[120:121]
	v_fma_f64 v[126:127], v[11:12], v[36:37], v[126:127]
	v_fma_f64 v[36:37], v[13:14], v[36:37], v[132:133]
	v_fma_f64 v[130:131], -v[34:35], v[38:39], v[130:131]
	v_fma_f64 v[128:129], v[32:33], v[38:39], v[128:129]
	v_fma_f64 v[23:24], -v[21:22], v[38:39], v[23:24]
	v_fma_f64 v[124:125], v[19:20], v[38:39], v[124:125]
	v_fma_f64 v[122:123], -v[17:18], v[38:39], v[122:123]
	v_fma_f64 v[120:121], v[15:16], v[38:39], v[120:121]
	v_fma_f64 v[126:127], -v[13:14], v[38:39], v[126:127]
	v_fma_f64 v[132:133], v[11:12], v[38:39], v[36:37]
	s_clause 0x3
	global_load_b128 v[11:14], v[30:31], off offset:32944
	global_load_b128 v[15:18], v[30:31], off offset:32928
	global_load_b128 v[19:22], v[30:31], off offset:32912
	global_load_b128 v[32:35], v[30:31], off offset:32896
	global_load_b128 v[36:39], v[136:137], off offset:32
	;; [unrolled: 23-line block ×3, first 2 shown]
	s_wait_loadcnt 0x14
	v_fma_f64 v[136:137], v[72:73], v[76:77], v[130:131]
	v_fma_f64 v[138:139], v[74:75], v[76:77], v[128:129]
	;; [unrolled: 1-line block ×8, first 2 shown]
	s_clause 0x3
	global_load_b128 v[120:123], v[30:31], off offset:49200
	global_load_b128 v[124:127], v[30:31], off offset:49184
	global_load_b128 v[128:131], v[30:31], off offset:49168
	global_load_b128 v[132:135], v[30:31], off offset:49152
	v_fma_f64 v[74:75], -v[74:75], v[78:79], v[136:137]
	v_fma_f64 v[72:73], v[72:73], v[78:79], v[138:139]
	v_fma_f64 v[23:24], -v[70:71], v[78:79], v[23:24]
	v_fma_f64 v[68:69], v[68:69], v[78:79], v[140:141]
	;; [unrolled: 2-line block ×4, first 2 shown]
	v_lshlrev_b64_e32 v[60:61], 4, v[148:149]
	s_delay_alu instid0(VALU_DEP_1) | instskip(SKIP_1) | instid1(VALU_DEP_2)
	v_add_co_u32 v140, vcc_lo, s4, v60
	s_wait_alu 0xfffd
	v_add_co_ci_u32_e64 v141, null, s5, v61, vcc_lo
	s_clause 0x1
	global_load_b128 v[60:63], v[140:141], off
	global_load_b128 v[64:67], v[140:141], off offset:16
	v_add_co_u32 v26, vcc_lo, 0x100, v26
	s_wait_alu 0xfffd
	v_add_co_ci_u32_e64 v27, null, 0, v27, vcc_lo
	s_wait_loadcnt 0x15
	v_fma_f64 v[74:75], v[92:93], v[96:97], v[74:75]
	v_fma_f64 v[72:73], v[94:95], v[96:97], v[72:73]
	;; [unrolled: 1-line block ×8, first 2 shown]
	v_fma_f64 v[94:95], -v[94:95], v[98:99], v[74:75]
	v_fma_f64 v[92:93], v[92:93], v[98:99], v[72:73]
	v_fma_f64 v[23:24], -v[90:91], v[98:99], v[23:24]
	v_fma_f64 v[88:89], v[88:89], v[98:99], v[68:69]
	;; [unrolled: 2-line block ×4, first 2 shown]
	s_clause 0x3
	global_load_b128 v[68:71], v[30:31], off offset:49216
	global_load_b128 v[72:75], v[30:31], off offset:49232
	;; [unrolled: 1-line block ×4, first 2 shown]
	s_wait_loadcnt 0x14
	v_fma_f64 v[94:95], v[112:113], v[116:117], v[94:95]
	v_fma_f64 v[92:93], v[114:115], v[116:117], v[92:93]
	v_fma_f64 v[23:24], v[108:109], v[116:117], v[23:24]
	v_fma_f64 v[88:89], v[110:111], v[116:117], v[88:89]
	v_fma_f64 v[86:87], v[104:105], v[116:117], v[86:87]
	v_fma_f64 v[84:85], v[106:107], v[116:117], v[84:85]
	v_fma_f64 v[90:91], v[100:101], v[116:117], v[90:91]
	v_fma_f64 v[96:97], v[102:103], v[116:117], v[96:97]
	v_fma_f64 v[114:115], -v[114:115], v[118:119], v[94:95]
	v_fma_f64 v[112:113], v[112:113], v[118:119], v[92:93]
	v_fma_f64 v[23:24], -v[110:111], v[118:119], v[23:24]
	v_fma_f64 v[108:109], v[108:109], v[118:119], v[88:89]
	;; [unrolled: 2-line block ×4, first 2 shown]
	s_clause 0x3
	global_load_b128 v[84:87], v[30:31], off offset:49328
	global_load_b128 v[88:91], v[30:31], off offset:49312
	;; [unrolled: 1-line block ×4, first 2 shown]
	s_clause 0x1
	global_load_b128 v[100:103], v[140:141], off offset:32
	global_load_b128 v[104:107], v[140:141], off offset:48
	s_wait_loadcnt 0x15
	v_fma_f64 v[114:115], v[32:33], v[36:37], v[114:115]
	v_fma_f64 v[112:113], v[34:35], v[36:37], v[112:113]
	;; [unrolled: 1-line block ×8, first 2 shown]
	v_fma_f64 v[34:35], -v[34:35], v[38:39], v[114:115]
	v_fma_f64 v[32:33], v[32:33], v[38:39], v[112:113]
	v_fma_f64 v[23:24], -v[21:22], v[38:39], v[23:24]
	v_fma_f64 v[112:113], v[19:20], v[38:39], v[108:109]
	;; [unrolled: 2-line block ×4, first 2 shown]
	s_clause 0x3
	global_load_b128 v[11:14], v[30:31], off offset:49344
	global_load_b128 v[15:18], v[30:31], off offset:49360
	;; [unrolled: 1-line block ×4, first 2 shown]
	v_add_co_u32 v30, vcc_lo, 0x10000, v30
	s_wait_alu 0xfffd
	v_add_co_ci_u32_e64 v31, null, 0, v31, vcc_lo
	v_cmp_ge_i64_e32 vcc_lo, v[26:27], v[28:29]
	s_wait_alu 0xfffe
	s_or_b32 s7, vcc_lo, s7
	s_wait_loadcnt 0x14
	v_fma_f64 v[34:35], v[52:53], v[56:57], v[34:35]
	v_fma_f64 v[32:33], v[54:55], v[56:57], v[32:33]
	;; [unrolled: 1-line block ×8, first 2 shown]
	v_fma_f64 v[34:35], -v[54:55], v[58:59], v[34:35]
	v_fma_f64 v[32:33], v[52:53], v[58:59], v[32:33]
	v_fma_f64 v[23:24], -v[50:51], v[58:59], v[23:24]
	v_fma_f64 v[38:39], v[48:49], v[58:59], v[38:39]
	;; [unrolled: 2-line block ×4, first 2 shown]
	s_wait_loadcnt 0xf
	v_fma_f64 v[34:35], v[132:133], v[60:61], v[34:35]
	v_fma_f64 v[32:33], v[134:135], v[60:61], v[32:33]
	;; [unrolled: 1-line block ×8, first 2 shown]
	v_fma_f64 v[34:35], -v[134:135], v[62:63], v[34:35]
	v_fma_f64 v[32:33], v[132:133], v[62:63], v[32:33]
	v_fma_f64 v[23:24], -v[130:131], v[62:63], v[23:24]
	v_fma_f64 v[38:39], v[128:129], v[62:63], v[38:39]
	;; [unrolled: 2-line block ×4, first 2 shown]
	s_wait_loadcnt 0xd
	v_fma_f64 v[34:35], v[68:69], v[64:65], v[34:35]
	v_fma_f64 v[32:33], v[70:71], v[64:65], v[32:33]
	s_wait_loadcnt 0xc
	v_fma_f64 v[23:24], v[72:73], v[64:65], v[23:24]
	v_fma_f64 v[38:39], v[74:75], v[64:65], v[38:39]
	;; [unrolled: 3-line block ×4, first 2 shown]
	v_fma_f64 v[34:35], -v[70:71], v[66:67], v[34:35]
	v_fma_f64 v[32:33], v[68:69], v[66:67], v[32:33]
	v_fma_f64 v[23:24], -v[74:75], v[66:67], v[23:24]
	v_fma_f64 v[38:39], v[72:73], v[66:67], v[38:39]
	;; [unrolled: 2-line block ×4, first 2 shown]
	s_wait_loadcnt 0x5
	v_fma_f64 v[34:35], v[96:97], v[100:101], v[34:35]
	v_fma_f64 v[32:33], v[98:99], v[100:101], v[32:33]
	;; [unrolled: 1-line block ×8, first 2 shown]
	v_fma_f64 v[34:35], -v[98:99], v[102:103], v[34:35]
	v_fma_f64 v[32:33], v[96:97], v[102:103], v[32:33]
	v_fma_f64 v[23:24], -v[94:95], v[102:103], v[23:24]
	v_fma_f64 v[38:39], v[92:93], v[102:103], v[38:39]
	v_fma_f64 v[40:41], -v[90:91], v[102:103], v[40:41]
	v_fma_f64 v[44:45], v[88:89], v[102:103], v[44:45]
	v_fma_f64 v[42:43], -v[86:87], v[102:103], v[42:43]
	v_fma_f64 v[36:37], v[84:85], v[102:103], v[36:37]
	s_wait_loadcnt 0x3
	v_fma_f64 v[34:35], v[11:12], v[104:105], v[34:35]
	v_fma_f64 v[32:33], v[13:14], v[104:105], v[32:33]
	s_wait_loadcnt 0x2
	v_fma_f64 v[23:24], v[15:16], v[104:105], v[23:24]
	v_fma_f64 v[38:39], v[17:18], v[104:105], v[38:39]
	;; [unrolled: 3-line block ×4, first 2 shown]
	v_fma_f64 v[40:41], -v[13:14], v[106:107], v[34:35]
	v_fma_f64 v[34:35], v[11:12], v[106:107], v[32:33]
	v_fma_f64 v[46:47], -v[17:18], v[106:107], v[23:24]
	v_fma_f64 v[38:39], v[15:16], v[106:107], v[38:39]
	;; [unrolled: 2-line block ×4, first 2 shown]
	s_wait_alu 0xfffe
	s_and_not1_b32 exec_lo, exec_lo, s7
	s_cbranch_execnz .LBB39_31
; %bb.32:
	s_or_b32 exec_lo, exec_lo, s7
.LBB39_33:
	s_wait_alu 0xfffe
	s_or_b32 exec_lo, exec_lo, s6
.LBB39_34:
	s_wait_alu 0xfffe
	s_or_b32 exec_lo, exec_lo, s3
.LBB39_35:
	v_mbcnt_lo_u32_b32 v48, -1, 0
	s_delay_alu instid0(VALU_DEP_1) | instskip(SKIP_1) | instid1(VALU_DEP_2)
	v_or_b32_e32 v9, 32, v48
	v_xor_b32_e32 v26, 16, v48
	v_cmp_gt_i32_e32 vcc_lo, 32, v9
	s_wait_alu 0xfffd
	v_cndmask_b32_e32 v9, v48, v9, vcc_lo
	s_delay_alu instid0(VALU_DEP_3) | instskip(NEXT) | instid1(VALU_DEP_2)
	v_cmp_gt_i32_e32 vcc_lo, 32, v26
	v_lshlrev_b32_e32 v24, 2, v9
	s_wait_alu 0xfffd
	v_cndmask_b32_e32 v26, v48, v26, vcc_lo
	ds_bpermute_b32 v9, v24, v40
	ds_bpermute_b32 v10, v24, v41
	;; [unrolled: 1-line block ×16, first 2 shown]
	s_wait_dscnt 0xe
	v_add_f64_e32 v[9:10], v[40:41], v[9:10]
	v_lshlrev_b32_e32 v41, 2, v26
	s_wait_dscnt 0xc
	v_add_f64_e32 v[11:12], v[34:35], v[11:12]
	s_wait_dscnt 0xa
	v_add_f64_e32 v[13:14], v[46:47], v[13:14]
	;; [unrolled: 2-line block ×7, first 2 shown]
	ds_bpermute_b32 v26, v41, v9
	ds_bpermute_b32 v27, v41, v10
	;; [unrolled: 1-line block ×16, first 2 shown]
	s_wait_dscnt 0xe
	v_add_f64_e32 v[9:10], v[9:10], v[26:27]
	v_xor_b32_e32 v26, 8, v48
	s_wait_dscnt 0xc
	v_add_f64_e32 v[11:12], v[11:12], v[28:29]
	s_wait_dscnt 0xa
	v_add_f64_e32 v[13:14], v[13:14], v[30:31]
	;; [unrolled: 2-line block ×3, first 2 shown]
	v_cmp_gt_i32_e32 vcc_lo, 32, v26
	s_wait_dscnt 0x6
	v_add_f64_e32 v[17:18], v[17:18], v[34:35]
	s_wait_dscnt 0x4
	v_add_f64_e32 v[19:20], v[19:20], v[36:37]
	;; [unrolled: 2-line block ×3, first 2 shown]
	s_wait_alu 0xfffd
	v_cndmask_b32_e32 v26, v48, v26, vcc_lo
	s_wait_dscnt 0x0
	v_add_f64_e32 v[23:24], v[23:24], v[40:41]
	s_delay_alu instid0(VALU_DEP_2)
	v_lshlrev_b32_e32 v41, 2, v26
	ds_bpermute_b32 v26, v41, v9
	ds_bpermute_b32 v27, v41, v10
	;; [unrolled: 1-line block ×16, first 2 shown]
	s_wait_dscnt 0xe
	v_add_f64_e32 v[9:10], v[9:10], v[26:27]
	v_xor_b32_e32 v26, 4, v48
	s_wait_dscnt 0xc
	v_add_f64_e32 v[11:12], v[11:12], v[28:29]
	s_wait_dscnt 0xa
	v_add_f64_e32 v[13:14], v[13:14], v[30:31]
	;; [unrolled: 2-line block ×3, first 2 shown]
	v_cmp_gt_i32_e32 vcc_lo, 32, v26
	s_wait_dscnt 0x6
	v_add_f64_e32 v[17:18], v[17:18], v[34:35]
	s_wait_dscnt 0x4
	v_add_f64_e32 v[19:20], v[19:20], v[36:37]
	;; [unrolled: 2-line block ×3, first 2 shown]
	s_wait_alu 0xfffd
	v_cndmask_b32_e32 v26, v48, v26, vcc_lo
	s_wait_dscnt 0x0
	v_add_f64_e32 v[23:24], v[23:24], v[40:41]
	s_delay_alu instid0(VALU_DEP_2)
	v_lshlrev_b32_e32 v41, 2, v26
	ds_bpermute_b32 v26, v41, v9
	ds_bpermute_b32 v27, v41, v10
	;; [unrolled: 1-line block ×16, first 2 shown]
	s_wait_dscnt 0xe
	v_add_f64_e32 v[9:10], v[9:10], v[26:27]
	s_wait_dscnt 0xc
	v_add_f64_e32 v[11:12], v[11:12], v[28:29]
	;; [unrolled: 2-line block ×8, first 2 shown]
	v_xor_b32_e32 v23, 2, v48
	s_delay_alu instid0(VALU_DEP_1) | instskip(SKIP_2) | instid1(VALU_DEP_1)
	v_cmp_gt_i32_e32 vcc_lo, 32, v23
	s_wait_alu 0xfffd
	v_cndmask_b32_e32 v23, v48, v23, vcc_lo
	v_lshlrev_b32_e32 v41, 2, v23
	ds_bpermute_b32 v23, v41, v9
	ds_bpermute_b32 v24, v41, v10
	;; [unrolled: 1-line block ×16, first 2 shown]
	s_wait_dscnt 0xe
	v_add_f64_e32 v[9:10], v[9:10], v[23:24]
	s_wait_dscnt 0xc
	v_add_f64_e32 v[28:29], v[11:12], v[28:29]
	;; [unrolled: 2-line block ×7, first 2 shown]
	v_xor_b32_e32 v21, 1, v48
	s_wait_dscnt 0x0
	v_add_f64_e32 v[17:18], v[26:27], v[40:41]
	s_delay_alu instid0(VALU_DEP_2) | instskip(SKIP_3) | instid1(VALU_DEP_2)
	v_cmp_gt_i32_e32 vcc_lo, 32, v21
	s_wait_alu 0xfffd
	v_cndmask_b32_e32 v21, v48, v21, vcc_lo
	v_cmp_eq_u32_e32 vcc_lo, 63, v0
	v_lshlrev_b32_e32 v35, 2, v21
	ds_bpermute_b32 v21, v35, v9
	ds_bpermute_b32 v22, v35, v10
	;; [unrolled: 1-line block ×16, first 2 shown]
	s_and_b32 exec_lo, exec_lo, vcc_lo
	s_cbranch_execz .LBB39_8
; %bb.36:
	s_wait_dscnt 0xc
	v_add_f64_e32 v[28:29], v[28:29], v[40:41]
	s_wait_dscnt 0x8
	v_add_f64_e32 v[23:24], v[23:24], v[38:39]
	;; [unrolled: 2-line block ×4, first 2 shown]
	v_add_f64_e32 v[9:10], v[9:10], v[21:22]
	v_add_f64_e32 v[11:12], v[11:12], v[26:27]
	;; [unrolled: 1-line block ×4, first 2 shown]
	v_cmp_eq_f64_e32 vcc_lo, 0, v[1:2]
	v_cmp_eq_f64_e64 s2, 0, v[3:4]
	s_load_b64 s[0:1], s[0:1], 0x60
	v_mul_f64_e64 v[13:14], v[28:29], -v[7:8]
	v_mul_f64_e32 v[15:16], v[5:6], v[28:29]
	v_mul_f64_e64 v[28:29], v[23:24], -v[7:8]
	v_mul_f64_e32 v[23:24], v[5:6], v[23:24]
	;; [unrolled: 2-line block ×4, first 2 shown]
	s_and_b32 s2, vcc_lo, s2
	v_fma_f64 v[17:18], v[5:6], v[9:10], v[13:14]
	v_fma_f64 v[19:20], v[7:8], v[9:10], v[15:16]
	;; [unrolled: 1-line block ×8, first 2 shown]
	v_lshlrev_b32_e32 v21, 2, v25
	s_wait_alu 0xfffe
	s_and_saveexec_b32 s3, s2
	s_wait_alu 0xfffe
	s_xor_b32 s2, exec_lo, s3
	s_cbranch_execz .LBB39_38
; %bb.37:
	v_ashrrev_i32_e32 v22, 31, v21
	s_delay_alu instid0(VALU_DEP_1) | instskip(SKIP_1) | instid1(VALU_DEP_1)
	v_lshlrev_b64_e32 v[0:1], 4, v[21:22]
                                        ; implicit-def: $vgpr21
	s_wait_kmcnt 0x0
	v_add_co_u32 v0, vcc_lo, s0, v0
	s_wait_alu 0xfffd
	s_delay_alu instid0(VALU_DEP_2)
	v_add_co_ci_u32_e64 v1, null, s1, v1, vcc_lo
	s_clause 0x3
	global_store_b128 v[0:1], v[17:20], off
	global_store_b128 v[0:1], v[13:16], off offset:16
	global_store_b128 v[0:1], v[9:12], off offset:32
	;; [unrolled: 1-line block ×3, first 2 shown]
                                        ; implicit-def: $vgpr3_vgpr4
                                        ; implicit-def: $vgpr17_vgpr18
                                        ; implicit-def: $vgpr13_vgpr14
                                        ; implicit-def: $vgpr9_vgpr10
                                        ; implicit-def: $vgpr5_vgpr6
.LBB39_38:
	s_wait_alu 0xfffe
	s_and_not1_saveexec_b32 s2, s2
	s_cbranch_execz .LBB39_8
; %bb.39:
	v_ashrrev_i32_e32 v22, 31, v21
	s_delay_alu instid0(VALU_DEP_1) | instskip(SKIP_1) | instid1(VALU_DEP_1)
	v_lshlrev_b64_e32 v[21:22], 4, v[21:22]
	s_wait_kmcnt 0x0
	v_add_co_u32 v37, vcc_lo, s0, v21
	s_wait_alu 0xfffd
	s_delay_alu instid0(VALU_DEP_2)
	v_add_co_ci_u32_e64 v38, null, s1, v22, vcc_lo
	s_clause 0x3
	global_load_b128 v[21:24], v[37:38], off
	global_load_b128 v[25:28], v[37:38], off offset:16
	global_load_b128 v[29:32], v[37:38], off offset:32
	;; [unrolled: 1-line block ×3, first 2 shown]
	s_wait_loadcnt 0x3
	v_fma_f64 v[17:18], v[1:2], v[21:22], v[17:18]
	v_fma_f64 v[19:20], v[3:4], v[21:22], v[19:20]
	s_wait_loadcnt 0x2
	v_fma_f64 v[13:14], v[1:2], v[25:26], v[13:14]
	v_fma_f64 v[15:16], v[3:4], v[25:26], v[15:16]
	s_wait_loadcnt 0x1
	v_fma_f64 v[21:22], v[1:2], v[29:30], v[9:10]
	v_fma_f64 v[25:26], v[3:4], v[29:30], v[11:12]
	s_wait_loadcnt 0x0
	v_fma_f64 v[29:30], v[1:2], v[33:34], v[5:6]
	v_fma_f64 v[33:34], v[3:4], v[33:34], v[7:8]
	v_fma_f64 v[5:6], -v[3:4], v[23:24], v[17:18]
	v_fma_f64 v[7:8], v[1:2], v[23:24], v[19:20]
	v_fma_f64 v[9:10], -v[3:4], v[27:28], v[13:14]
	v_fma_f64 v[11:12], v[1:2], v[27:28], v[15:16]
	;; [unrolled: 2-line block ×4, first 2 shown]
	s_clause 0x3
	global_store_b128 v[37:38], v[5:8], off
	global_store_b128 v[37:38], v[9:12], off offset:16
	global_store_b128 v[37:38], v[13:16], off offset:32
	;; [unrolled: 1-line block ×3, first 2 shown]
	s_nop 0
	s_sendmsg sendmsg(MSG_DEALLOC_VGPRS)
	s_endpgm
	.section	.rodata,"a",@progbits
	.p2align	6, 0x0
	.amdhsa_kernel _ZN9rocsparseL18bsrxmvn_4x4_kernelILj128ELj64E21rocsparse_complex_numIdEliS2_S2_S2_EEvT3_20rocsparse_direction_NS_24const_host_device_scalarIT1_EES3_PKS3_PKT2_SC_S9_PKT4_PKT5_S7_PT6_21rocsparse_index_base_b
		.amdhsa_group_segment_fixed_size 0
		.amdhsa_private_segment_fixed_size 0
		.amdhsa_kernarg_size 112
		.amdhsa_user_sgpr_count 2
		.amdhsa_user_sgpr_dispatch_ptr 0
		.amdhsa_user_sgpr_queue_ptr 0
		.amdhsa_user_sgpr_kernarg_segment_ptr 1
		.amdhsa_user_sgpr_dispatch_id 0
		.amdhsa_user_sgpr_private_segment_size 0
		.amdhsa_wavefront_size32 1
		.amdhsa_uses_dynamic_stack 0
		.amdhsa_enable_private_segment 0
		.amdhsa_system_sgpr_workgroup_id_x 1
		.amdhsa_system_sgpr_workgroup_id_y 0
		.amdhsa_system_sgpr_workgroup_id_z 0
		.amdhsa_system_sgpr_workgroup_info 0
		.amdhsa_system_vgpr_workitem_id 0
		.amdhsa_next_free_vgpr 157
		.amdhsa_next_free_sgpr 14
		.amdhsa_reserve_vcc 1
		.amdhsa_float_round_mode_32 0
		.amdhsa_float_round_mode_16_64 0
		.amdhsa_float_denorm_mode_32 3
		.amdhsa_float_denorm_mode_16_64 3
		.amdhsa_fp16_overflow 0
		.amdhsa_workgroup_processor_mode 1
		.amdhsa_memory_ordered 1
		.amdhsa_forward_progress 1
		.amdhsa_inst_pref_size 99
		.amdhsa_round_robin_scheduling 0
		.amdhsa_exception_fp_ieee_invalid_op 0
		.amdhsa_exception_fp_denorm_src 0
		.amdhsa_exception_fp_ieee_div_zero 0
		.amdhsa_exception_fp_ieee_overflow 0
		.amdhsa_exception_fp_ieee_underflow 0
		.amdhsa_exception_fp_ieee_inexact 0
		.amdhsa_exception_int_div_zero 0
	.end_amdhsa_kernel
	.section	.text._ZN9rocsparseL18bsrxmvn_4x4_kernelILj128ELj64E21rocsparse_complex_numIdEliS2_S2_S2_EEvT3_20rocsparse_direction_NS_24const_host_device_scalarIT1_EES3_PKS3_PKT2_SC_S9_PKT4_PKT5_S7_PT6_21rocsparse_index_base_b,"axG",@progbits,_ZN9rocsparseL18bsrxmvn_4x4_kernelILj128ELj64E21rocsparse_complex_numIdEliS2_S2_S2_EEvT3_20rocsparse_direction_NS_24const_host_device_scalarIT1_EES3_PKS3_PKT2_SC_S9_PKT4_PKT5_S7_PT6_21rocsparse_index_base_b,comdat
.Lfunc_end39:
	.size	_ZN9rocsparseL18bsrxmvn_4x4_kernelILj128ELj64E21rocsparse_complex_numIdEliS2_S2_S2_EEvT3_20rocsparse_direction_NS_24const_host_device_scalarIT1_EES3_PKS3_PKT2_SC_S9_PKT4_PKT5_S7_PT6_21rocsparse_index_base_b, .Lfunc_end39-_ZN9rocsparseL18bsrxmvn_4x4_kernelILj128ELj64E21rocsparse_complex_numIdEliS2_S2_S2_EEvT3_20rocsparse_direction_NS_24const_host_device_scalarIT1_EES3_PKS3_PKT2_SC_S9_PKT4_PKT5_S7_PT6_21rocsparse_index_base_b
                                        ; -- End function
	.set _ZN9rocsparseL18bsrxmvn_4x4_kernelILj128ELj64E21rocsparse_complex_numIdEliS2_S2_S2_EEvT3_20rocsparse_direction_NS_24const_host_device_scalarIT1_EES3_PKS3_PKT2_SC_S9_PKT4_PKT5_S7_PT6_21rocsparse_index_base_b.num_vgpr, 157
	.set _ZN9rocsparseL18bsrxmvn_4x4_kernelILj128ELj64E21rocsparse_complex_numIdEliS2_S2_S2_EEvT3_20rocsparse_direction_NS_24const_host_device_scalarIT1_EES3_PKS3_PKT2_SC_S9_PKT4_PKT5_S7_PT6_21rocsparse_index_base_b.num_agpr, 0
	.set _ZN9rocsparseL18bsrxmvn_4x4_kernelILj128ELj64E21rocsparse_complex_numIdEliS2_S2_S2_EEvT3_20rocsparse_direction_NS_24const_host_device_scalarIT1_EES3_PKS3_PKT2_SC_S9_PKT4_PKT5_S7_PT6_21rocsparse_index_base_b.numbered_sgpr, 14
	.set _ZN9rocsparseL18bsrxmvn_4x4_kernelILj128ELj64E21rocsparse_complex_numIdEliS2_S2_S2_EEvT3_20rocsparse_direction_NS_24const_host_device_scalarIT1_EES3_PKS3_PKT2_SC_S9_PKT4_PKT5_S7_PT6_21rocsparse_index_base_b.num_named_barrier, 0
	.set _ZN9rocsparseL18bsrxmvn_4x4_kernelILj128ELj64E21rocsparse_complex_numIdEliS2_S2_S2_EEvT3_20rocsparse_direction_NS_24const_host_device_scalarIT1_EES3_PKS3_PKT2_SC_S9_PKT4_PKT5_S7_PT6_21rocsparse_index_base_b.private_seg_size, 0
	.set _ZN9rocsparseL18bsrxmvn_4x4_kernelILj128ELj64E21rocsparse_complex_numIdEliS2_S2_S2_EEvT3_20rocsparse_direction_NS_24const_host_device_scalarIT1_EES3_PKS3_PKT2_SC_S9_PKT4_PKT5_S7_PT6_21rocsparse_index_base_b.uses_vcc, 1
	.set _ZN9rocsparseL18bsrxmvn_4x4_kernelILj128ELj64E21rocsparse_complex_numIdEliS2_S2_S2_EEvT3_20rocsparse_direction_NS_24const_host_device_scalarIT1_EES3_PKS3_PKT2_SC_S9_PKT4_PKT5_S7_PT6_21rocsparse_index_base_b.uses_flat_scratch, 0
	.set _ZN9rocsparseL18bsrxmvn_4x4_kernelILj128ELj64E21rocsparse_complex_numIdEliS2_S2_S2_EEvT3_20rocsparse_direction_NS_24const_host_device_scalarIT1_EES3_PKS3_PKT2_SC_S9_PKT4_PKT5_S7_PT6_21rocsparse_index_base_b.has_dyn_sized_stack, 0
	.set _ZN9rocsparseL18bsrxmvn_4x4_kernelILj128ELj64E21rocsparse_complex_numIdEliS2_S2_S2_EEvT3_20rocsparse_direction_NS_24const_host_device_scalarIT1_EES3_PKS3_PKT2_SC_S9_PKT4_PKT5_S7_PT6_21rocsparse_index_base_b.has_recursion, 0
	.set _ZN9rocsparseL18bsrxmvn_4x4_kernelILj128ELj64E21rocsparse_complex_numIdEliS2_S2_S2_EEvT3_20rocsparse_direction_NS_24const_host_device_scalarIT1_EES3_PKS3_PKT2_SC_S9_PKT4_PKT5_S7_PT6_21rocsparse_index_base_b.has_indirect_call, 0
	.section	.AMDGPU.csdata,"",@progbits
; Kernel info:
; codeLenInByte = 12644
; TotalNumSgprs: 16
; NumVgprs: 157
; ScratchSize: 0
; MemoryBound: 1
; FloatMode: 240
; IeeeMode: 1
; LDSByteSize: 0 bytes/workgroup (compile time only)
; SGPRBlocks: 0
; VGPRBlocks: 19
; NumSGPRsForWavesPerEU: 16
; NumVGPRsForWavesPerEU: 157
; Occupancy: 9
; WaveLimiterHint : 1
; COMPUTE_PGM_RSRC2:SCRATCH_EN: 0
; COMPUTE_PGM_RSRC2:USER_SGPR: 2
; COMPUTE_PGM_RSRC2:TRAP_HANDLER: 0
; COMPUTE_PGM_RSRC2:TGID_X_EN: 1
; COMPUTE_PGM_RSRC2:TGID_Y_EN: 0
; COMPUTE_PGM_RSRC2:TGID_Z_EN: 0
; COMPUTE_PGM_RSRC2:TIDIG_COMP_CNT: 0
	.section	.text._ZN9rocsparseL18bsrxmvn_4x4_kernelILj128ELj4EfllfffEEvT3_20rocsparse_direction_NS_24const_host_device_scalarIT1_EES1_PKS1_PKT2_SA_S7_PKT4_PKT5_S5_PT6_21rocsparse_index_base_b,"axG",@progbits,_ZN9rocsparseL18bsrxmvn_4x4_kernelILj128ELj4EfllfffEEvT3_20rocsparse_direction_NS_24const_host_device_scalarIT1_EES1_PKS1_PKT2_SA_S7_PKT4_PKT5_S5_PT6_21rocsparse_index_base_b,comdat
	.globl	_ZN9rocsparseL18bsrxmvn_4x4_kernelILj128ELj4EfllfffEEvT3_20rocsparse_direction_NS_24const_host_device_scalarIT1_EES1_PKS1_PKT2_SA_S7_PKT4_PKT5_S5_PT6_21rocsparse_index_base_b ; -- Begin function _ZN9rocsparseL18bsrxmvn_4x4_kernelILj128ELj4EfllfffEEvT3_20rocsparse_direction_NS_24const_host_device_scalarIT1_EES1_PKS1_PKT2_SA_S7_PKT4_PKT5_S5_PT6_21rocsparse_index_base_b
	.p2align	8
	.type	_ZN9rocsparseL18bsrxmvn_4x4_kernelILj128ELj4EfllfffEEvT3_20rocsparse_direction_NS_24const_host_device_scalarIT1_EES1_PKS1_PKT2_SA_S7_PKT4_PKT5_S5_PT6_21rocsparse_index_base_b,@function
_ZN9rocsparseL18bsrxmvn_4x4_kernelILj128ELj4EfllfffEEvT3_20rocsparse_direction_NS_24const_host_device_scalarIT1_EES1_PKS1_PKT2_SA_S7_PKT4_PKT5_S5_PT6_21rocsparse_index_base_b: ; @_ZN9rocsparseL18bsrxmvn_4x4_kernelILj128ELj4EfllfffEEvT3_20rocsparse_direction_NS_24const_host_device_scalarIT1_EES1_PKS1_PKT2_SA_S7_PKT4_PKT5_S5_PT6_21rocsparse_index_base_b
; %bb.0:
	s_clause 0x2
	s_load_b64 s[2:3], s[0:1], 0x60
	s_load_b128 s[12:15], s[0:1], 0x10
	s_load_b64 s[16:17], s[0:1], 0x50
	s_wait_kmcnt 0x0
	s_bitcmp1_b32 s3, 0
	s_cselect_b32 s3, -1, 0
	s_delay_alu instid0(SALU_CYCLE_1)
	s_and_b32 vcc_lo, exec_lo, s3
	s_xor_b32 s3, s3, -1
	s_cbranch_vccnz .LBB40_2
; %bb.1:
	s_load_b32 s12, s[12:13], 0x0
.LBB40_2:
	s_and_not1_b32 vcc_lo, exec_lo, s3
	s_cbranch_vccnz .LBB40_4
; %bb.3:
	s_load_b32 s16, s[16:17], 0x0
.LBB40_4:
	s_wait_kmcnt 0x0
	s_cmp_neq_f32 s12, 0
	s_mov_b32 s6, 0
	s_cselect_b32 s3, -1, 0
	s_cmp_neq_f32 s16, 1.0
	s_cselect_b32 s4, -1, 0
	s_delay_alu instid0(SALU_CYCLE_1) | instskip(NEXT) | instid1(SALU_CYCLE_1)
	s_or_b32 s3, s3, s4
	s_and_not1_b32 vcc_lo, exec_lo, s3
	s_cbranch_vccnz .LBB40_10
; %bb.5:
	s_load_b64 s[4:5], s[0:1], 0x20
	v_lshrrev_b32_e32 v1, 2, v0
	v_mov_b32_e32 v6, 0
	s_delay_alu instid0(VALU_DEP_2)
	v_lshl_or_b32 v5, ttmp9, 5, v1
	s_wait_kmcnt 0x0
	s_cmp_lg_u64 s[4:5], 0
	s_cbranch_scc0 .LBB40_11
; %bb.6:
	s_mov_b32 s7, 0
                                        ; implicit-def: $vgpr3_vgpr4
                                        ; implicit-def: $vgpr1_vgpr2
	s_mov_b32 s3, exec_lo
	v_cmpx_gt_i64_e64 s[14:15], v[5:6]
	s_xor_b32 s8, exec_lo, s3
	s_cbranch_execz .LBB40_8
; %bb.7:
	v_lshlrev_b64_e32 v[1:2], 3, v[5:6]
	s_mov_b32 s3, 0
	s_mov_b32 s6, exec_lo
	s_delay_alu instid0(VALU_DEP_1) | instskip(NEXT) | instid1(VALU_DEP_1)
	v_add_co_u32 v1, vcc_lo, s4, v1
	v_add_co_ci_u32_e64 v2, null, s5, v2, vcc_lo
	global_load_b64 v[1:2], v[1:2], off
	s_wait_loadcnt 0x0
	v_sub_co_u32 v3, vcc_lo, v1, s2
	s_wait_alu 0xfffd
	v_subrev_co_ci_u32_e64 v4, null, 0, v2, vcc_lo
	v_dual_mov_b32 v1, s2 :: v_dual_mov_b32 v2, s3
.LBB40_8:
	s_or_b32 exec_lo, exec_lo, s8
	s_delay_alu instid0(SALU_CYCLE_1)
	s_and_b32 vcc_lo, exec_lo, s7
	s_wait_alu 0xfffe
	s_cbranch_vccnz .LBB40_12
.LBB40_9:
	s_and_saveexec_b32 s2, s6
	s_cbranch_execnz .LBB40_15
.LBB40_10:
	s_nop 0
	s_sendmsg sendmsg(MSG_DEALLOC_VGPRS)
	s_endpgm
.LBB40_11:
                                        ; implicit-def: $vgpr3_vgpr4
                                        ; implicit-def: $vgpr1_vgpr2
	s_cbranch_execz .LBB40_9
.LBB40_12:
	s_load_b64 s[4:5], s[0:1], 0x0
	s_wait_kmcnt 0x0
	v_cmp_gt_i64_e32 vcc_lo, s[4:5], v[5:6]
	s_and_saveexec_b32 s4, vcc_lo
; %bb.13:
	s_mov_b32 s3, 0
	s_or_b32 s6, s6, exec_lo
; %bb.14:
	s_wait_alu 0xfffe
	s_or_b32 exec_lo, exec_lo, s4
	v_dual_mov_b32 v1, s2 :: v_dual_mov_b32 v2, s3
	v_dual_mov_b32 v3, v5 :: v_dual_mov_b32 v4, v6
	s_and_saveexec_b32 s2, s6
	s_cbranch_execz .LBB40_10
.LBB40_15:
	s_load_b256 s[4:11], s[0:1], 0x28
	s_delay_alu instid0(VALU_DEP_1) | instskip(SKIP_3) | instid1(VALU_DEP_2)
	v_lshlrev_b64_e32 v[5:6], 3, v[3:4]
	v_dual_mov_b32 v25, 0 :: v_dual_and_b32 v0, 3, v0
	s_load_b32 s3, s[0:1], 0x8
	s_wait_kmcnt 0x0
	v_add_co_u32 v7, vcc_lo, s4, v5
	s_wait_alu 0xfffd
	v_add_co_ci_u32_e64 v8, null, s5, v6, vcc_lo
	v_add_co_u32 v5, vcc_lo, s6, v5
	s_wait_alu 0xfffd
	v_add_co_ci_u32_e64 v6, null, s7, v6, vcc_lo
	v_add_co_u32 v9, vcc_lo, v7, 8
	global_load_b64 v[13:14], v[7:8], off
	s_wait_alu 0xfffd
	v_add_co_ci_u32_e64 v10, null, 0, v8, vcc_lo
	s_cmp_eq_u64 s[6:7], 0
	s_load_b64 s[6:7], s[0:1], 0x48
	s_cselect_b32 vcc_lo, -1, 0
	s_cmp_eq_u32 s3, 1
	s_wait_alu 0xfffe
	v_dual_cndmask_b32 v6, v6, v10 :: v_dual_cndmask_b32 v5, v5, v9
	global_load_b64 v[7:8], v[5:6], off
	s_wait_loadcnt 0x1
	v_sub_co_u32 v5, vcc_lo, v13, v1
	s_wait_alu 0xfffd
	v_sub_co_ci_u32_e64 v6, null, v14, v2, vcc_lo
	s_delay_alu instid0(VALU_DEP_2) | instskip(SKIP_1) | instid1(VALU_DEP_2)
	v_add_co_u32 v5, vcc_lo, v5, v0
	s_wait_alu 0xfffd
	v_add_co_ci_u32_e64 v6, null, 0, v6, vcc_lo
	s_delay_alu instid0(VALU_DEP_1) | instskip(SKIP_4) | instid1(VALU_DEP_3)
	v_lshlrev_b64_e32 v[9:10], 6, v[5:6]
	s_wait_loadcnt 0x0
	v_sub_co_u32 v7, vcc_lo, v7, v1
	s_wait_alu 0xfffd
	v_sub_co_ci_u32_e64 v8, null, v8, v2, vcc_lo
	v_add_co_u32 v9, vcc_lo, s10, v9
	s_delay_alu instid0(VALU_DEP_2)
	v_cmp_lt_i64_e64 s2, v[5:6], v[7:8]
	s_wait_alu 0xfffd
	v_add_co_ci_u32_e64 v10, null, s11, v10, vcc_lo
	s_cbranch_scc1 .LBB40_27
; %bb.16:
	v_dual_mov_b32 v26, 0 :: v_dual_mov_b32 v27, 0
	v_mov_b32_e32 v12, 0
	s_and_saveexec_b32 s5, s2
	s_cbranch_execz .LBB40_26
; %bb.17:
	v_or_b32_e32 v11, 4, v0
	v_not_b32_e32 v16, v13
	v_sub_co_u32 v17, s3, v1, v0
	v_not_b32_e32 v15, v14
	s_delay_alu instid0(VALU_DEP_4)
	v_sub_co_u32 v11, vcc_lo, v11, v1
	s_wait_alu 0xfffd
	v_sub_co_ci_u32_e64 v12, null, 0, v2, vcc_lo
	s_wait_alu 0xf1ff
	v_subrev_co_ci_u32_e64 v18, null, 0, v2, s3
	v_add_co_u32 v11, vcc_lo, v11, v13
	s_wait_alu 0xfffd
	v_add_co_ci_u32_e64 v12, null, v12, v14, vcc_lo
	s_mov_b32 s3, exec_lo
	v_cmp_gt_i64_e32 vcc_lo, v[11:12], v[7:8]
	s_wait_alu 0xfffd
	v_dual_cndmask_b32 v20, v8, v12 :: v_dual_cndmask_b32 v11, v7, v11
	v_add_co_u32 v12, vcc_lo, v17, v16
	s_wait_alu 0xfffd
	v_add_co_ci_u32_e64 v15, null, v18, v15, vcc_lo
	v_mov_b32_e32 v18, v10
	s_delay_alu instid0(VALU_DEP_3) | instskip(SKIP_3) | instid1(VALU_DEP_3)
	v_add_co_u32 v19, vcc_lo, v12, v11
	v_mov_b32_e32 v12, 0
	s_wait_alu 0xfffd
	v_add_co_ci_u32_e64 v20, null, v15, v20, vcc_lo
	v_dual_mov_b32 v16, v6 :: v_dual_and_b32 v11, 12, v19
	s_delay_alu instid0(VALU_DEP_3)
	v_mov_b32_e32 v25, v12
	v_mov_b32_e32 v15, v5
	v_dual_mov_b32 v27, v12 :: v_dual_mov_b32 v26, v12
	v_mov_b32_e32 v17, v9
	v_cmpx_ne_u64_e32 12, v[11:12]
	s_cbranch_execz .LBB40_21
; %bb.18:
	v_lshrrev_b32_e32 v11, 2, v19
	v_dual_mov_b32 v25, 0 :: v_dual_mov_b32 v18, v10
	v_dual_mov_b32 v17, v9 :: v_dual_mov_b32 v26, 0
	s_delay_alu instid0(VALU_DEP_3) | instskip(SKIP_3) | instid1(VALU_DEP_4)
	v_dual_mov_b32 v16, v6 :: v_dual_add_nc_u32 v21, 1, v11
	v_lshlrev_b64_e32 v[11:12], 3, v[5:6]
	v_mov_b32_e32 v15, v5
	v_mov_b32_e32 v27, 0
	v_and_b32_e32 v23, 3, v21
	s_delay_alu instid0(VALU_DEP_4) | instskip(NEXT) | instid1(VALU_DEP_2)
	v_add_co_u32 v21, vcc_lo, s8, v11
	v_sub_co_u32 v23, s4, 0, v23
	s_wait_alu 0xfffd
	v_add_co_ci_u32_e64 v22, null, s9, v12, vcc_lo
	s_wait_alu 0xf1ff
	v_sub_co_ci_u32_e64 v24, null, 0, 0, s4
	v_mov_b32_e32 v12, 0
	s_mov_b32 s4, 0
.LBB40_19:                              ; =>This Inner Loop Header: Depth=1
	global_load_b64 v[44:45], v[21:22], off
	s_clause 0x3
	global_load_b128 v[28:31], v[17:18], off offset:48
	global_load_b128 v[32:35], v[17:18], off offset:32
	;; [unrolled: 1-line block ×3, first 2 shown]
	global_load_b128 v[40:43], v[17:18], off
	s_wait_loadcnt 0x4
	v_sub_co_u32 v44, vcc_lo, v44, v1
	s_wait_alu 0xfffd
	v_sub_co_ci_u32_e64 v45, null, v45, v2, vcc_lo
	s_delay_alu instid0(VALU_DEP_1) | instskip(SKIP_1) | instid1(VALU_DEP_1)
	v_lshlrev_b64_e32 v[44:45], 4, v[44:45]
	s_wait_kmcnt 0x0
	v_add_co_u32 v44, vcc_lo, s6, v44
	s_wait_alu 0xfffd
	s_delay_alu instid0(VALU_DEP_2)
	v_add_co_ci_u32_e64 v45, null, s7, v45, vcc_lo
	v_add_co_u32 v17, vcc_lo, 0x100, v17
	s_wait_alu 0xfffd
	v_add_co_ci_u32_e64 v18, null, 0, v18, vcc_lo
	global_load_b128 v[44:47], v[44:45], off
	v_add_co_u32 v15, vcc_lo, v15, 4
	s_wait_alu 0xfffd
	v_add_co_ci_u32_e64 v16, null, 0, v16, vcc_lo
	v_add_co_u32 v21, vcc_lo, v21, 32
	s_wait_alu 0xfffd
	v_add_co_ci_u32_e64 v22, null, 0, v22, vcc_lo
	;; [unrolled: 3-line block ×3, first 2 shown]
	s_delay_alu instid0(VALU_DEP_1)
	v_cmp_eq_u64_e32 vcc_lo, 0, v[23:24]
	s_wait_alu 0xfffe
	s_or_b32 s4, vcc_lo, s4
	s_wait_loadcnt 0x0
	v_fmac_f32_e32 v27, v36, v44
	v_fmac_f32_e32 v12, v40, v44
	;; [unrolled: 1-line block ×3, first 2 shown]
	s_delay_alu instid0(VALU_DEP_3) | instskip(NEXT) | instid1(VALU_DEP_3)
	v_dual_fmac_f32 v26, v32, v44 :: v_dual_fmac_f32 v27, v37, v45
	v_fmac_f32_e32 v12, v41, v45
	s_delay_alu instid0(VALU_DEP_3) | instskip(NEXT) | instid1(VALU_DEP_3)
	v_fmac_f32_e32 v25, v29, v45
	v_dual_fmac_f32 v26, v33, v45 :: v_dual_fmac_f32 v27, v38, v46
	s_delay_alu instid0(VALU_DEP_3) | instskip(NEXT) | instid1(VALU_DEP_3)
	v_fmac_f32_e32 v12, v42, v46
	v_fmac_f32_e32 v25, v30, v46
	s_delay_alu instid0(VALU_DEP_3) | instskip(NEXT) | instid1(VALU_DEP_3)
	v_dual_fmac_f32 v26, v34, v46 :: v_dual_fmac_f32 v27, v39, v47
	v_fmac_f32_e32 v12, v43, v47
	s_delay_alu instid0(VALU_DEP_3) | instskip(NEXT) | instid1(VALU_DEP_3)
	v_fmac_f32_e32 v25, v31, v47
	v_fmac_f32_e32 v26, v35, v47
	s_wait_alu 0xfffe
	s_and_not1_b32 exec_lo, exec_lo, s4
	s_cbranch_execnz .LBB40_19
; %bb.20:
	s_or_b32 exec_lo, exec_lo, s4
.LBB40_21:
	s_wait_alu 0xfffe
	s_or_b32 exec_lo, exec_lo, s3
	s_delay_alu instid0(SALU_CYCLE_1)
	s_mov_b32 s10, exec_lo
	v_cmpx_lt_u64_e32 11, v[19:20]
	s_cbranch_execz .LBB40_25
; %bb.22:
	v_lshlrev_b64_e32 v[19:20], 3, v[15:16]
	s_mov_b32 s11, 0
	s_delay_alu instid0(VALU_DEP_1) | instskip(SKIP_1) | instid1(VALU_DEP_2)
	v_add_co_u32 v11, vcc_lo, s8, v19
	s_wait_alu 0xfffd
	v_add_co_ci_u32_e64 v20, null, s9, v20, vcc_lo
	s_delay_alu instid0(VALU_DEP_2) | instskip(SKIP_1) | instid1(VALU_DEP_2)
	v_add_co_u32 v19, vcc_lo, v11, 64
	s_wait_alu 0xfffd
	v_add_co_ci_u32_e64 v20, null, 0, v20, vcc_lo
.LBB40_23:                              ; =>This Inner Loop Header: Depth=1
	s_clause 0x2
	global_load_b64 v[88:89], v[19:20], off offset:-64
	global_load_b64 v[90:91], v[19:20], off offset:-32
	global_load_b64 v[92:93], v[19:20], off
	s_clause 0xb
	global_load_b128 v[21:24], v[17:18], off offset:48
	global_load_b128 v[28:31], v[17:18], off offset:32
	;; [unrolled: 1-line block ×3, first 2 shown]
	global_load_b128 v[36:39], v[17:18], off
	global_load_b128 v[40:43], v[17:18], off offset:304
	global_load_b128 v[44:47], v[17:18], off offset:288
	;; [unrolled: 1-line block ×8, first 2 shown]
	global_load_b64 v[96:97], v[19:20], off offset:32
	s_clause 0x3
	global_load_b128 v[72:75], v[17:18], off offset:816
	global_load_b128 v[76:79], v[17:18], off offset:800
	global_load_b128 v[80:83], v[17:18], off offset:784
	global_load_b128 v[84:87], v[17:18], off offset:768
	v_add_co_u32 v19, s4, 0x80, v19
	s_wait_alu 0xf1ff
	v_add_co_ci_u32_e64 v20, null, 0, v20, s4
	s_wait_loadcnt 0x13
	v_sub_co_u32 v88, vcc_lo, v88, v1
	s_wait_alu 0xfffd
	v_sub_co_ci_u32_e64 v89, null, v89, v2, vcc_lo
	s_wait_loadcnt 0x12
	v_sub_co_u32 v90, vcc_lo, v90, v1
	s_wait_alu 0xfffd
	v_sub_co_ci_u32_e64 v91, null, v91, v2, vcc_lo
	v_lshlrev_b64_e32 v[88:89], 4, v[88:89]
	s_wait_loadcnt 0x11
	v_sub_co_u32 v98, vcc_lo, v92, v1
	s_wait_alu 0xfffd
	v_sub_co_ci_u32_e64 v99, null, v93, v2, vcc_lo
	v_lshlrev_b64_e32 v[91:92], 4, v[90:91]
	s_wait_kmcnt 0x0
	v_add_co_u32 v88, vcc_lo, s6, v88
	s_wait_alu 0xfffd
	v_add_co_ci_u32_e64 v89, null, s7, v89, vcc_lo
	s_delay_alu instid0(VALU_DEP_3)
	v_add_co_u32 v93, vcc_lo, s6, v91
	global_load_b128 v[88:91], v[88:89], off
	s_wait_alu 0xfffd
	v_add_co_ci_u32_e64 v94, null, s7, v92, vcc_lo
	s_wait_loadcnt 0x5
	v_sub_co_u32 v96, vcc_lo, v96, v1
	s_wait_alu 0xfffd
	v_sub_co_ci_u32_e64 v97, null, v97, v2, vcc_lo
	global_load_b128 v[92:95], v[93:94], off
	v_lshlrev_b64_e32 v[96:97], 4, v[96:97]
	s_delay_alu instid0(VALU_DEP_1) | instskip(SKIP_1) | instid1(VALU_DEP_2)
	v_add_co_u32 v96, vcc_lo, s6, v96
	s_wait_alu 0xfffd
	v_add_co_ci_u32_e64 v97, null, s7, v97, vcc_lo
	v_add_co_u32 v17, vcc_lo, 0x400, v17
	s_wait_alu 0xfffd
	v_add_co_ci_u32_e64 v18, null, 0, v18, vcc_lo
	s_wait_loadcnt 0x1
	v_fmac_f32_e32 v26, v28, v88
	v_fmac_f32_e32 v27, v32, v88
	;; [unrolled: 1-line block ×3, first 2 shown]
	s_delay_alu instid0(VALU_DEP_3) | instskip(NEXT) | instid1(VALU_DEP_3)
	v_fmac_f32_e32 v26, v29, v89
	v_dual_fmac_f32 v12, v36, v88 :: v_dual_fmac_f32 v27, v33, v89
	s_delay_alu instid0(VALU_DEP_3) | instskip(NEXT) | instid1(VALU_DEP_2)
	v_fmac_f32_e32 v25, v22, v89
	v_dual_fmac_f32 v12, v37, v89 :: v_dual_fmac_f32 v27, v34, v90
	v_lshlrev_b64_e32 v[36:37], 4, v[98:99]
	global_load_b128 v[96:99], v[96:97], off
	v_fmac_f32_e32 v26, v30, v90
	v_dual_fmac_f32 v12, v38, v90 :: v_dual_fmac_f32 v27, v35, v91
	v_fmac_f32_e32 v25, v23, v90
	v_add_co_u32 v36, s3, s6, v36
	s_wait_alu 0xf1ff
	v_add_co_ci_u32_e64 v37, null, s7, v37, s3
	v_fmac_f32_e32 v12, v39, v91
	v_add_co_u32 v15, s3, v15, 16
	global_load_b128 v[36:39], v[36:37], off
	s_wait_loadcnt 0x2
	v_dual_fmac_f32 v26, v31, v91 :: v_dual_fmac_f32 v27, v48, v92
	v_fmac_f32_e32 v12, v52, v92
	s_wait_alu 0xf1ff
	v_add_co_ci_u32_e64 v16, null, 0, v16, s3
	s_delay_alu instid0(VALU_DEP_3) | instskip(NEXT) | instid1(VALU_DEP_3)
	v_fmac_f32_e32 v27, v49, v93
	v_dual_fmac_f32 v25, v24, v91 :: v_dual_fmac_f32 v12, v53, v93
	s_delay_alu instid0(VALU_DEP_3) | instskip(NEXT) | instid1(VALU_DEP_3)
	v_cmp_ge_i64_e32 vcc_lo, v[15:16], v[7:8]
	v_fmac_f32_e32 v27, v50, v94
	s_delay_alu instid0(VALU_DEP_3)
	v_fmac_f32_e32 v25, v40, v92
	v_fmac_f32_e32 v26, v44, v92
	;; [unrolled: 1-line block ×3, first 2 shown]
	s_wait_alu 0xfffe
	s_or_b32 s11, vcc_lo, s11
	v_fmac_f32_e32 v27, v51, v95
	v_fmac_f32_e32 v25, v41, v93
	;; [unrolled: 1-line block ×3, first 2 shown]
	s_delay_alu instid0(VALU_DEP_2) | instskip(NEXT) | instid1(VALU_DEP_1)
	v_dual_fmac_f32 v12, v55, v95 :: v_dual_fmac_f32 v25, v42, v94
	v_dual_fmac_f32 v26, v46, v94 :: v_dual_fmac_f32 v25, v43, v95
	s_wait_loadcnt 0x0
	s_delay_alu instid0(VALU_DEP_1) | instskip(NEXT) | instid1(VALU_DEP_3)
	v_dual_fmac_f32 v26, v47, v95 :: v_dual_fmac_f32 v27, v64, v36
	v_fmac_f32_e32 v12, v68, v36
	s_delay_alu instid0(VALU_DEP_3) | instskip(NEXT) | instid1(VALU_DEP_3)
	v_fmac_f32_e32 v25, v56, v36
	v_dual_fmac_f32 v26, v60, v36 :: v_dual_fmac_f32 v27, v65, v37
	s_delay_alu instid0(VALU_DEP_3) | instskip(NEXT) | instid1(VALU_DEP_3)
	v_fmac_f32_e32 v12, v69, v37
	v_fmac_f32_e32 v25, v57, v37
	s_delay_alu instid0(VALU_DEP_3) | instskip(NEXT) | instid1(VALU_DEP_3)
	v_dual_fmac_f32 v26, v61, v37 :: v_dual_fmac_f32 v27, v66, v38
	v_fmac_f32_e32 v12, v70, v38
	s_delay_alu instid0(VALU_DEP_3) | instskip(NEXT) | instid1(VALU_DEP_3)
	v_fmac_f32_e32 v25, v58, v38
	v_dual_fmac_f32 v26, v62, v38 :: v_dual_fmac_f32 v27, v67, v39
	s_delay_alu instid0(VALU_DEP_3) | instskip(NEXT) | instid1(VALU_DEP_3)
	v_fmac_f32_e32 v12, v71, v39
	v_fmac_f32_e32 v25, v59, v39
	s_delay_alu instid0(VALU_DEP_3) | instskip(NEXT) | instid1(VALU_DEP_3)
	;; [unrolled: 9-line block ×3, first 2 shown]
	v_dual_fmac_f32 v26, v77, v97 :: v_dual_fmac_f32 v27, v82, v98
	v_fmac_f32_e32 v12, v86, v98
	s_delay_alu instid0(VALU_DEP_3) | instskip(NEXT) | instid1(VALU_DEP_3)
	v_fmac_f32_e32 v25, v74, v98
	v_dual_fmac_f32 v26, v78, v98 :: v_dual_fmac_f32 v27, v83, v99
	s_delay_alu instid0(VALU_DEP_3) | instskip(NEXT) | instid1(VALU_DEP_3)
	v_fmac_f32_e32 v12, v87, v99
	v_fmac_f32_e32 v25, v75, v99
	s_delay_alu instid0(VALU_DEP_3)
	v_fmac_f32_e32 v26, v79, v99
	s_wait_alu 0xfffe
	s_and_not1_b32 exec_lo, exec_lo, s11
	s_cbranch_execnz .LBB40_23
; %bb.24:
	s_or_b32 exec_lo, exec_lo, s11
.LBB40_25:
	s_wait_alu 0xfffe
	s_or_b32 exec_lo, exec_lo, s10
.LBB40_26:
	s_wait_alu 0xfffe
	s_or_b32 exec_lo, exec_lo, s5
	s_cbranch_execz .LBB40_28
	s_branch .LBB40_39
.LBB40_27:
                                        ; implicit-def: $vgpr25
                                        ; implicit-def: $vgpr26
                                        ; implicit-def: $vgpr27
                                        ; implicit-def: $vgpr12
.LBB40_28:
	v_dual_mov_b32 v25, 0 :: v_dual_mov_b32 v26, 0
	v_dual_mov_b32 v27, 0 :: v_dual_mov_b32 v12, 0
	s_and_saveexec_b32 s3, s2
	s_cbranch_execz .LBB40_38
; %bb.29:
	v_or_b32_e32 v11, 4, v0
	v_sub_co_u32 v15, s2, v1, v0
	s_wait_alu 0xf1ff
	v_subrev_co_ci_u32_e64 v16, null, 0, v2, s2
	s_delay_alu instid0(VALU_DEP_3)
	v_sub_co_u32 v11, vcc_lo, v11, v1
	s_wait_alu 0xfffd
	v_sub_co_ci_u32_e64 v12, null, 0, v2, vcc_lo
	s_mov_b32 s2, exec_lo
	v_add_co_u32 v11, vcc_lo, v11, v13
	s_wait_alu 0xfffd
	v_add_co_ci_u32_e64 v12, null, v12, v14, vcc_lo
	v_not_b32_e32 v13, v13
	v_not_b32_e32 v14, v14
	s_delay_alu instid0(VALU_DEP_3)
	v_cmp_gt_i64_e32 vcc_lo, v[11:12], v[7:8]
	s_wait_alu 0xfffd
	v_cndmask_b32_e32 v17, v8, v12, vcc_lo
	v_cndmask_b32_e32 v11, v7, v11, vcc_lo
	v_add_co_u32 v12, vcc_lo, v15, v13
	s_wait_alu 0xfffd
	v_add_co_ci_u32_e64 v14, null, v16, v14, vcc_lo
	s_delay_alu instid0(VALU_DEP_2) | instskip(SKIP_2) | instid1(VALU_DEP_3)
	v_add_co_u32 v13, vcc_lo, v12, v11
	v_mov_b32_e32 v12, 0
	s_wait_alu 0xfffd
	v_add_co_ci_u32_e64 v14, null, v14, v17, vcc_lo
	s_delay_alu instid0(VALU_DEP_3) | instskip(NEXT) | instid1(VALU_DEP_3)
	v_and_b32_e32 v11, 12, v13
	v_dual_mov_b32 v27, v12 :: v_dual_mov_b32 v26, v12
	v_mov_b32_e32 v25, v12
	s_delay_alu instid0(VALU_DEP_3)
	v_cmpx_ne_u64_e32 12, v[11:12]
	s_cbranch_execz .LBB40_33
; %bb.30:
	v_lshrrev_b32_e32 v11, 2, v13
	v_mov_b32_e32 v25, 0
	v_dual_mov_b32 v27, 0 :: v_dual_mov_b32 v26, 0
	s_delay_alu instid0(VALU_DEP_3) | instskip(SKIP_1) | instid1(VALU_DEP_2)
	v_add_nc_u32_e32 v15, 1, v11
	v_lshlrev_b64_e32 v[11:12], 3, v[5:6]
	v_and_b32_e32 v17, 3, v15
	s_delay_alu instid0(VALU_DEP_2) | instskip(SKIP_1) | instid1(VALU_DEP_3)
	v_add_co_u32 v15, vcc_lo, s8, v11
	s_wait_alu 0xfffd
	v_add_co_ci_u32_e64 v16, null, s9, v12, vcc_lo
	s_delay_alu instid0(VALU_DEP_3)
	v_sub_co_u32 v17, s4, 0, v17
	s_wait_alu 0xf1ff
	v_sub_co_ci_u32_e64 v18, null, 0, 0, s4
	v_mov_b32_e32 v12, 0
	s_mov_b32 s4, 0
.LBB40_31:                              ; =>This Inner Loop Header: Depth=1
	global_load_b64 v[23:24], v[15:16], off
	s_clause 0x1
	global_load_b128 v[19:22], v[9:10], off offset:16
	global_load_b128 v[28:31], v[9:10], off
	s_wait_loadcnt 0x2
	v_sub_co_u32 v23, vcc_lo, v23, v1
	s_wait_alu 0xfffd
	v_sub_co_ci_u32_e64 v24, null, v24, v2, vcc_lo
	s_delay_alu instid0(VALU_DEP_1) | instskip(SKIP_1) | instid1(VALU_DEP_1)
	v_lshlrev_b64_e32 v[23:24], 4, v[23:24]
	s_wait_kmcnt 0x0
	v_add_co_u32 v23, vcc_lo, s6, v23
	s_wait_alu 0xfffd
	s_delay_alu instid0(VALU_DEP_2)
	v_add_co_ci_u32_e64 v24, null, s7, v24, vcc_lo
	global_load_b128 v[32:35], v[23:24], off
	s_clause 0x1
	global_load_b128 v[36:39], v[9:10], off offset:32
	global_load_b128 v[40:43], v[9:10], off offset:48
	v_add_co_u32 v9, vcc_lo, 0x100, v9
	s_wait_alu 0xfffd
	v_add_co_ci_u32_e64 v10, null, 0, v10, vcc_lo
	v_add_co_u32 v5, vcc_lo, v5, 4
	s_wait_alu 0xfffd
	v_add_co_ci_u32_e64 v6, null, 0, v6, vcc_lo
	;; [unrolled: 3-line block ×4, first 2 shown]
	s_delay_alu instid0(VALU_DEP_1) | instskip(SKIP_4) | instid1(VALU_DEP_1)
	v_cmp_eq_u64_e32 vcc_lo, 0, v[17:18]
	s_wait_alu 0xfffe
	s_or_b32 s4, vcc_lo, s4
	s_wait_loadcnt 0x2
	v_fmac_f32_e32 v25, v31, v32
	v_dual_fmac_f32 v12, v28, v32 :: v_dual_fmac_f32 v25, v22, v33
	s_delay_alu instid0(VALU_DEP_1) | instskip(SKIP_1) | instid1(VALU_DEP_2)
	v_dual_fmac_f32 v27, v29, v32 :: v_dual_fmac_f32 v12, v19, v33
	s_wait_loadcnt 0x1
	v_dual_fmac_f32 v26, v30, v32 :: v_dual_fmac_f32 v25, v39, v34
	s_delay_alu instid0(VALU_DEP_2) | instskip(SKIP_1) | instid1(VALU_DEP_2)
	v_fmac_f32_e32 v27, v20, v33
	s_wait_loadcnt 0x0
	v_dual_fmac_f32 v26, v21, v33 :: v_dual_fmac_f32 v25, v43, v35
	s_delay_alu instid0(VALU_DEP_2) | instskip(SKIP_1) | instid1(VALU_DEP_2)
	v_fmac_f32_e32 v27, v37, v34
	v_fmac_f32_e32 v12, v36, v34
	v_dual_fmac_f32 v26, v38, v34 :: v_dual_fmac_f32 v27, v41, v35
	s_delay_alu instid0(VALU_DEP_2) | instskip(NEXT) | instid1(VALU_DEP_2)
	v_fmac_f32_e32 v12, v40, v35
	v_fmac_f32_e32 v26, v42, v35
	s_wait_alu 0xfffe
	s_and_not1_b32 exec_lo, exec_lo, s4
	s_cbranch_execnz .LBB40_31
; %bb.32:
	s_or_b32 exec_lo, exec_lo, s4
.LBB40_33:
	s_wait_alu 0xfffe
	s_or_b32 exec_lo, exec_lo, s2
	s_delay_alu instid0(SALU_CYCLE_1)
	s_mov_b32 s4, exec_lo
	v_cmpx_lt_u64_e32 11, v[13:14]
	s_cbranch_execz .LBB40_37
; %bb.34:
	v_lshlrev_b64_e32 v[13:14], 3, v[5:6]
	s_mov_b32 s5, 0
	s_delay_alu instid0(VALU_DEP_1) | instskip(SKIP_1) | instid1(VALU_DEP_2)
	v_add_co_u32 v11, vcc_lo, s8, v13
	s_wait_alu 0xfffd
	v_add_co_ci_u32_e64 v14, null, s9, v14, vcc_lo
	s_delay_alu instid0(VALU_DEP_2) | instskip(SKIP_1) | instid1(VALU_DEP_2)
	v_add_co_u32 v13, vcc_lo, v11, 64
	s_wait_alu 0xfffd
	v_add_co_ci_u32_e64 v14, null, 0, v14, vcc_lo
.LBB40_35:                              ; =>This Inner Loop Header: Depth=1
	s_clause 0x3
	global_load_b64 v[23:24], v[13:14], off offset:-64
	global_load_b64 v[76:77], v[13:14], off offset:-32
	global_load_b64 v[79:80], v[13:14], off
	global_load_b64 v[87:88], v[13:14], off offset:32
	s_clause 0xd
	global_load_b128 v[15:18], v[9:10], off offset:48
	global_load_b128 v[19:22], v[9:10], off offset:32
	;; [unrolled: 1-line block ×3, first 2 shown]
	global_load_b128 v[32:35], v[9:10], off
	global_load_b128 v[36:39], v[9:10], off offset:304
	global_load_b128 v[40:43], v[9:10], off offset:288
	global_load_b128 v[44:47], v[9:10], off offset:272
	global_load_b128 v[48:51], v[9:10], off offset:256
	global_load_b128 v[52:55], v[9:10], off offset:560
	global_load_b128 v[56:59], v[9:10], off offset:544
	global_load_b128 v[60:63], v[9:10], off offset:528
	global_load_b128 v[64:67], v[9:10], off offset:512
	global_load_b128 v[68:71], v[9:10], off offset:784
	global_load_b128 v[72:75], v[9:10], off offset:768
	s_wait_loadcnt 0x11
	v_sub_co_u32 v23, vcc_lo, v23, v1
	s_wait_alu 0xfffd
	v_sub_co_ci_u32_e64 v24, null, v24, v2, vcc_lo
	s_wait_loadcnt 0x10
	v_sub_co_u32 v81, vcc_lo, v76, v1
	s_wait_alu 0xfffd
	v_sub_co_ci_u32_e64 v82, null, v77, v2, vcc_lo
	v_lshlrev_b64_e32 v[23:24], 4, v[23:24]
	s_wait_loadcnt 0xf
	v_sub_co_u32 v84, vcc_lo, v79, v1
	s_wait_alu 0xfffd
	v_sub_co_ci_u32_e64 v85, null, v80, v2, vcc_lo
	s_wait_kmcnt 0x0
	v_add_co_u32 v23, s2, s6, v23
	s_wait_alu 0xf1ff
	v_add_co_ci_u32_e64 v24, null, s7, v24, s2
	v_lshlrev_b64_e32 v[84:85], 4, v[84:85]
	global_load_b128 v[76:79], v[23:24], off
	v_lshlrev_b64_e32 v[23:24], 4, v[81:82]
	v_add_co_u32 v84, s2, s6, v84
	s_wait_alu 0xf1ff
	v_add_co_ci_u32_e64 v85, null, s7, v85, s2
	s_delay_alu instid0(VALU_DEP_3)
	v_add_co_u32 v23, vcc_lo, s6, v23
	s_wait_alu 0xfffd
	v_add_co_ci_u32_e64 v24, null, s7, v24, vcc_lo
	global_load_b128 v[80:83], v[23:24], off
	s_wait_loadcnt 0x10
	v_sub_co_u32 v23, vcc_lo, v87, v1
	global_load_b128 v[84:87], v[84:85], off
	s_wait_alu 0xfffd
	v_sub_co_ci_u32_e64 v24, null, v88, v2, vcc_lo
	s_delay_alu instid0(VALU_DEP_1) | instskip(NEXT) | instid1(VALU_DEP_1)
	v_lshlrev_b64_e32 v[23:24], 4, v[23:24]
	v_add_co_u32 v23, vcc_lo, s6, v23
	s_wait_alu 0xfffd
	s_delay_alu instid0(VALU_DEP_2)
	v_add_co_ci_u32_e64 v24, null, s7, v24, vcc_lo
	global_load_b128 v[88:91], v[23:24], off
	global_load_b128 v[92:95], v[9:10], off offset:800
	s_wait_loadcnt 0x4
	v_fmac_f32_e32 v27, v33, v76
	v_fmac_f32_e32 v12, v32, v76
	;; [unrolled: 1-line block ×4, first 2 shown]
	global_load_b128 v[32:35], v[9:10], off offset:816
	v_fmac_f32_e32 v27, v29, v77
	v_fmac_f32_e32 v12, v28, v77
	;; [unrolled: 1-line block ×4, first 2 shown]
	v_add_co_u32 v9, vcc_lo, 0x400, v9
	v_fmac_f32_e32 v27, v20, v78
	v_fmac_f32_e32 v12, v19, v78
	;; [unrolled: 1-line block ×4, first 2 shown]
	s_wait_alu 0xfffd
	v_add_co_ci_u32_e64 v10, null, 0, v10, vcc_lo
	v_fmac_f32_e32 v27, v16, v79
	v_fmac_f32_e32 v12, v15, v79
	;; [unrolled: 1-line block ×4, first 2 shown]
	v_add_co_u32 v5, vcc_lo, v5, 16
	s_wait_loadcnt 0x4
	v_fmac_f32_e32 v27, v49, v80
	v_fmac_f32_e32 v12, v48, v80
	;; [unrolled: 1-line block ×4, first 2 shown]
	s_wait_alu 0xfffd
	v_add_co_ci_u32_e64 v6, null, 0, v6, vcc_lo
	v_fmac_f32_e32 v27, v45, v81
	v_fmac_f32_e32 v12, v44, v81
	v_fmac_f32_e32 v25, v47, v81
	v_fmac_f32_e32 v26, v46, v81
	v_add_co_u32 v13, vcc_lo, 0x80, v13
	v_fmac_f32_e32 v27, v41, v82
	v_fmac_f32_e32 v12, v40, v82
	;; [unrolled: 1-line block ×4, first 2 shown]
	s_wait_alu 0xfffd
	v_add_co_ci_u32_e64 v14, null, 0, v14, vcc_lo
	v_fmac_f32_e32 v27, v37, v83
	v_fmac_f32_e32 v12, v36, v83
	;; [unrolled: 1-line block ×4, first 2 shown]
	v_cmp_ge_i64_e32 vcc_lo, v[5:6], v[7:8]
	s_wait_loadcnt 0x3
	v_fmac_f32_e32 v27, v65, v84
	v_fmac_f32_e32 v12, v64, v84
	;; [unrolled: 1-line block ×3, first 2 shown]
	s_delay_alu instid0(VALU_DEP_3) | instskip(NEXT) | instid1(VALU_DEP_3)
	v_dual_fmac_f32 v26, v66, v84 :: v_dual_fmac_f32 v27, v61, v85
	v_fmac_f32_e32 v12, v60, v85
	s_delay_alu instid0(VALU_DEP_3) | instskip(NEXT) | instid1(VALU_DEP_3)
	v_fmac_f32_e32 v25, v63, v85
	v_fmac_f32_e32 v26, v62, v85
	s_wait_alu 0xfffe
	s_or_b32 s5, vcc_lo, s5
	v_fmac_f32_e32 v27, v57, v86
	v_fmac_f32_e32 v12, v56, v86
	;; [unrolled: 1-line block ×3, first 2 shown]
	s_delay_alu instid0(VALU_DEP_3) | instskip(NEXT) | instid1(VALU_DEP_3)
	v_dual_fmac_f32 v26, v58, v86 :: v_dual_fmac_f32 v27, v53, v87
	v_fmac_f32_e32 v12, v52, v87
	s_delay_alu instid0(VALU_DEP_3) | instskip(SKIP_1) | instid1(VALU_DEP_3)
	v_fmac_f32_e32 v25, v55, v87
	s_wait_loadcnt 0x2
	v_dual_fmac_f32 v26, v54, v87 :: v_dual_fmac_f32 v27, v73, v88
	s_delay_alu instid0(VALU_DEP_3) | instskip(NEXT) | instid1(VALU_DEP_3)
	v_fmac_f32_e32 v12, v72, v88
	v_fmac_f32_e32 v25, v75, v88
	s_delay_alu instid0(VALU_DEP_3) | instskip(NEXT) | instid1(VALU_DEP_3)
	v_dual_fmac_f32 v26, v74, v88 :: v_dual_fmac_f32 v27, v69, v89
	v_fmac_f32_e32 v12, v68, v89
	s_delay_alu instid0(VALU_DEP_3) | instskip(SKIP_1) | instid1(VALU_DEP_3)
	v_fmac_f32_e32 v25, v71, v89
	s_wait_loadcnt 0x1
	v_dual_fmac_f32 v26, v70, v89 :: v_dual_fmac_f32 v27, v93, v90
	s_delay_alu instid0(VALU_DEP_3) | instskip(NEXT) | instid1(VALU_DEP_3)
	v_fmac_f32_e32 v12, v92, v90
	v_fmac_f32_e32 v25, v95, v90
	s_wait_loadcnt 0x0
	s_delay_alu instid0(VALU_DEP_1) | instskip(SKIP_2) | instid1(VALU_DEP_3)
	v_dual_fmac_f32 v26, v94, v90 :: v_dual_fmac_f32 v25, v35, v91
	v_fmac_f32_e32 v27, v33, v91
	v_fmac_f32_e32 v12, v32, v91
	;; [unrolled: 1-line block ×3, first 2 shown]
	s_wait_alu 0xfffe
	s_and_not1_b32 exec_lo, exec_lo, s5
	s_cbranch_execnz .LBB40_35
; %bb.36:
	s_or_b32 exec_lo, exec_lo, s5
.LBB40_37:
	s_wait_alu 0xfffe
	s_or_b32 exec_lo, exec_lo, s4
.LBB40_38:
	s_wait_alu 0xfffe
	s_or_b32 exec_lo, exec_lo, s3
.LBB40_39:
	v_mbcnt_lo_u32_b32 v1, -1, 0
	s_mov_b32 s2, -1
	s_delay_alu instid0(VALU_DEP_1) | instskip(NEXT) | instid1(VALU_DEP_1)
	v_xor_b32_e32 v2, 2, v1
	v_cmp_gt_i32_e32 vcc_lo, 32, v2
	s_wait_alu 0xfffd
	v_cndmask_b32_e32 v2, v1, v2, vcc_lo
	s_delay_alu instid0(VALU_DEP_1)
	v_lshlrev_b32_e32 v2, 2, v2
	ds_bpermute_b32 v5, v2, v12
	ds_bpermute_b32 v6, v2, v27
	;; [unrolled: 1-line block ×4, first 2 shown]
	v_xor_b32_e32 v2, 1, v1
	s_delay_alu instid0(VALU_DEP_1) | instskip(SKIP_3) | instid1(VALU_DEP_2)
	v_cmp_gt_i32_e32 vcc_lo, 32, v2
	s_wait_alu 0xfffd
	v_cndmask_b32_e32 v1, v1, v2, vcc_lo
	v_cmp_eq_u32_e32 vcc_lo, 3, v0
	v_lshlrev_b32_e32 v10, 2, v1
	s_wait_dscnt 0x2
	v_dual_add_f32 v1, v12, v5 :: v_dual_add_f32 v2, v27, v6
	s_wait_dscnt 0x0
	v_dual_add_f32 v5, v26, v7 :: v_dual_add_f32 v6, v25, v8
	ds_bpermute_b32 v7, v10, v1
	ds_bpermute_b32 v8, v10, v2
	;; [unrolled: 1-line block ×4, first 2 shown]
	s_and_b32 exec_lo, exec_lo, vcc_lo
	s_cbranch_execz .LBB40_10
; %bb.40:
	s_load_b64 s[0:1], s[0:1], 0x58
	s_wait_dscnt 0x2
	v_dual_add_f32 v0, v1, v7 :: v_dual_add_f32 v1, v2, v8
	s_wait_dscnt 0x0
	v_add_f32_e32 v6, v6, v10
	s_cmp_eq_f32 s16, 0
	s_delay_alu instid0(VALU_DEP_2) | instskip(SKIP_3) | instid1(VALU_DEP_3)
	v_dual_mul_f32 v0, s12, v0 :: v_dual_mul_f32 v1, s12, v1
	v_add_f32_e32 v2, v5, v9
	v_lshlrev_b64_e32 v[4:5], 4, v[3:4]
	v_mul_f32_e32 v3, s12, v6
	v_mul_f32_e32 v2, s12, v2
	s_cbranch_scc0 .LBB40_42
; %bb.41:
	s_wait_kmcnt 0x0
	s_delay_alu instid0(VALU_DEP_3)
	v_add_co_u32 v6, vcc_lo, s0, v4
	s_wait_alu 0xfffd
	v_add_co_ci_u32_e64 v7, null, s1, v5, vcc_lo
	s_mov_b32 s2, 0
	global_store_b128 v[6:7], v[0:3], off
.LBB40_42:
	s_wait_alu 0xfffe
	s_and_not1_b32 vcc_lo, exec_lo, s2
	s_wait_alu 0xfffe
	s_cbranch_vccnz .LBB40_10
; %bb.43:
	s_wait_kmcnt 0x0
	v_add_co_u32 v8, vcc_lo, s0, v4
	s_wait_alu 0xfffd
	v_add_co_ci_u32_e64 v9, null, s1, v5, vcc_lo
	global_load_b128 v[4:7], v[8:9], off
	s_wait_loadcnt 0x0
	v_dual_fmac_f32 v0, s16, v4 :: v_dual_fmac_f32 v1, s16, v5
	v_dual_fmac_f32 v2, s16, v6 :: v_dual_fmac_f32 v3, s16, v7
	global_store_b128 v[8:9], v[0:3], off
	s_nop 0
	s_sendmsg sendmsg(MSG_DEALLOC_VGPRS)
	s_endpgm
	.section	.rodata,"a",@progbits
	.p2align	6, 0x0
	.amdhsa_kernel _ZN9rocsparseL18bsrxmvn_4x4_kernelILj128ELj4EfllfffEEvT3_20rocsparse_direction_NS_24const_host_device_scalarIT1_EES1_PKS1_PKT2_SA_S7_PKT4_PKT5_S5_PT6_21rocsparse_index_base_b
		.amdhsa_group_segment_fixed_size 0
		.amdhsa_private_segment_fixed_size 0
		.amdhsa_kernarg_size 104
		.amdhsa_user_sgpr_count 2
		.amdhsa_user_sgpr_dispatch_ptr 0
		.amdhsa_user_sgpr_queue_ptr 0
		.amdhsa_user_sgpr_kernarg_segment_ptr 1
		.amdhsa_user_sgpr_dispatch_id 0
		.amdhsa_user_sgpr_private_segment_size 0
		.amdhsa_wavefront_size32 1
		.amdhsa_uses_dynamic_stack 0
		.amdhsa_enable_private_segment 0
		.amdhsa_system_sgpr_workgroup_id_x 1
		.amdhsa_system_sgpr_workgroup_id_y 0
		.amdhsa_system_sgpr_workgroup_id_z 0
		.amdhsa_system_sgpr_workgroup_info 0
		.amdhsa_system_vgpr_workitem_id 0
		.amdhsa_next_free_vgpr 100
		.amdhsa_next_free_sgpr 18
		.amdhsa_reserve_vcc 1
		.amdhsa_float_round_mode_32 0
		.amdhsa_float_round_mode_16_64 0
		.amdhsa_float_denorm_mode_32 3
		.amdhsa_float_denorm_mode_16_64 3
		.amdhsa_fp16_overflow 0
		.amdhsa_workgroup_processor_mode 1
		.amdhsa_memory_ordered 1
		.amdhsa_forward_progress 1
		.amdhsa_inst_pref_size 34
		.amdhsa_round_robin_scheduling 0
		.amdhsa_exception_fp_ieee_invalid_op 0
		.amdhsa_exception_fp_denorm_src 0
		.amdhsa_exception_fp_ieee_div_zero 0
		.amdhsa_exception_fp_ieee_overflow 0
		.amdhsa_exception_fp_ieee_underflow 0
		.amdhsa_exception_fp_ieee_inexact 0
		.amdhsa_exception_int_div_zero 0
	.end_amdhsa_kernel
	.section	.text._ZN9rocsparseL18bsrxmvn_4x4_kernelILj128ELj4EfllfffEEvT3_20rocsparse_direction_NS_24const_host_device_scalarIT1_EES1_PKS1_PKT2_SA_S7_PKT4_PKT5_S5_PT6_21rocsparse_index_base_b,"axG",@progbits,_ZN9rocsparseL18bsrxmvn_4x4_kernelILj128ELj4EfllfffEEvT3_20rocsparse_direction_NS_24const_host_device_scalarIT1_EES1_PKS1_PKT2_SA_S7_PKT4_PKT5_S5_PT6_21rocsparse_index_base_b,comdat
.Lfunc_end40:
	.size	_ZN9rocsparseL18bsrxmvn_4x4_kernelILj128ELj4EfllfffEEvT3_20rocsparse_direction_NS_24const_host_device_scalarIT1_EES1_PKS1_PKT2_SA_S7_PKT4_PKT5_S5_PT6_21rocsparse_index_base_b, .Lfunc_end40-_ZN9rocsparseL18bsrxmvn_4x4_kernelILj128ELj4EfllfffEEvT3_20rocsparse_direction_NS_24const_host_device_scalarIT1_EES1_PKS1_PKT2_SA_S7_PKT4_PKT5_S5_PT6_21rocsparse_index_base_b
                                        ; -- End function
	.set _ZN9rocsparseL18bsrxmvn_4x4_kernelILj128ELj4EfllfffEEvT3_20rocsparse_direction_NS_24const_host_device_scalarIT1_EES1_PKS1_PKT2_SA_S7_PKT4_PKT5_S5_PT6_21rocsparse_index_base_b.num_vgpr, 100
	.set _ZN9rocsparseL18bsrxmvn_4x4_kernelILj128ELj4EfllfffEEvT3_20rocsparse_direction_NS_24const_host_device_scalarIT1_EES1_PKS1_PKT2_SA_S7_PKT4_PKT5_S5_PT6_21rocsparse_index_base_b.num_agpr, 0
	.set _ZN9rocsparseL18bsrxmvn_4x4_kernelILj128ELj4EfllfffEEvT3_20rocsparse_direction_NS_24const_host_device_scalarIT1_EES1_PKS1_PKT2_SA_S7_PKT4_PKT5_S5_PT6_21rocsparse_index_base_b.numbered_sgpr, 18
	.set _ZN9rocsparseL18bsrxmvn_4x4_kernelILj128ELj4EfllfffEEvT3_20rocsparse_direction_NS_24const_host_device_scalarIT1_EES1_PKS1_PKT2_SA_S7_PKT4_PKT5_S5_PT6_21rocsparse_index_base_b.num_named_barrier, 0
	.set _ZN9rocsparseL18bsrxmvn_4x4_kernelILj128ELj4EfllfffEEvT3_20rocsparse_direction_NS_24const_host_device_scalarIT1_EES1_PKS1_PKT2_SA_S7_PKT4_PKT5_S5_PT6_21rocsparse_index_base_b.private_seg_size, 0
	.set _ZN9rocsparseL18bsrxmvn_4x4_kernelILj128ELj4EfllfffEEvT3_20rocsparse_direction_NS_24const_host_device_scalarIT1_EES1_PKS1_PKT2_SA_S7_PKT4_PKT5_S5_PT6_21rocsparse_index_base_b.uses_vcc, 1
	.set _ZN9rocsparseL18bsrxmvn_4x4_kernelILj128ELj4EfllfffEEvT3_20rocsparse_direction_NS_24const_host_device_scalarIT1_EES1_PKS1_PKT2_SA_S7_PKT4_PKT5_S5_PT6_21rocsparse_index_base_b.uses_flat_scratch, 0
	.set _ZN9rocsparseL18bsrxmvn_4x4_kernelILj128ELj4EfllfffEEvT3_20rocsparse_direction_NS_24const_host_device_scalarIT1_EES1_PKS1_PKT2_SA_S7_PKT4_PKT5_S5_PT6_21rocsparse_index_base_b.has_dyn_sized_stack, 0
	.set _ZN9rocsparseL18bsrxmvn_4x4_kernelILj128ELj4EfllfffEEvT3_20rocsparse_direction_NS_24const_host_device_scalarIT1_EES1_PKS1_PKT2_SA_S7_PKT4_PKT5_S5_PT6_21rocsparse_index_base_b.has_recursion, 0
	.set _ZN9rocsparseL18bsrxmvn_4x4_kernelILj128ELj4EfllfffEEvT3_20rocsparse_direction_NS_24const_host_device_scalarIT1_EES1_PKS1_PKT2_SA_S7_PKT4_PKT5_S5_PT6_21rocsparse_index_base_b.has_indirect_call, 0
	.section	.AMDGPU.csdata,"",@progbits
; Kernel info:
; codeLenInByte = 4348
; TotalNumSgprs: 20
; NumVgprs: 100
; ScratchSize: 0
; MemoryBound: 0
; FloatMode: 240
; IeeeMode: 1
; LDSByteSize: 0 bytes/workgroup (compile time only)
; SGPRBlocks: 0
; VGPRBlocks: 12
; NumSGPRsForWavesPerEU: 20
; NumVGPRsForWavesPerEU: 100
; Occupancy: 12
; WaveLimiterHint : 1
; COMPUTE_PGM_RSRC2:SCRATCH_EN: 0
; COMPUTE_PGM_RSRC2:USER_SGPR: 2
; COMPUTE_PGM_RSRC2:TRAP_HANDLER: 0
; COMPUTE_PGM_RSRC2:TGID_X_EN: 1
; COMPUTE_PGM_RSRC2:TGID_Y_EN: 0
; COMPUTE_PGM_RSRC2:TGID_Z_EN: 0
; COMPUTE_PGM_RSRC2:TIDIG_COMP_CNT: 0
	.section	.text._ZN9rocsparseL18bsrxmvn_4x4_kernelILj128ELj8EfllfffEEvT3_20rocsparse_direction_NS_24const_host_device_scalarIT1_EES1_PKS1_PKT2_SA_S7_PKT4_PKT5_S5_PT6_21rocsparse_index_base_b,"axG",@progbits,_ZN9rocsparseL18bsrxmvn_4x4_kernelILj128ELj8EfllfffEEvT3_20rocsparse_direction_NS_24const_host_device_scalarIT1_EES1_PKS1_PKT2_SA_S7_PKT4_PKT5_S5_PT6_21rocsparse_index_base_b,comdat
	.globl	_ZN9rocsparseL18bsrxmvn_4x4_kernelILj128ELj8EfllfffEEvT3_20rocsparse_direction_NS_24const_host_device_scalarIT1_EES1_PKS1_PKT2_SA_S7_PKT4_PKT5_S5_PT6_21rocsparse_index_base_b ; -- Begin function _ZN9rocsparseL18bsrxmvn_4x4_kernelILj128ELj8EfllfffEEvT3_20rocsparse_direction_NS_24const_host_device_scalarIT1_EES1_PKS1_PKT2_SA_S7_PKT4_PKT5_S5_PT6_21rocsparse_index_base_b
	.p2align	8
	.type	_ZN9rocsparseL18bsrxmvn_4x4_kernelILj128ELj8EfllfffEEvT3_20rocsparse_direction_NS_24const_host_device_scalarIT1_EES1_PKS1_PKT2_SA_S7_PKT4_PKT5_S5_PT6_21rocsparse_index_base_b,@function
_ZN9rocsparseL18bsrxmvn_4x4_kernelILj128ELj8EfllfffEEvT3_20rocsparse_direction_NS_24const_host_device_scalarIT1_EES1_PKS1_PKT2_SA_S7_PKT4_PKT5_S5_PT6_21rocsparse_index_base_b: ; @_ZN9rocsparseL18bsrxmvn_4x4_kernelILj128ELj8EfllfffEEvT3_20rocsparse_direction_NS_24const_host_device_scalarIT1_EES1_PKS1_PKT2_SA_S7_PKT4_PKT5_S5_PT6_21rocsparse_index_base_b
; %bb.0:
	s_clause 0x2
	s_load_b64 s[2:3], s[0:1], 0x60
	s_load_b128 s[12:15], s[0:1], 0x10
	s_load_b64 s[16:17], s[0:1], 0x50
	s_wait_kmcnt 0x0
	s_bitcmp1_b32 s3, 0
	s_cselect_b32 s3, -1, 0
	s_delay_alu instid0(SALU_CYCLE_1)
	s_and_b32 vcc_lo, exec_lo, s3
	s_xor_b32 s3, s3, -1
	s_cbranch_vccnz .LBB41_2
; %bb.1:
	s_load_b32 s12, s[12:13], 0x0
.LBB41_2:
	s_and_not1_b32 vcc_lo, exec_lo, s3
	s_cbranch_vccnz .LBB41_4
; %bb.3:
	s_load_b32 s16, s[16:17], 0x0
.LBB41_4:
	s_wait_kmcnt 0x0
	s_cmp_neq_f32 s12, 0
	s_mov_b32 s6, 0
	s_cselect_b32 s3, -1, 0
	s_cmp_neq_f32 s16, 1.0
	s_cselect_b32 s4, -1, 0
	s_delay_alu instid0(SALU_CYCLE_1) | instskip(NEXT) | instid1(SALU_CYCLE_1)
	s_or_b32 s3, s3, s4
	s_and_not1_b32 vcc_lo, exec_lo, s3
	s_cbranch_vccnz .LBB41_10
; %bb.5:
	s_load_b64 s[4:5], s[0:1], 0x20
	v_lshrrev_b32_e32 v1, 3, v0
	v_mov_b32_e32 v6, 0
	s_delay_alu instid0(VALU_DEP_2)
	v_lshl_or_b32 v5, ttmp9, 4, v1
	s_wait_kmcnt 0x0
	s_cmp_lg_u64 s[4:5], 0
	s_cbranch_scc0 .LBB41_11
; %bb.6:
	s_mov_b32 s7, 0
                                        ; implicit-def: $vgpr3_vgpr4
                                        ; implicit-def: $vgpr1_vgpr2
	s_mov_b32 s3, exec_lo
	v_cmpx_gt_i64_e64 s[14:15], v[5:6]
	s_xor_b32 s8, exec_lo, s3
	s_cbranch_execz .LBB41_8
; %bb.7:
	v_lshlrev_b64_e32 v[1:2], 3, v[5:6]
	s_mov_b32 s3, 0
	s_mov_b32 s6, exec_lo
	s_delay_alu instid0(VALU_DEP_1) | instskip(NEXT) | instid1(VALU_DEP_1)
	v_add_co_u32 v1, vcc_lo, s4, v1
	v_add_co_ci_u32_e64 v2, null, s5, v2, vcc_lo
	global_load_b64 v[1:2], v[1:2], off
	s_wait_loadcnt 0x0
	v_sub_co_u32 v3, vcc_lo, v1, s2
	s_wait_alu 0xfffd
	v_subrev_co_ci_u32_e64 v4, null, 0, v2, vcc_lo
	v_dual_mov_b32 v1, s2 :: v_dual_mov_b32 v2, s3
.LBB41_8:
	s_or_b32 exec_lo, exec_lo, s8
	s_delay_alu instid0(SALU_CYCLE_1)
	s_and_b32 vcc_lo, exec_lo, s7
	s_wait_alu 0xfffe
	s_cbranch_vccnz .LBB41_12
.LBB41_9:
	s_and_saveexec_b32 s2, s6
	s_cbranch_execnz .LBB41_15
.LBB41_10:
	s_nop 0
	s_sendmsg sendmsg(MSG_DEALLOC_VGPRS)
	s_endpgm
.LBB41_11:
                                        ; implicit-def: $vgpr3_vgpr4
                                        ; implicit-def: $vgpr1_vgpr2
	s_cbranch_execz .LBB41_9
.LBB41_12:
	s_load_b64 s[4:5], s[0:1], 0x0
	s_wait_kmcnt 0x0
	v_cmp_gt_i64_e32 vcc_lo, s[4:5], v[5:6]
	s_and_saveexec_b32 s4, vcc_lo
; %bb.13:
	s_mov_b32 s3, 0
	s_or_b32 s6, s6, exec_lo
; %bb.14:
	s_wait_alu 0xfffe
	s_or_b32 exec_lo, exec_lo, s4
	v_dual_mov_b32 v1, s2 :: v_dual_mov_b32 v2, s3
	v_dual_mov_b32 v3, v5 :: v_dual_mov_b32 v4, v6
	s_and_saveexec_b32 s2, s6
	s_cbranch_execz .LBB41_10
.LBB41_15:
	s_load_b256 s[4:11], s[0:1], 0x28
	s_delay_alu instid0(VALU_DEP_1) | instskip(SKIP_3) | instid1(VALU_DEP_2)
	v_lshlrev_b64_e32 v[5:6], 3, v[3:4]
	v_dual_mov_b32 v25, 0 :: v_dual_and_b32 v0, 7, v0
	s_load_b32 s3, s[0:1], 0x8
	s_wait_kmcnt 0x0
	v_add_co_u32 v7, vcc_lo, s4, v5
	s_wait_alu 0xfffd
	v_add_co_ci_u32_e64 v8, null, s5, v6, vcc_lo
	v_add_co_u32 v5, vcc_lo, s6, v5
	s_wait_alu 0xfffd
	v_add_co_ci_u32_e64 v6, null, s7, v6, vcc_lo
	v_add_co_u32 v9, vcc_lo, v7, 8
	global_load_b64 v[13:14], v[7:8], off
	s_wait_alu 0xfffd
	v_add_co_ci_u32_e64 v10, null, 0, v8, vcc_lo
	s_cmp_eq_u64 s[6:7], 0
	s_load_b64 s[6:7], s[0:1], 0x48
	s_cselect_b32 vcc_lo, -1, 0
	s_cmp_eq_u32 s3, 1
	s_wait_alu 0xfffe
	v_dual_cndmask_b32 v6, v6, v10 :: v_dual_cndmask_b32 v5, v5, v9
	global_load_b64 v[7:8], v[5:6], off
	s_wait_loadcnt 0x1
	v_sub_co_u32 v5, vcc_lo, v13, v1
	s_wait_alu 0xfffd
	v_sub_co_ci_u32_e64 v6, null, v14, v2, vcc_lo
	s_delay_alu instid0(VALU_DEP_2) | instskip(SKIP_1) | instid1(VALU_DEP_2)
	v_add_co_u32 v5, vcc_lo, v5, v0
	s_wait_alu 0xfffd
	v_add_co_ci_u32_e64 v6, null, 0, v6, vcc_lo
	s_delay_alu instid0(VALU_DEP_1) | instskip(SKIP_4) | instid1(VALU_DEP_3)
	v_lshlrev_b64_e32 v[9:10], 6, v[5:6]
	s_wait_loadcnt 0x0
	v_sub_co_u32 v7, vcc_lo, v7, v1
	s_wait_alu 0xfffd
	v_sub_co_ci_u32_e64 v8, null, v8, v2, vcc_lo
	v_add_co_u32 v9, vcc_lo, s10, v9
	s_delay_alu instid0(VALU_DEP_2)
	v_cmp_lt_i64_e64 s2, v[5:6], v[7:8]
	s_wait_alu 0xfffd
	v_add_co_ci_u32_e64 v10, null, s11, v10, vcc_lo
	s_cbranch_scc1 .LBB41_27
; %bb.16:
	v_dual_mov_b32 v26, 0 :: v_dual_mov_b32 v27, 0
	v_mov_b32_e32 v12, 0
	s_and_saveexec_b32 s5, s2
	s_cbranch_execz .LBB41_26
; %bb.17:
	v_or_b32_e32 v11, 8, v0
	v_not_b32_e32 v16, v13
	v_sub_co_u32 v17, s3, v1, v0
	v_not_b32_e32 v15, v14
	s_delay_alu instid0(VALU_DEP_4)
	v_sub_co_u32 v11, vcc_lo, v11, v1
	s_wait_alu 0xfffd
	v_sub_co_ci_u32_e64 v12, null, 0, v2, vcc_lo
	s_wait_alu 0xf1ff
	v_subrev_co_ci_u32_e64 v18, null, 0, v2, s3
	v_add_co_u32 v11, vcc_lo, v11, v13
	s_wait_alu 0xfffd
	v_add_co_ci_u32_e64 v12, null, v12, v14, vcc_lo
	s_mov_b32 s3, exec_lo
	v_cmp_gt_i64_e32 vcc_lo, v[11:12], v[7:8]
	s_wait_alu 0xfffd
	v_dual_cndmask_b32 v20, v8, v12 :: v_dual_cndmask_b32 v11, v7, v11
	v_add_co_u32 v12, vcc_lo, v17, v16
	s_wait_alu 0xfffd
	v_add_co_ci_u32_e64 v15, null, v18, v15, vcc_lo
	v_mov_b32_e32 v18, v10
	s_delay_alu instid0(VALU_DEP_3) | instskip(SKIP_3) | instid1(VALU_DEP_3)
	v_add_co_u32 v19, vcc_lo, v12, v11
	v_mov_b32_e32 v12, 0
	s_wait_alu 0xfffd
	v_add_co_ci_u32_e64 v20, null, v15, v20, vcc_lo
	v_dual_mov_b32 v16, v6 :: v_dual_and_b32 v11, 24, v19
	s_delay_alu instid0(VALU_DEP_3)
	v_mov_b32_e32 v25, v12
	v_mov_b32_e32 v15, v5
	v_dual_mov_b32 v27, v12 :: v_dual_mov_b32 v26, v12
	v_mov_b32_e32 v17, v9
	v_cmpx_ne_u64_e32 24, v[11:12]
	s_cbranch_execz .LBB41_21
; %bb.18:
	v_lshrrev_b32_e32 v11, 3, v19
	v_dual_mov_b32 v25, 0 :: v_dual_mov_b32 v18, v10
	v_dual_mov_b32 v17, v9 :: v_dual_mov_b32 v26, 0
	s_delay_alu instid0(VALU_DEP_3) | instskip(SKIP_3) | instid1(VALU_DEP_4)
	v_dual_mov_b32 v16, v6 :: v_dual_add_nc_u32 v21, 1, v11
	v_lshlrev_b64_e32 v[11:12], 3, v[5:6]
	v_mov_b32_e32 v15, v5
	v_mov_b32_e32 v27, 0
	v_and_b32_e32 v23, 3, v21
	s_delay_alu instid0(VALU_DEP_4) | instskip(NEXT) | instid1(VALU_DEP_2)
	v_add_co_u32 v21, vcc_lo, s8, v11
	v_sub_co_u32 v23, s4, 0, v23
	s_wait_alu 0xfffd
	v_add_co_ci_u32_e64 v22, null, s9, v12, vcc_lo
	s_wait_alu 0xf1ff
	v_sub_co_ci_u32_e64 v24, null, 0, 0, s4
	v_mov_b32_e32 v12, 0
	s_mov_b32 s4, 0
.LBB41_19:                              ; =>This Inner Loop Header: Depth=1
	global_load_b64 v[44:45], v[21:22], off
	s_clause 0x3
	global_load_b128 v[28:31], v[17:18], off offset:48
	global_load_b128 v[32:35], v[17:18], off offset:32
	;; [unrolled: 1-line block ×3, first 2 shown]
	global_load_b128 v[40:43], v[17:18], off
	s_wait_loadcnt 0x4
	v_sub_co_u32 v44, vcc_lo, v44, v1
	s_wait_alu 0xfffd
	v_sub_co_ci_u32_e64 v45, null, v45, v2, vcc_lo
	s_delay_alu instid0(VALU_DEP_1) | instskip(SKIP_1) | instid1(VALU_DEP_1)
	v_lshlrev_b64_e32 v[44:45], 4, v[44:45]
	s_wait_kmcnt 0x0
	v_add_co_u32 v44, vcc_lo, s6, v44
	s_wait_alu 0xfffd
	s_delay_alu instid0(VALU_DEP_2)
	v_add_co_ci_u32_e64 v45, null, s7, v45, vcc_lo
	v_add_co_u32 v17, vcc_lo, 0x200, v17
	s_wait_alu 0xfffd
	v_add_co_ci_u32_e64 v18, null, 0, v18, vcc_lo
	global_load_b128 v[44:47], v[44:45], off
	v_add_co_u32 v15, vcc_lo, v15, 8
	s_wait_alu 0xfffd
	v_add_co_ci_u32_e64 v16, null, 0, v16, vcc_lo
	v_add_co_u32 v21, vcc_lo, v21, 64
	s_wait_alu 0xfffd
	v_add_co_ci_u32_e64 v22, null, 0, v22, vcc_lo
	;; [unrolled: 3-line block ×3, first 2 shown]
	s_delay_alu instid0(VALU_DEP_1)
	v_cmp_eq_u64_e32 vcc_lo, 0, v[23:24]
	s_wait_alu 0xfffe
	s_or_b32 s4, vcc_lo, s4
	s_wait_loadcnt 0x0
	v_fmac_f32_e32 v27, v36, v44
	v_fmac_f32_e32 v12, v40, v44
	;; [unrolled: 1-line block ×3, first 2 shown]
	s_delay_alu instid0(VALU_DEP_3) | instskip(NEXT) | instid1(VALU_DEP_3)
	v_dual_fmac_f32 v26, v32, v44 :: v_dual_fmac_f32 v27, v37, v45
	v_fmac_f32_e32 v12, v41, v45
	s_delay_alu instid0(VALU_DEP_3) | instskip(NEXT) | instid1(VALU_DEP_3)
	v_fmac_f32_e32 v25, v29, v45
	v_dual_fmac_f32 v26, v33, v45 :: v_dual_fmac_f32 v27, v38, v46
	s_delay_alu instid0(VALU_DEP_3) | instskip(NEXT) | instid1(VALU_DEP_3)
	v_fmac_f32_e32 v12, v42, v46
	v_fmac_f32_e32 v25, v30, v46
	s_delay_alu instid0(VALU_DEP_3) | instskip(NEXT) | instid1(VALU_DEP_3)
	v_dual_fmac_f32 v26, v34, v46 :: v_dual_fmac_f32 v27, v39, v47
	v_fmac_f32_e32 v12, v43, v47
	s_delay_alu instid0(VALU_DEP_3) | instskip(NEXT) | instid1(VALU_DEP_3)
	v_fmac_f32_e32 v25, v31, v47
	v_fmac_f32_e32 v26, v35, v47
	s_wait_alu 0xfffe
	s_and_not1_b32 exec_lo, exec_lo, s4
	s_cbranch_execnz .LBB41_19
; %bb.20:
	s_or_b32 exec_lo, exec_lo, s4
.LBB41_21:
	s_wait_alu 0xfffe
	s_or_b32 exec_lo, exec_lo, s3
	s_delay_alu instid0(SALU_CYCLE_1)
	s_mov_b32 s10, exec_lo
	v_cmpx_lt_u64_e32 23, v[19:20]
	s_cbranch_execz .LBB41_25
; %bb.22:
	v_lshlrev_b64_e32 v[19:20], 3, v[15:16]
	s_mov_b32 s11, 0
	s_delay_alu instid0(VALU_DEP_1) | instskip(SKIP_1) | instid1(VALU_DEP_2)
	v_add_co_u32 v11, vcc_lo, s8, v19
	s_wait_alu 0xfffd
	v_add_co_ci_u32_e64 v20, null, s9, v20, vcc_lo
	s_delay_alu instid0(VALU_DEP_2) | instskip(SKIP_1) | instid1(VALU_DEP_2)
	v_add_co_u32 v19, vcc_lo, 0x80, v11
	s_wait_alu 0xfffd
	v_add_co_ci_u32_e64 v20, null, 0, v20, vcc_lo
.LBB41_23:                              ; =>This Inner Loop Header: Depth=1
	s_clause 0x2
	global_load_b64 v[88:89], v[19:20], off offset:-128
	global_load_b64 v[90:91], v[19:20], off offset:-64
	global_load_b64 v[92:93], v[19:20], off
	s_clause 0xb
	global_load_b128 v[21:24], v[17:18], off offset:48
	global_load_b128 v[28:31], v[17:18], off offset:32
	;; [unrolled: 1-line block ×3, first 2 shown]
	global_load_b128 v[36:39], v[17:18], off
	global_load_b128 v[40:43], v[17:18], off offset:560
	global_load_b128 v[44:47], v[17:18], off offset:544
	;; [unrolled: 1-line block ×8, first 2 shown]
	global_load_b64 v[96:97], v[19:20], off offset:64
	s_clause 0x3
	global_load_b128 v[72:75], v[17:18], off offset:1584
	global_load_b128 v[76:79], v[17:18], off offset:1568
	;; [unrolled: 1-line block ×4, first 2 shown]
	v_add_co_u32 v19, s4, 0x100, v19
	s_wait_alu 0xf1ff
	v_add_co_ci_u32_e64 v20, null, 0, v20, s4
	s_wait_loadcnt 0x13
	v_sub_co_u32 v88, vcc_lo, v88, v1
	s_wait_alu 0xfffd
	v_sub_co_ci_u32_e64 v89, null, v89, v2, vcc_lo
	s_wait_loadcnt 0x12
	v_sub_co_u32 v90, vcc_lo, v90, v1
	s_wait_alu 0xfffd
	v_sub_co_ci_u32_e64 v91, null, v91, v2, vcc_lo
	v_lshlrev_b64_e32 v[88:89], 4, v[88:89]
	s_wait_loadcnt 0x11
	v_sub_co_u32 v98, vcc_lo, v92, v1
	s_wait_alu 0xfffd
	v_sub_co_ci_u32_e64 v99, null, v93, v2, vcc_lo
	v_lshlrev_b64_e32 v[91:92], 4, v[90:91]
	s_wait_kmcnt 0x0
	v_add_co_u32 v88, vcc_lo, s6, v88
	s_wait_alu 0xfffd
	v_add_co_ci_u32_e64 v89, null, s7, v89, vcc_lo
	s_delay_alu instid0(VALU_DEP_3)
	v_add_co_u32 v93, vcc_lo, s6, v91
	global_load_b128 v[88:91], v[88:89], off
	s_wait_alu 0xfffd
	v_add_co_ci_u32_e64 v94, null, s7, v92, vcc_lo
	s_wait_loadcnt 0x5
	v_sub_co_u32 v96, vcc_lo, v96, v1
	s_wait_alu 0xfffd
	v_sub_co_ci_u32_e64 v97, null, v97, v2, vcc_lo
	global_load_b128 v[92:95], v[93:94], off
	v_lshlrev_b64_e32 v[96:97], 4, v[96:97]
	s_delay_alu instid0(VALU_DEP_1) | instskip(SKIP_1) | instid1(VALU_DEP_2)
	v_add_co_u32 v96, vcc_lo, s6, v96
	s_wait_alu 0xfffd
	v_add_co_ci_u32_e64 v97, null, s7, v97, vcc_lo
	v_add_co_u32 v17, vcc_lo, 0x800, v17
	s_wait_alu 0xfffd
	v_add_co_ci_u32_e64 v18, null, 0, v18, vcc_lo
	s_wait_loadcnt 0x1
	v_fmac_f32_e32 v26, v28, v88
	v_fmac_f32_e32 v27, v32, v88
	;; [unrolled: 1-line block ×3, first 2 shown]
	s_delay_alu instid0(VALU_DEP_3) | instskip(NEXT) | instid1(VALU_DEP_3)
	v_fmac_f32_e32 v26, v29, v89
	v_dual_fmac_f32 v12, v36, v88 :: v_dual_fmac_f32 v27, v33, v89
	s_delay_alu instid0(VALU_DEP_3) | instskip(NEXT) | instid1(VALU_DEP_2)
	v_fmac_f32_e32 v25, v22, v89
	v_dual_fmac_f32 v12, v37, v89 :: v_dual_fmac_f32 v27, v34, v90
	v_lshlrev_b64_e32 v[36:37], 4, v[98:99]
	global_load_b128 v[96:99], v[96:97], off
	v_fmac_f32_e32 v26, v30, v90
	v_dual_fmac_f32 v12, v38, v90 :: v_dual_fmac_f32 v27, v35, v91
	v_fmac_f32_e32 v25, v23, v90
	v_add_co_u32 v36, s3, s6, v36
	s_wait_alu 0xf1ff
	v_add_co_ci_u32_e64 v37, null, s7, v37, s3
	v_fmac_f32_e32 v12, v39, v91
	v_add_co_u32 v15, s3, v15, 32
	global_load_b128 v[36:39], v[36:37], off
	s_wait_loadcnt 0x2
	v_dual_fmac_f32 v26, v31, v91 :: v_dual_fmac_f32 v27, v48, v92
	v_fmac_f32_e32 v12, v52, v92
	s_wait_alu 0xf1ff
	v_add_co_ci_u32_e64 v16, null, 0, v16, s3
	s_delay_alu instid0(VALU_DEP_3) | instskip(NEXT) | instid1(VALU_DEP_3)
	v_fmac_f32_e32 v27, v49, v93
	v_dual_fmac_f32 v25, v24, v91 :: v_dual_fmac_f32 v12, v53, v93
	s_delay_alu instid0(VALU_DEP_3) | instskip(NEXT) | instid1(VALU_DEP_3)
	v_cmp_ge_i64_e32 vcc_lo, v[15:16], v[7:8]
	v_fmac_f32_e32 v27, v50, v94
	s_delay_alu instid0(VALU_DEP_3)
	v_fmac_f32_e32 v25, v40, v92
	v_fmac_f32_e32 v26, v44, v92
	;; [unrolled: 1-line block ×3, first 2 shown]
	s_wait_alu 0xfffe
	s_or_b32 s11, vcc_lo, s11
	v_fmac_f32_e32 v27, v51, v95
	v_fmac_f32_e32 v25, v41, v93
	;; [unrolled: 1-line block ×3, first 2 shown]
	s_delay_alu instid0(VALU_DEP_2) | instskip(NEXT) | instid1(VALU_DEP_1)
	v_dual_fmac_f32 v12, v55, v95 :: v_dual_fmac_f32 v25, v42, v94
	v_dual_fmac_f32 v26, v46, v94 :: v_dual_fmac_f32 v25, v43, v95
	s_wait_loadcnt 0x0
	s_delay_alu instid0(VALU_DEP_1) | instskip(NEXT) | instid1(VALU_DEP_3)
	v_dual_fmac_f32 v26, v47, v95 :: v_dual_fmac_f32 v27, v64, v36
	v_fmac_f32_e32 v12, v68, v36
	s_delay_alu instid0(VALU_DEP_3) | instskip(NEXT) | instid1(VALU_DEP_3)
	v_fmac_f32_e32 v25, v56, v36
	v_dual_fmac_f32 v26, v60, v36 :: v_dual_fmac_f32 v27, v65, v37
	s_delay_alu instid0(VALU_DEP_3) | instskip(NEXT) | instid1(VALU_DEP_3)
	v_fmac_f32_e32 v12, v69, v37
	v_fmac_f32_e32 v25, v57, v37
	s_delay_alu instid0(VALU_DEP_3) | instskip(NEXT) | instid1(VALU_DEP_3)
	v_dual_fmac_f32 v26, v61, v37 :: v_dual_fmac_f32 v27, v66, v38
	v_fmac_f32_e32 v12, v70, v38
	s_delay_alu instid0(VALU_DEP_3) | instskip(NEXT) | instid1(VALU_DEP_3)
	v_fmac_f32_e32 v25, v58, v38
	v_dual_fmac_f32 v26, v62, v38 :: v_dual_fmac_f32 v27, v67, v39
	s_delay_alu instid0(VALU_DEP_3) | instskip(NEXT) | instid1(VALU_DEP_3)
	v_fmac_f32_e32 v12, v71, v39
	v_fmac_f32_e32 v25, v59, v39
	s_delay_alu instid0(VALU_DEP_3) | instskip(NEXT) | instid1(VALU_DEP_3)
	;; [unrolled: 9-line block ×3, first 2 shown]
	v_dual_fmac_f32 v26, v77, v97 :: v_dual_fmac_f32 v27, v82, v98
	v_fmac_f32_e32 v12, v86, v98
	s_delay_alu instid0(VALU_DEP_3) | instskip(NEXT) | instid1(VALU_DEP_3)
	v_fmac_f32_e32 v25, v74, v98
	v_dual_fmac_f32 v26, v78, v98 :: v_dual_fmac_f32 v27, v83, v99
	s_delay_alu instid0(VALU_DEP_3) | instskip(NEXT) | instid1(VALU_DEP_3)
	v_fmac_f32_e32 v12, v87, v99
	v_fmac_f32_e32 v25, v75, v99
	s_delay_alu instid0(VALU_DEP_3)
	v_fmac_f32_e32 v26, v79, v99
	s_wait_alu 0xfffe
	s_and_not1_b32 exec_lo, exec_lo, s11
	s_cbranch_execnz .LBB41_23
; %bb.24:
	s_or_b32 exec_lo, exec_lo, s11
.LBB41_25:
	s_wait_alu 0xfffe
	s_or_b32 exec_lo, exec_lo, s10
.LBB41_26:
	s_wait_alu 0xfffe
	s_or_b32 exec_lo, exec_lo, s5
	s_cbranch_execz .LBB41_28
	s_branch .LBB41_39
.LBB41_27:
                                        ; implicit-def: $vgpr25
                                        ; implicit-def: $vgpr26
                                        ; implicit-def: $vgpr27
                                        ; implicit-def: $vgpr12
.LBB41_28:
	v_dual_mov_b32 v25, 0 :: v_dual_mov_b32 v26, 0
	v_dual_mov_b32 v27, 0 :: v_dual_mov_b32 v12, 0
	s_and_saveexec_b32 s3, s2
	s_cbranch_execz .LBB41_38
; %bb.29:
	v_or_b32_e32 v11, 8, v0
	v_sub_co_u32 v15, s2, v1, v0
	s_wait_alu 0xf1ff
	v_subrev_co_ci_u32_e64 v16, null, 0, v2, s2
	s_delay_alu instid0(VALU_DEP_3)
	v_sub_co_u32 v11, vcc_lo, v11, v1
	s_wait_alu 0xfffd
	v_sub_co_ci_u32_e64 v12, null, 0, v2, vcc_lo
	s_mov_b32 s2, exec_lo
	v_add_co_u32 v11, vcc_lo, v11, v13
	s_wait_alu 0xfffd
	v_add_co_ci_u32_e64 v12, null, v12, v14, vcc_lo
	v_not_b32_e32 v13, v13
	v_not_b32_e32 v14, v14
	s_delay_alu instid0(VALU_DEP_3)
	v_cmp_gt_i64_e32 vcc_lo, v[11:12], v[7:8]
	s_wait_alu 0xfffd
	v_cndmask_b32_e32 v17, v8, v12, vcc_lo
	v_cndmask_b32_e32 v11, v7, v11, vcc_lo
	v_add_co_u32 v12, vcc_lo, v15, v13
	s_wait_alu 0xfffd
	v_add_co_ci_u32_e64 v14, null, v16, v14, vcc_lo
	s_delay_alu instid0(VALU_DEP_2) | instskip(SKIP_2) | instid1(VALU_DEP_3)
	v_add_co_u32 v13, vcc_lo, v12, v11
	v_mov_b32_e32 v12, 0
	s_wait_alu 0xfffd
	v_add_co_ci_u32_e64 v14, null, v14, v17, vcc_lo
	s_delay_alu instid0(VALU_DEP_3) | instskip(NEXT) | instid1(VALU_DEP_3)
	v_and_b32_e32 v11, 24, v13
	v_dual_mov_b32 v27, v12 :: v_dual_mov_b32 v26, v12
	v_mov_b32_e32 v25, v12
	s_delay_alu instid0(VALU_DEP_3)
	v_cmpx_ne_u64_e32 24, v[11:12]
	s_cbranch_execz .LBB41_33
; %bb.30:
	v_lshrrev_b32_e32 v11, 3, v13
	v_mov_b32_e32 v25, 0
	v_dual_mov_b32 v27, 0 :: v_dual_mov_b32 v26, 0
	s_delay_alu instid0(VALU_DEP_3) | instskip(SKIP_1) | instid1(VALU_DEP_2)
	v_add_nc_u32_e32 v15, 1, v11
	v_lshlrev_b64_e32 v[11:12], 3, v[5:6]
	v_and_b32_e32 v17, 3, v15
	s_delay_alu instid0(VALU_DEP_2) | instskip(SKIP_1) | instid1(VALU_DEP_3)
	v_add_co_u32 v15, vcc_lo, s8, v11
	s_wait_alu 0xfffd
	v_add_co_ci_u32_e64 v16, null, s9, v12, vcc_lo
	s_delay_alu instid0(VALU_DEP_3)
	v_sub_co_u32 v17, s4, 0, v17
	s_wait_alu 0xf1ff
	v_sub_co_ci_u32_e64 v18, null, 0, 0, s4
	v_mov_b32_e32 v12, 0
	s_mov_b32 s4, 0
.LBB41_31:                              ; =>This Inner Loop Header: Depth=1
	global_load_b64 v[23:24], v[15:16], off
	s_clause 0x1
	global_load_b128 v[19:22], v[9:10], off offset:16
	global_load_b128 v[28:31], v[9:10], off
	s_wait_loadcnt 0x2
	v_sub_co_u32 v23, vcc_lo, v23, v1
	s_wait_alu 0xfffd
	v_sub_co_ci_u32_e64 v24, null, v24, v2, vcc_lo
	s_delay_alu instid0(VALU_DEP_1) | instskip(SKIP_1) | instid1(VALU_DEP_1)
	v_lshlrev_b64_e32 v[23:24], 4, v[23:24]
	s_wait_kmcnt 0x0
	v_add_co_u32 v23, vcc_lo, s6, v23
	s_wait_alu 0xfffd
	s_delay_alu instid0(VALU_DEP_2)
	v_add_co_ci_u32_e64 v24, null, s7, v24, vcc_lo
	global_load_b128 v[32:35], v[23:24], off
	s_clause 0x1
	global_load_b128 v[36:39], v[9:10], off offset:32
	global_load_b128 v[40:43], v[9:10], off offset:48
	v_add_co_u32 v9, vcc_lo, 0x200, v9
	s_wait_alu 0xfffd
	v_add_co_ci_u32_e64 v10, null, 0, v10, vcc_lo
	v_add_co_u32 v5, vcc_lo, v5, 8
	s_wait_alu 0xfffd
	v_add_co_ci_u32_e64 v6, null, 0, v6, vcc_lo
	;; [unrolled: 3-line block ×4, first 2 shown]
	s_delay_alu instid0(VALU_DEP_1) | instskip(SKIP_4) | instid1(VALU_DEP_1)
	v_cmp_eq_u64_e32 vcc_lo, 0, v[17:18]
	s_wait_alu 0xfffe
	s_or_b32 s4, vcc_lo, s4
	s_wait_loadcnt 0x2
	v_fmac_f32_e32 v25, v31, v32
	v_dual_fmac_f32 v12, v28, v32 :: v_dual_fmac_f32 v25, v22, v33
	s_delay_alu instid0(VALU_DEP_1) | instskip(SKIP_1) | instid1(VALU_DEP_2)
	v_dual_fmac_f32 v27, v29, v32 :: v_dual_fmac_f32 v12, v19, v33
	s_wait_loadcnt 0x1
	v_dual_fmac_f32 v26, v30, v32 :: v_dual_fmac_f32 v25, v39, v34
	s_delay_alu instid0(VALU_DEP_2) | instskip(SKIP_1) | instid1(VALU_DEP_2)
	v_fmac_f32_e32 v27, v20, v33
	s_wait_loadcnt 0x0
	v_dual_fmac_f32 v26, v21, v33 :: v_dual_fmac_f32 v25, v43, v35
	s_delay_alu instid0(VALU_DEP_2) | instskip(SKIP_1) | instid1(VALU_DEP_2)
	v_fmac_f32_e32 v27, v37, v34
	v_fmac_f32_e32 v12, v36, v34
	v_dual_fmac_f32 v26, v38, v34 :: v_dual_fmac_f32 v27, v41, v35
	s_delay_alu instid0(VALU_DEP_2) | instskip(NEXT) | instid1(VALU_DEP_2)
	v_fmac_f32_e32 v12, v40, v35
	v_fmac_f32_e32 v26, v42, v35
	s_wait_alu 0xfffe
	s_and_not1_b32 exec_lo, exec_lo, s4
	s_cbranch_execnz .LBB41_31
; %bb.32:
	s_or_b32 exec_lo, exec_lo, s4
.LBB41_33:
	s_wait_alu 0xfffe
	s_or_b32 exec_lo, exec_lo, s2
	s_delay_alu instid0(SALU_CYCLE_1)
	s_mov_b32 s4, exec_lo
	v_cmpx_lt_u64_e32 23, v[13:14]
	s_cbranch_execz .LBB41_37
; %bb.34:
	v_lshlrev_b64_e32 v[13:14], 3, v[5:6]
	s_mov_b32 s5, 0
	s_delay_alu instid0(VALU_DEP_1) | instskip(SKIP_1) | instid1(VALU_DEP_2)
	v_add_co_u32 v11, vcc_lo, s8, v13
	s_wait_alu 0xfffd
	v_add_co_ci_u32_e64 v14, null, s9, v14, vcc_lo
	s_delay_alu instid0(VALU_DEP_2) | instskip(SKIP_1) | instid1(VALU_DEP_2)
	v_add_co_u32 v13, vcc_lo, 0x80, v11
	s_wait_alu 0xfffd
	v_add_co_ci_u32_e64 v14, null, 0, v14, vcc_lo
.LBB41_35:                              ; =>This Inner Loop Header: Depth=1
	s_clause 0x3
	global_load_b64 v[23:24], v[13:14], off offset:-128
	global_load_b64 v[76:77], v[13:14], off offset:-64
	global_load_b64 v[79:80], v[13:14], off
	global_load_b64 v[87:88], v[13:14], off offset:64
	s_clause 0xd
	global_load_b128 v[15:18], v[9:10], off offset:48
	global_load_b128 v[19:22], v[9:10], off offset:32
	;; [unrolled: 1-line block ×3, first 2 shown]
	global_load_b128 v[32:35], v[9:10], off
	global_load_b128 v[36:39], v[9:10], off offset:560
	global_load_b128 v[40:43], v[9:10], off offset:544
	;; [unrolled: 1-line block ×10, first 2 shown]
	s_wait_loadcnt 0x11
	v_sub_co_u32 v23, vcc_lo, v23, v1
	s_wait_alu 0xfffd
	v_sub_co_ci_u32_e64 v24, null, v24, v2, vcc_lo
	s_wait_loadcnt 0x10
	v_sub_co_u32 v81, vcc_lo, v76, v1
	s_wait_alu 0xfffd
	v_sub_co_ci_u32_e64 v82, null, v77, v2, vcc_lo
	v_lshlrev_b64_e32 v[23:24], 4, v[23:24]
	s_wait_loadcnt 0xf
	v_sub_co_u32 v84, vcc_lo, v79, v1
	s_wait_alu 0xfffd
	v_sub_co_ci_u32_e64 v85, null, v80, v2, vcc_lo
	s_wait_kmcnt 0x0
	v_add_co_u32 v23, s2, s6, v23
	s_wait_alu 0xf1ff
	v_add_co_ci_u32_e64 v24, null, s7, v24, s2
	v_lshlrev_b64_e32 v[84:85], 4, v[84:85]
	global_load_b128 v[76:79], v[23:24], off
	v_lshlrev_b64_e32 v[23:24], 4, v[81:82]
	v_add_co_u32 v84, s2, s6, v84
	s_wait_alu 0xf1ff
	v_add_co_ci_u32_e64 v85, null, s7, v85, s2
	s_delay_alu instid0(VALU_DEP_3)
	v_add_co_u32 v23, vcc_lo, s6, v23
	s_wait_alu 0xfffd
	v_add_co_ci_u32_e64 v24, null, s7, v24, vcc_lo
	global_load_b128 v[80:83], v[23:24], off
	s_wait_loadcnt 0x10
	v_sub_co_u32 v23, vcc_lo, v87, v1
	global_load_b128 v[84:87], v[84:85], off
	s_wait_alu 0xfffd
	v_sub_co_ci_u32_e64 v24, null, v88, v2, vcc_lo
	s_delay_alu instid0(VALU_DEP_1) | instskip(NEXT) | instid1(VALU_DEP_1)
	v_lshlrev_b64_e32 v[23:24], 4, v[23:24]
	v_add_co_u32 v23, vcc_lo, s6, v23
	s_wait_alu 0xfffd
	s_delay_alu instid0(VALU_DEP_2)
	v_add_co_ci_u32_e64 v24, null, s7, v24, vcc_lo
	global_load_b128 v[88:91], v[23:24], off
	global_load_b128 v[92:95], v[9:10], off offset:1568
	s_wait_loadcnt 0x4
	v_fmac_f32_e32 v27, v33, v76
	v_fmac_f32_e32 v12, v32, v76
	;; [unrolled: 1-line block ×4, first 2 shown]
	global_load_b128 v[32:35], v[9:10], off offset:1584
	v_fmac_f32_e32 v27, v29, v77
	v_fmac_f32_e32 v12, v28, v77
	;; [unrolled: 1-line block ×4, first 2 shown]
	v_add_co_u32 v9, vcc_lo, 0x800, v9
	v_fmac_f32_e32 v27, v20, v78
	v_fmac_f32_e32 v12, v19, v78
	;; [unrolled: 1-line block ×4, first 2 shown]
	s_wait_alu 0xfffd
	v_add_co_ci_u32_e64 v10, null, 0, v10, vcc_lo
	v_fmac_f32_e32 v27, v16, v79
	v_fmac_f32_e32 v12, v15, v79
	;; [unrolled: 1-line block ×4, first 2 shown]
	v_add_co_u32 v5, vcc_lo, v5, 32
	s_wait_loadcnt 0x4
	v_fmac_f32_e32 v27, v49, v80
	v_fmac_f32_e32 v12, v48, v80
	;; [unrolled: 1-line block ×4, first 2 shown]
	s_wait_alu 0xfffd
	v_add_co_ci_u32_e64 v6, null, 0, v6, vcc_lo
	v_fmac_f32_e32 v27, v45, v81
	v_fmac_f32_e32 v12, v44, v81
	;; [unrolled: 1-line block ×4, first 2 shown]
	v_add_co_u32 v13, vcc_lo, 0x100, v13
	v_fmac_f32_e32 v27, v41, v82
	v_fmac_f32_e32 v12, v40, v82
	;; [unrolled: 1-line block ×4, first 2 shown]
	s_wait_alu 0xfffd
	v_add_co_ci_u32_e64 v14, null, 0, v14, vcc_lo
	v_fmac_f32_e32 v27, v37, v83
	v_fmac_f32_e32 v12, v36, v83
	;; [unrolled: 1-line block ×4, first 2 shown]
	v_cmp_ge_i64_e32 vcc_lo, v[5:6], v[7:8]
	s_wait_loadcnt 0x3
	v_fmac_f32_e32 v27, v65, v84
	v_fmac_f32_e32 v12, v64, v84
	;; [unrolled: 1-line block ×3, first 2 shown]
	s_delay_alu instid0(VALU_DEP_3) | instskip(NEXT) | instid1(VALU_DEP_3)
	v_dual_fmac_f32 v26, v66, v84 :: v_dual_fmac_f32 v27, v61, v85
	v_fmac_f32_e32 v12, v60, v85
	s_delay_alu instid0(VALU_DEP_3) | instskip(NEXT) | instid1(VALU_DEP_3)
	v_fmac_f32_e32 v25, v63, v85
	v_fmac_f32_e32 v26, v62, v85
	s_wait_alu 0xfffe
	s_or_b32 s5, vcc_lo, s5
	v_fmac_f32_e32 v27, v57, v86
	v_fmac_f32_e32 v12, v56, v86
	;; [unrolled: 1-line block ×3, first 2 shown]
	s_delay_alu instid0(VALU_DEP_3) | instskip(NEXT) | instid1(VALU_DEP_3)
	v_dual_fmac_f32 v26, v58, v86 :: v_dual_fmac_f32 v27, v53, v87
	v_fmac_f32_e32 v12, v52, v87
	s_delay_alu instid0(VALU_DEP_3) | instskip(SKIP_1) | instid1(VALU_DEP_3)
	v_fmac_f32_e32 v25, v55, v87
	s_wait_loadcnt 0x2
	v_dual_fmac_f32 v26, v54, v87 :: v_dual_fmac_f32 v27, v73, v88
	s_delay_alu instid0(VALU_DEP_3) | instskip(NEXT) | instid1(VALU_DEP_3)
	v_fmac_f32_e32 v12, v72, v88
	v_fmac_f32_e32 v25, v75, v88
	s_delay_alu instid0(VALU_DEP_3) | instskip(NEXT) | instid1(VALU_DEP_3)
	v_dual_fmac_f32 v26, v74, v88 :: v_dual_fmac_f32 v27, v69, v89
	v_fmac_f32_e32 v12, v68, v89
	s_delay_alu instid0(VALU_DEP_3) | instskip(SKIP_1) | instid1(VALU_DEP_3)
	v_fmac_f32_e32 v25, v71, v89
	s_wait_loadcnt 0x1
	v_dual_fmac_f32 v26, v70, v89 :: v_dual_fmac_f32 v27, v93, v90
	s_delay_alu instid0(VALU_DEP_3) | instskip(NEXT) | instid1(VALU_DEP_3)
	v_fmac_f32_e32 v12, v92, v90
	v_fmac_f32_e32 v25, v95, v90
	s_wait_loadcnt 0x0
	s_delay_alu instid0(VALU_DEP_1) | instskip(SKIP_2) | instid1(VALU_DEP_3)
	v_dual_fmac_f32 v26, v94, v90 :: v_dual_fmac_f32 v25, v35, v91
	v_fmac_f32_e32 v27, v33, v91
	v_fmac_f32_e32 v12, v32, v91
	;; [unrolled: 1-line block ×3, first 2 shown]
	s_wait_alu 0xfffe
	s_and_not1_b32 exec_lo, exec_lo, s5
	s_cbranch_execnz .LBB41_35
; %bb.36:
	s_or_b32 exec_lo, exec_lo, s5
.LBB41_37:
	s_wait_alu 0xfffe
	s_or_b32 exec_lo, exec_lo, s4
.LBB41_38:
	s_wait_alu 0xfffe
	s_or_b32 exec_lo, exec_lo, s3
.LBB41_39:
	v_mbcnt_lo_u32_b32 v1, -1, 0
	s_mov_b32 s2, -1
	s_delay_alu instid0(VALU_DEP_1) | instskip(SKIP_1) | instid1(VALU_DEP_2)
	v_xor_b32_e32 v2, 4, v1
	v_xor_b32_e32 v8, 2, v1
	v_cmp_gt_i32_e32 vcc_lo, 32, v2
	s_wait_alu 0xfffd
	v_cndmask_b32_e32 v2, v1, v2, vcc_lo
	s_delay_alu instid0(VALU_DEP_3) | instskip(NEXT) | instid1(VALU_DEP_2)
	v_cmp_gt_i32_e32 vcc_lo, 32, v8
	v_lshlrev_b32_e32 v2, 2, v2
	ds_bpermute_b32 v7, v2, v26
	s_wait_dscnt 0x0
	v_add_f32_e32 v7, v26, v7
	ds_bpermute_b32 v5, v2, v12
	ds_bpermute_b32 v6, v2, v27
	;; [unrolled: 1-line block ×3, first 2 shown]
	s_wait_alu 0xfffd
	v_cndmask_b32_e32 v8, v1, v8, vcc_lo
	s_wait_dscnt 0x2
	s_delay_alu instid0(VALU_DEP_1)
	v_dual_add_f32 v5, v12, v5 :: v_dual_lshlrev_b32 v8, 2, v8
	v_xor_b32_e32 v12, 1, v1
	s_wait_dscnt 0x0
	v_add_f32_e32 v9, v25, v2
	ds_bpermute_b32 v11, v8, v7
	ds_bpermute_b32 v2, v8, v5
	v_cmp_gt_i32_e32 vcc_lo, 32, v12
	s_wait_alu 0xfffd
	v_dual_add_f32 v6, v27, v6 :: v_dual_cndmask_b32 v1, v1, v12
	ds_bpermute_b32 v10, v8, v6
	ds_bpermute_b32 v8, v8, v9
	v_cmp_eq_u32_e32 vcc_lo, 7, v0
	s_wait_dscnt 0x2
	v_dual_add_f32 v1, v5, v2 :: v_dual_lshlrev_b32 v12, 2, v1
	v_add_f32_e32 v5, v7, v11
	ds_bpermute_b32 v7, v12, v1
	s_wait_dscnt 0x2
	v_add_f32_e32 v2, v6, v10
	s_wait_dscnt 0x1
	v_add_f32_e32 v6, v9, v8
	ds_bpermute_b32 v9, v12, v5
	ds_bpermute_b32 v8, v12, v2
	ds_bpermute_b32 v10, v12, v6
	s_and_b32 exec_lo, exec_lo, vcc_lo
	s_cbranch_execz .LBB41_10
; %bb.40:
	s_load_b64 s[0:1], s[0:1], 0x58
	s_wait_dscnt 0x1
	v_dual_add_f32 v0, v1, v7 :: v_dual_add_f32 v1, v2, v8
	s_wait_dscnt 0x0
	v_add_f32_e32 v6, v6, v10
	s_cmp_eq_f32 s16, 0
	s_delay_alu instid0(VALU_DEP_2) | instskip(SKIP_3) | instid1(VALU_DEP_3)
	v_dual_mul_f32 v0, s12, v0 :: v_dual_mul_f32 v1, s12, v1
	v_add_f32_e32 v2, v5, v9
	v_lshlrev_b64_e32 v[4:5], 4, v[3:4]
	v_mul_f32_e32 v3, s12, v6
	v_mul_f32_e32 v2, s12, v2
	s_cbranch_scc0 .LBB41_42
; %bb.41:
	s_wait_kmcnt 0x0
	s_delay_alu instid0(VALU_DEP_3)
	v_add_co_u32 v6, vcc_lo, s0, v4
	s_wait_alu 0xfffd
	v_add_co_ci_u32_e64 v7, null, s1, v5, vcc_lo
	s_mov_b32 s2, 0
	global_store_b128 v[6:7], v[0:3], off
.LBB41_42:
	s_wait_alu 0xfffe
	s_and_not1_b32 vcc_lo, exec_lo, s2
	s_wait_alu 0xfffe
	s_cbranch_vccnz .LBB41_10
; %bb.43:
	s_wait_kmcnt 0x0
	v_add_co_u32 v8, vcc_lo, s0, v4
	s_wait_alu 0xfffd
	v_add_co_ci_u32_e64 v9, null, s1, v5, vcc_lo
	global_load_b128 v[4:7], v[8:9], off
	s_wait_loadcnt 0x0
	v_dual_fmac_f32 v0, s16, v4 :: v_dual_fmac_f32 v1, s16, v5
	v_dual_fmac_f32 v2, s16, v6 :: v_dual_fmac_f32 v3, s16, v7
	global_store_b128 v[8:9], v[0:3], off
	s_nop 0
	s_sendmsg sendmsg(MSG_DEALLOC_VGPRS)
	s_endpgm
	.section	.rodata,"a",@progbits
	.p2align	6, 0x0
	.amdhsa_kernel _ZN9rocsparseL18bsrxmvn_4x4_kernelILj128ELj8EfllfffEEvT3_20rocsparse_direction_NS_24const_host_device_scalarIT1_EES1_PKS1_PKT2_SA_S7_PKT4_PKT5_S5_PT6_21rocsparse_index_base_b
		.amdhsa_group_segment_fixed_size 0
		.amdhsa_private_segment_fixed_size 0
		.amdhsa_kernarg_size 104
		.amdhsa_user_sgpr_count 2
		.amdhsa_user_sgpr_dispatch_ptr 0
		.amdhsa_user_sgpr_queue_ptr 0
		.amdhsa_user_sgpr_kernarg_segment_ptr 1
		.amdhsa_user_sgpr_dispatch_id 0
		.amdhsa_user_sgpr_private_segment_size 0
		.amdhsa_wavefront_size32 1
		.amdhsa_uses_dynamic_stack 0
		.amdhsa_enable_private_segment 0
		.amdhsa_system_sgpr_workgroup_id_x 1
		.amdhsa_system_sgpr_workgroup_id_y 0
		.amdhsa_system_sgpr_workgroup_id_z 0
		.amdhsa_system_sgpr_workgroup_info 0
		.amdhsa_system_vgpr_workitem_id 0
		.amdhsa_next_free_vgpr 100
		.amdhsa_next_free_sgpr 18
		.amdhsa_reserve_vcc 1
		.amdhsa_float_round_mode_32 0
		.amdhsa_float_round_mode_16_64 0
		.amdhsa_float_denorm_mode_32 3
		.amdhsa_float_denorm_mode_16_64 3
		.amdhsa_fp16_overflow 0
		.amdhsa_workgroup_processor_mode 1
		.amdhsa_memory_ordered 1
		.amdhsa_forward_progress 1
		.amdhsa_inst_pref_size 35
		.amdhsa_round_robin_scheduling 0
		.amdhsa_exception_fp_ieee_invalid_op 0
		.amdhsa_exception_fp_denorm_src 0
		.amdhsa_exception_fp_ieee_div_zero 0
		.amdhsa_exception_fp_ieee_overflow 0
		.amdhsa_exception_fp_ieee_underflow 0
		.amdhsa_exception_fp_ieee_inexact 0
		.amdhsa_exception_int_div_zero 0
	.end_amdhsa_kernel
	.section	.text._ZN9rocsparseL18bsrxmvn_4x4_kernelILj128ELj8EfllfffEEvT3_20rocsparse_direction_NS_24const_host_device_scalarIT1_EES1_PKS1_PKT2_SA_S7_PKT4_PKT5_S5_PT6_21rocsparse_index_base_b,"axG",@progbits,_ZN9rocsparseL18bsrxmvn_4x4_kernelILj128ELj8EfllfffEEvT3_20rocsparse_direction_NS_24const_host_device_scalarIT1_EES1_PKS1_PKT2_SA_S7_PKT4_PKT5_S5_PT6_21rocsparse_index_base_b,comdat
.Lfunc_end41:
	.size	_ZN9rocsparseL18bsrxmvn_4x4_kernelILj128ELj8EfllfffEEvT3_20rocsparse_direction_NS_24const_host_device_scalarIT1_EES1_PKS1_PKT2_SA_S7_PKT4_PKT5_S5_PT6_21rocsparse_index_base_b, .Lfunc_end41-_ZN9rocsparseL18bsrxmvn_4x4_kernelILj128ELj8EfllfffEEvT3_20rocsparse_direction_NS_24const_host_device_scalarIT1_EES1_PKS1_PKT2_SA_S7_PKT4_PKT5_S5_PT6_21rocsparse_index_base_b
                                        ; -- End function
	.set _ZN9rocsparseL18bsrxmvn_4x4_kernelILj128ELj8EfllfffEEvT3_20rocsparse_direction_NS_24const_host_device_scalarIT1_EES1_PKS1_PKT2_SA_S7_PKT4_PKT5_S5_PT6_21rocsparse_index_base_b.num_vgpr, 100
	.set _ZN9rocsparseL18bsrxmvn_4x4_kernelILj128ELj8EfllfffEEvT3_20rocsparse_direction_NS_24const_host_device_scalarIT1_EES1_PKS1_PKT2_SA_S7_PKT4_PKT5_S5_PT6_21rocsparse_index_base_b.num_agpr, 0
	.set _ZN9rocsparseL18bsrxmvn_4x4_kernelILj128ELj8EfllfffEEvT3_20rocsparse_direction_NS_24const_host_device_scalarIT1_EES1_PKS1_PKT2_SA_S7_PKT4_PKT5_S5_PT6_21rocsparse_index_base_b.numbered_sgpr, 18
	.set _ZN9rocsparseL18bsrxmvn_4x4_kernelILj128ELj8EfllfffEEvT3_20rocsparse_direction_NS_24const_host_device_scalarIT1_EES1_PKS1_PKT2_SA_S7_PKT4_PKT5_S5_PT6_21rocsparse_index_base_b.num_named_barrier, 0
	.set _ZN9rocsparseL18bsrxmvn_4x4_kernelILj128ELj8EfllfffEEvT3_20rocsparse_direction_NS_24const_host_device_scalarIT1_EES1_PKS1_PKT2_SA_S7_PKT4_PKT5_S5_PT6_21rocsparse_index_base_b.private_seg_size, 0
	.set _ZN9rocsparseL18bsrxmvn_4x4_kernelILj128ELj8EfllfffEEvT3_20rocsparse_direction_NS_24const_host_device_scalarIT1_EES1_PKS1_PKT2_SA_S7_PKT4_PKT5_S5_PT6_21rocsparse_index_base_b.uses_vcc, 1
	.set _ZN9rocsparseL18bsrxmvn_4x4_kernelILj128ELj8EfllfffEEvT3_20rocsparse_direction_NS_24const_host_device_scalarIT1_EES1_PKS1_PKT2_SA_S7_PKT4_PKT5_S5_PT6_21rocsparse_index_base_b.uses_flat_scratch, 0
	.set _ZN9rocsparseL18bsrxmvn_4x4_kernelILj128ELj8EfllfffEEvT3_20rocsparse_direction_NS_24const_host_device_scalarIT1_EES1_PKS1_PKT2_SA_S7_PKT4_PKT5_S5_PT6_21rocsparse_index_base_b.has_dyn_sized_stack, 0
	.set _ZN9rocsparseL18bsrxmvn_4x4_kernelILj128ELj8EfllfffEEvT3_20rocsparse_direction_NS_24const_host_device_scalarIT1_EES1_PKS1_PKT2_SA_S7_PKT4_PKT5_S5_PT6_21rocsparse_index_base_b.has_recursion, 0
	.set _ZN9rocsparseL18bsrxmvn_4x4_kernelILj128ELj8EfllfffEEvT3_20rocsparse_direction_NS_24const_host_device_scalarIT1_EES1_PKS1_PKT2_SA_S7_PKT4_PKT5_S5_PT6_21rocsparse_index_base_b.has_indirect_call, 0
	.section	.AMDGPU.csdata,"",@progbits
; Kernel info:
; codeLenInByte = 4440
; TotalNumSgprs: 20
; NumVgprs: 100
; ScratchSize: 0
; MemoryBound: 0
; FloatMode: 240
; IeeeMode: 1
; LDSByteSize: 0 bytes/workgroup (compile time only)
; SGPRBlocks: 0
; VGPRBlocks: 12
; NumSGPRsForWavesPerEU: 20
; NumVGPRsForWavesPerEU: 100
; Occupancy: 12
; WaveLimiterHint : 1
; COMPUTE_PGM_RSRC2:SCRATCH_EN: 0
; COMPUTE_PGM_RSRC2:USER_SGPR: 2
; COMPUTE_PGM_RSRC2:TRAP_HANDLER: 0
; COMPUTE_PGM_RSRC2:TGID_X_EN: 1
; COMPUTE_PGM_RSRC2:TGID_Y_EN: 0
; COMPUTE_PGM_RSRC2:TGID_Z_EN: 0
; COMPUTE_PGM_RSRC2:TIDIG_COMP_CNT: 0
	.section	.text._ZN9rocsparseL18bsrxmvn_4x4_kernelILj128ELj16EfllfffEEvT3_20rocsparse_direction_NS_24const_host_device_scalarIT1_EES1_PKS1_PKT2_SA_S7_PKT4_PKT5_S5_PT6_21rocsparse_index_base_b,"axG",@progbits,_ZN9rocsparseL18bsrxmvn_4x4_kernelILj128ELj16EfllfffEEvT3_20rocsparse_direction_NS_24const_host_device_scalarIT1_EES1_PKS1_PKT2_SA_S7_PKT4_PKT5_S5_PT6_21rocsparse_index_base_b,comdat
	.globl	_ZN9rocsparseL18bsrxmvn_4x4_kernelILj128ELj16EfllfffEEvT3_20rocsparse_direction_NS_24const_host_device_scalarIT1_EES1_PKS1_PKT2_SA_S7_PKT4_PKT5_S5_PT6_21rocsparse_index_base_b ; -- Begin function _ZN9rocsparseL18bsrxmvn_4x4_kernelILj128ELj16EfllfffEEvT3_20rocsparse_direction_NS_24const_host_device_scalarIT1_EES1_PKS1_PKT2_SA_S7_PKT4_PKT5_S5_PT6_21rocsparse_index_base_b
	.p2align	8
	.type	_ZN9rocsparseL18bsrxmvn_4x4_kernelILj128ELj16EfllfffEEvT3_20rocsparse_direction_NS_24const_host_device_scalarIT1_EES1_PKS1_PKT2_SA_S7_PKT4_PKT5_S5_PT6_21rocsparse_index_base_b,@function
_ZN9rocsparseL18bsrxmvn_4x4_kernelILj128ELj16EfllfffEEvT3_20rocsparse_direction_NS_24const_host_device_scalarIT1_EES1_PKS1_PKT2_SA_S7_PKT4_PKT5_S5_PT6_21rocsparse_index_base_b: ; @_ZN9rocsparseL18bsrxmvn_4x4_kernelILj128ELj16EfllfffEEvT3_20rocsparse_direction_NS_24const_host_device_scalarIT1_EES1_PKS1_PKT2_SA_S7_PKT4_PKT5_S5_PT6_21rocsparse_index_base_b
; %bb.0:
	s_clause 0x2
	s_load_b64 s[2:3], s[0:1], 0x60
	s_load_b128 s[12:15], s[0:1], 0x10
	s_load_b64 s[16:17], s[0:1], 0x50
	s_wait_kmcnt 0x0
	s_bitcmp1_b32 s3, 0
	s_cselect_b32 s3, -1, 0
	s_delay_alu instid0(SALU_CYCLE_1)
	s_and_b32 vcc_lo, exec_lo, s3
	s_xor_b32 s3, s3, -1
	s_cbranch_vccnz .LBB42_2
; %bb.1:
	s_load_b32 s12, s[12:13], 0x0
.LBB42_2:
	s_and_not1_b32 vcc_lo, exec_lo, s3
	s_cbranch_vccnz .LBB42_4
; %bb.3:
	s_load_b32 s16, s[16:17], 0x0
.LBB42_4:
	s_wait_kmcnt 0x0
	s_cmp_neq_f32 s12, 0
	s_mov_b32 s6, 0
	s_cselect_b32 s3, -1, 0
	s_cmp_neq_f32 s16, 1.0
	s_cselect_b32 s4, -1, 0
	s_delay_alu instid0(SALU_CYCLE_1) | instskip(NEXT) | instid1(SALU_CYCLE_1)
	s_or_b32 s3, s3, s4
	s_and_not1_b32 vcc_lo, exec_lo, s3
	s_cbranch_vccnz .LBB42_10
; %bb.5:
	s_load_b64 s[4:5], s[0:1], 0x20
	v_lshrrev_b32_e32 v1, 4, v0
	v_mov_b32_e32 v6, 0
	s_delay_alu instid0(VALU_DEP_2)
	v_lshl_or_b32 v5, ttmp9, 3, v1
	s_wait_kmcnt 0x0
	s_cmp_lg_u64 s[4:5], 0
	s_cbranch_scc0 .LBB42_11
; %bb.6:
	s_mov_b32 s7, 0
                                        ; implicit-def: $vgpr3_vgpr4
                                        ; implicit-def: $vgpr1_vgpr2
	s_mov_b32 s3, exec_lo
	v_cmpx_gt_i64_e64 s[14:15], v[5:6]
	s_xor_b32 s8, exec_lo, s3
	s_cbranch_execz .LBB42_8
; %bb.7:
	v_lshlrev_b64_e32 v[1:2], 3, v[5:6]
	s_mov_b32 s3, 0
	s_mov_b32 s6, exec_lo
	s_delay_alu instid0(VALU_DEP_1) | instskip(NEXT) | instid1(VALU_DEP_1)
	v_add_co_u32 v1, vcc_lo, s4, v1
	v_add_co_ci_u32_e64 v2, null, s5, v2, vcc_lo
	global_load_b64 v[1:2], v[1:2], off
	s_wait_loadcnt 0x0
	v_sub_co_u32 v3, vcc_lo, v1, s2
	s_wait_alu 0xfffd
	v_subrev_co_ci_u32_e64 v4, null, 0, v2, vcc_lo
	v_dual_mov_b32 v1, s2 :: v_dual_mov_b32 v2, s3
.LBB42_8:
	s_or_b32 exec_lo, exec_lo, s8
	s_delay_alu instid0(SALU_CYCLE_1)
	s_and_b32 vcc_lo, exec_lo, s7
	s_wait_alu 0xfffe
	s_cbranch_vccnz .LBB42_12
.LBB42_9:
	s_and_saveexec_b32 s2, s6
	s_cbranch_execnz .LBB42_15
.LBB42_10:
	s_nop 0
	s_sendmsg sendmsg(MSG_DEALLOC_VGPRS)
	s_endpgm
.LBB42_11:
                                        ; implicit-def: $vgpr3_vgpr4
                                        ; implicit-def: $vgpr1_vgpr2
	s_cbranch_execz .LBB42_9
.LBB42_12:
	s_load_b64 s[4:5], s[0:1], 0x0
	s_wait_kmcnt 0x0
	v_cmp_gt_i64_e32 vcc_lo, s[4:5], v[5:6]
	s_and_saveexec_b32 s4, vcc_lo
; %bb.13:
	s_mov_b32 s3, 0
	s_or_b32 s6, s6, exec_lo
; %bb.14:
	s_wait_alu 0xfffe
	s_or_b32 exec_lo, exec_lo, s4
	v_dual_mov_b32 v1, s2 :: v_dual_mov_b32 v2, s3
	v_dual_mov_b32 v3, v5 :: v_dual_mov_b32 v4, v6
	s_and_saveexec_b32 s2, s6
	s_cbranch_execz .LBB42_10
.LBB42_15:
	s_load_b256 s[4:11], s[0:1], 0x28
	s_delay_alu instid0(VALU_DEP_1) | instskip(SKIP_3) | instid1(VALU_DEP_2)
	v_lshlrev_b64_e32 v[5:6], 3, v[3:4]
	v_dual_mov_b32 v25, 0 :: v_dual_and_b32 v0, 15, v0
	s_load_b32 s3, s[0:1], 0x8
	s_wait_kmcnt 0x0
	v_add_co_u32 v7, vcc_lo, s4, v5
	s_wait_alu 0xfffd
	v_add_co_ci_u32_e64 v8, null, s5, v6, vcc_lo
	v_add_co_u32 v5, vcc_lo, s6, v5
	s_wait_alu 0xfffd
	v_add_co_ci_u32_e64 v6, null, s7, v6, vcc_lo
	v_add_co_u32 v9, vcc_lo, v7, 8
	global_load_b64 v[13:14], v[7:8], off
	s_wait_alu 0xfffd
	v_add_co_ci_u32_e64 v10, null, 0, v8, vcc_lo
	s_cmp_eq_u64 s[6:7], 0
	s_load_b64 s[6:7], s[0:1], 0x48
	s_cselect_b32 vcc_lo, -1, 0
	s_cmp_eq_u32 s3, 1
	s_wait_alu 0xfffe
	v_dual_cndmask_b32 v6, v6, v10 :: v_dual_cndmask_b32 v5, v5, v9
	global_load_b64 v[7:8], v[5:6], off
	s_wait_loadcnt 0x1
	v_sub_co_u32 v5, vcc_lo, v13, v1
	s_wait_alu 0xfffd
	v_sub_co_ci_u32_e64 v6, null, v14, v2, vcc_lo
	s_delay_alu instid0(VALU_DEP_2) | instskip(SKIP_1) | instid1(VALU_DEP_2)
	v_add_co_u32 v5, vcc_lo, v5, v0
	s_wait_alu 0xfffd
	v_add_co_ci_u32_e64 v6, null, 0, v6, vcc_lo
	s_delay_alu instid0(VALU_DEP_1) | instskip(SKIP_4) | instid1(VALU_DEP_3)
	v_lshlrev_b64_e32 v[9:10], 6, v[5:6]
	s_wait_loadcnt 0x0
	v_sub_co_u32 v7, vcc_lo, v7, v1
	s_wait_alu 0xfffd
	v_sub_co_ci_u32_e64 v8, null, v8, v2, vcc_lo
	v_add_co_u32 v9, vcc_lo, s10, v9
	s_delay_alu instid0(VALU_DEP_2)
	v_cmp_lt_i64_e64 s2, v[5:6], v[7:8]
	s_wait_alu 0xfffd
	v_add_co_ci_u32_e64 v10, null, s11, v10, vcc_lo
	s_cbranch_scc1 .LBB42_27
; %bb.16:
	v_dual_mov_b32 v26, 0 :: v_dual_mov_b32 v27, 0
	v_mov_b32_e32 v12, 0
	s_and_saveexec_b32 s5, s2
	s_cbranch_execz .LBB42_26
; %bb.17:
	v_or_b32_e32 v11, 16, v0
	v_not_b32_e32 v16, v13
	v_sub_co_u32 v17, s3, v1, v0
	v_not_b32_e32 v15, v14
	s_delay_alu instid0(VALU_DEP_4)
	v_sub_co_u32 v11, vcc_lo, v11, v1
	s_wait_alu 0xfffd
	v_sub_co_ci_u32_e64 v12, null, 0, v2, vcc_lo
	s_wait_alu 0xf1ff
	v_subrev_co_ci_u32_e64 v18, null, 0, v2, s3
	v_add_co_u32 v11, vcc_lo, v11, v13
	s_wait_alu 0xfffd
	v_add_co_ci_u32_e64 v12, null, v12, v14, vcc_lo
	s_mov_b32 s3, exec_lo
	v_cmp_gt_i64_e32 vcc_lo, v[11:12], v[7:8]
	s_wait_alu 0xfffd
	v_dual_cndmask_b32 v20, v8, v12 :: v_dual_cndmask_b32 v11, v7, v11
	v_add_co_u32 v12, vcc_lo, v17, v16
	s_wait_alu 0xfffd
	v_add_co_ci_u32_e64 v15, null, v18, v15, vcc_lo
	v_mov_b32_e32 v18, v10
	s_delay_alu instid0(VALU_DEP_3) | instskip(SKIP_3) | instid1(VALU_DEP_3)
	v_add_co_u32 v19, vcc_lo, v12, v11
	v_mov_b32_e32 v12, 0
	s_wait_alu 0xfffd
	v_add_co_ci_u32_e64 v20, null, v15, v20, vcc_lo
	v_dual_mov_b32 v16, v6 :: v_dual_and_b32 v11, 48, v19
	s_delay_alu instid0(VALU_DEP_3)
	v_mov_b32_e32 v25, v12
	v_mov_b32_e32 v15, v5
	v_dual_mov_b32 v27, v12 :: v_dual_mov_b32 v26, v12
	v_mov_b32_e32 v17, v9
	v_cmpx_ne_u64_e32 48, v[11:12]
	s_cbranch_execz .LBB42_21
; %bb.18:
	v_lshrrev_b32_e32 v11, 4, v19
	v_dual_mov_b32 v25, 0 :: v_dual_mov_b32 v18, v10
	v_dual_mov_b32 v17, v9 :: v_dual_mov_b32 v26, 0
	s_delay_alu instid0(VALU_DEP_3) | instskip(SKIP_3) | instid1(VALU_DEP_4)
	v_dual_mov_b32 v16, v6 :: v_dual_add_nc_u32 v21, 1, v11
	v_lshlrev_b64_e32 v[11:12], 3, v[5:6]
	v_mov_b32_e32 v15, v5
	v_mov_b32_e32 v27, 0
	v_and_b32_e32 v23, 3, v21
	s_delay_alu instid0(VALU_DEP_4) | instskip(NEXT) | instid1(VALU_DEP_2)
	v_add_co_u32 v21, vcc_lo, s8, v11
	v_sub_co_u32 v23, s4, 0, v23
	s_wait_alu 0xfffd
	v_add_co_ci_u32_e64 v22, null, s9, v12, vcc_lo
	s_wait_alu 0xf1ff
	v_sub_co_ci_u32_e64 v24, null, 0, 0, s4
	v_mov_b32_e32 v12, 0
	s_mov_b32 s4, 0
.LBB42_19:                              ; =>This Inner Loop Header: Depth=1
	global_load_b64 v[44:45], v[21:22], off
	s_clause 0x3
	global_load_b128 v[28:31], v[17:18], off offset:48
	global_load_b128 v[32:35], v[17:18], off offset:32
	;; [unrolled: 1-line block ×3, first 2 shown]
	global_load_b128 v[40:43], v[17:18], off
	s_wait_loadcnt 0x4
	v_sub_co_u32 v44, vcc_lo, v44, v1
	s_wait_alu 0xfffd
	v_sub_co_ci_u32_e64 v45, null, v45, v2, vcc_lo
	s_delay_alu instid0(VALU_DEP_1) | instskip(SKIP_1) | instid1(VALU_DEP_1)
	v_lshlrev_b64_e32 v[44:45], 4, v[44:45]
	s_wait_kmcnt 0x0
	v_add_co_u32 v44, vcc_lo, s6, v44
	s_wait_alu 0xfffd
	s_delay_alu instid0(VALU_DEP_2)
	v_add_co_ci_u32_e64 v45, null, s7, v45, vcc_lo
	v_add_co_u32 v17, vcc_lo, 0x400, v17
	s_wait_alu 0xfffd
	v_add_co_ci_u32_e64 v18, null, 0, v18, vcc_lo
	global_load_b128 v[44:47], v[44:45], off
	v_add_co_u32 v15, vcc_lo, v15, 16
	s_wait_alu 0xfffd
	v_add_co_ci_u32_e64 v16, null, 0, v16, vcc_lo
	v_add_co_u32 v21, vcc_lo, 0x80, v21
	s_wait_alu 0xfffd
	v_add_co_ci_u32_e64 v22, null, 0, v22, vcc_lo
	;; [unrolled: 3-line block ×3, first 2 shown]
	s_delay_alu instid0(VALU_DEP_1)
	v_cmp_eq_u64_e32 vcc_lo, 0, v[23:24]
	s_wait_alu 0xfffe
	s_or_b32 s4, vcc_lo, s4
	s_wait_loadcnt 0x0
	v_fmac_f32_e32 v27, v36, v44
	v_fmac_f32_e32 v12, v40, v44
	;; [unrolled: 1-line block ×3, first 2 shown]
	s_delay_alu instid0(VALU_DEP_3) | instskip(NEXT) | instid1(VALU_DEP_3)
	v_dual_fmac_f32 v26, v32, v44 :: v_dual_fmac_f32 v27, v37, v45
	v_fmac_f32_e32 v12, v41, v45
	s_delay_alu instid0(VALU_DEP_3) | instskip(NEXT) | instid1(VALU_DEP_3)
	v_fmac_f32_e32 v25, v29, v45
	v_dual_fmac_f32 v26, v33, v45 :: v_dual_fmac_f32 v27, v38, v46
	s_delay_alu instid0(VALU_DEP_3) | instskip(NEXT) | instid1(VALU_DEP_3)
	v_fmac_f32_e32 v12, v42, v46
	v_fmac_f32_e32 v25, v30, v46
	s_delay_alu instid0(VALU_DEP_3) | instskip(NEXT) | instid1(VALU_DEP_3)
	v_dual_fmac_f32 v26, v34, v46 :: v_dual_fmac_f32 v27, v39, v47
	v_fmac_f32_e32 v12, v43, v47
	s_delay_alu instid0(VALU_DEP_3) | instskip(NEXT) | instid1(VALU_DEP_3)
	v_fmac_f32_e32 v25, v31, v47
	v_fmac_f32_e32 v26, v35, v47
	s_wait_alu 0xfffe
	s_and_not1_b32 exec_lo, exec_lo, s4
	s_cbranch_execnz .LBB42_19
; %bb.20:
	s_or_b32 exec_lo, exec_lo, s4
.LBB42_21:
	s_wait_alu 0xfffe
	s_or_b32 exec_lo, exec_lo, s3
	s_delay_alu instid0(SALU_CYCLE_1)
	s_mov_b32 s10, exec_lo
	v_cmpx_lt_u64_e32 47, v[19:20]
	s_cbranch_execz .LBB42_25
; %bb.22:
	v_lshlrev_b64_e32 v[19:20], 3, v[15:16]
	s_mov_b32 s11, 0
	s_delay_alu instid0(VALU_DEP_1) | instskip(SKIP_1) | instid1(VALU_DEP_2)
	v_add_co_u32 v11, vcc_lo, s8, v19
	s_wait_alu 0xfffd
	v_add_co_ci_u32_e64 v20, null, s9, v20, vcc_lo
	s_delay_alu instid0(VALU_DEP_2) | instskip(SKIP_1) | instid1(VALU_DEP_2)
	v_add_co_u32 v19, vcc_lo, 0x100, v11
	s_wait_alu 0xfffd
	v_add_co_ci_u32_e64 v20, null, 0, v20, vcc_lo
.LBB42_23:                              ; =>This Inner Loop Header: Depth=1
	s_clause 0x2
	global_load_b64 v[88:89], v[19:20], off offset:-256
	global_load_b64 v[90:91], v[19:20], off offset:-128
	global_load_b64 v[92:93], v[19:20], off
	s_clause 0xb
	global_load_b128 v[21:24], v[17:18], off offset:48
	global_load_b128 v[28:31], v[17:18], off offset:32
	;; [unrolled: 1-line block ×3, first 2 shown]
	global_load_b128 v[36:39], v[17:18], off
	global_load_b128 v[40:43], v[17:18], off offset:1072
	global_load_b128 v[44:47], v[17:18], off offset:1056
	;; [unrolled: 1-line block ×8, first 2 shown]
	global_load_b64 v[96:97], v[19:20], off offset:128
	s_clause 0x3
	global_load_b128 v[72:75], v[17:18], off offset:3120
	global_load_b128 v[76:79], v[17:18], off offset:3104
	;; [unrolled: 1-line block ×4, first 2 shown]
	v_add_co_u32 v19, s4, 0x200, v19
	s_wait_alu 0xf1ff
	v_add_co_ci_u32_e64 v20, null, 0, v20, s4
	s_wait_loadcnt 0x13
	v_sub_co_u32 v88, vcc_lo, v88, v1
	s_wait_alu 0xfffd
	v_sub_co_ci_u32_e64 v89, null, v89, v2, vcc_lo
	s_wait_loadcnt 0x12
	v_sub_co_u32 v90, vcc_lo, v90, v1
	s_wait_alu 0xfffd
	v_sub_co_ci_u32_e64 v91, null, v91, v2, vcc_lo
	v_lshlrev_b64_e32 v[88:89], 4, v[88:89]
	s_wait_loadcnt 0x11
	v_sub_co_u32 v98, vcc_lo, v92, v1
	s_wait_alu 0xfffd
	v_sub_co_ci_u32_e64 v99, null, v93, v2, vcc_lo
	v_lshlrev_b64_e32 v[91:92], 4, v[90:91]
	s_wait_kmcnt 0x0
	v_add_co_u32 v88, vcc_lo, s6, v88
	s_wait_alu 0xfffd
	v_add_co_ci_u32_e64 v89, null, s7, v89, vcc_lo
	s_delay_alu instid0(VALU_DEP_3)
	v_add_co_u32 v93, vcc_lo, s6, v91
	global_load_b128 v[88:91], v[88:89], off
	s_wait_alu 0xfffd
	v_add_co_ci_u32_e64 v94, null, s7, v92, vcc_lo
	s_wait_loadcnt 0x5
	v_sub_co_u32 v96, vcc_lo, v96, v1
	s_wait_alu 0xfffd
	v_sub_co_ci_u32_e64 v97, null, v97, v2, vcc_lo
	global_load_b128 v[92:95], v[93:94], off
	v_lshlrev_b64_e32 v[96:97], 4, v[96:97]
	s_delay_alu instid0(VALU_DEP_1) | instskip(SKIP_1) | instid1(VALU_DEP_2)
	v_add_co_u32 v96, vcc_lo, s6, v96
	s_wait_alu 0xfffd
	v_add_co_ci_u32_e64 v97, null, s7, v97, vcc_lo
	v_add_co_u32 v17, vcc_lo, 0x1000, v17
	s_wait_alu 0xfffd
	v_add_co_ci_u32_e64 v18, null, 0, v18, vcc_lo
	s_wait_loadcnt 0x1
	v_fmac_f32_e32 v26, v28, v88
	v_fmac_f32_e32 v27, v32, v88
	;; [unrolled: 1-line block ×3, first 2 shown]
	s_delay_alu instid0(VALU_DEP_3) | instskip(NEXT) | instid1(VALU_DEP_3)
	v_fmac_f32_e32 v26, v29, v89
	v_dual_fmac_f32 v12, v36, v88 :: v_dual_fmac_f32 v27, v33, v89
	s_delay_alu instid0(VALU_DEP_3) | instskip(NEXT) | instid1(VALU_DEP_2)
	v_fmac_f32_e32 v25, v22, v89
	v_dual_fmac_f32 v12, v37, v89 :: v_dual_fmac_f32 v27, v34, v90
	v_lshlrev_b64_e32 v[36:37], 4, v[98:99]
	global_load_b128 v[96:99], v[96:97], off
	v_fmac_f32_e32 v26, v30, v90
	v_dual_fmac_f32 v12, v38, v90 :: v_dual_fmac_f32 v27, v35, v91
	v_fmac_f32_e32 v25, v23, v90
	v_add_co_u32 v36, s3, s6, v36
	s_wait_alu 0xf1ff
	v_add_co_ci_u32_e64 v37, null, s7, v37, s3
	v_fmac_f32_e32 v12, v39, v91
	v_add_co_u32 v15, s3, v15, 64
	global_load_b128 v[36:39], v[36:37], off
	s_wait_loadcnt 0x2
	v_dual_fmac_f32 v26, v31, v91 :: v_dual_fmac_f32 v27, v48, v92
	v_fmac_f32_e32 v12, v52, v92
	s_wait_alu 0xf1ff
	v_add_co_ci_u32_e64 v16, null, 0, v16, s3
	s_delay_alu instid0(VALU_DEP_3) | instskip(NEXT) | instid1(VALU_DEP_3)
	v_fmac_f32_e32 v27, v49, v93
	v_dual_fmac_f32 v25, v24, v91 :: v_dual_fmac_f32 v12, v53, v93
	s_delay_alu instid0(VALU_DEP_3) | instskip(NEXT) | instid1(VALU_DEP_3)
	v_cmp_ge_i64_e32 vcc_lo, v[15:16], v[7:8]
	v_fmac_f32_e32 v27, v50, v94
	s_delay_alu instid0(VALU_DEP_3)
	v_fmac_f32_e32 v25, v40, v92
	v_fmac_f32_e32 v26, v44, v92
	;; [unrolled: 1-line block ×3, first 2 shown]
	s_wait_alu 0xfffe
	s_or_b32 s11, vcc_lo, s11
	v_fmac_f32_e32 v27, v51, v95
	v_fmac_f32_e32 v25, v41, v93
	;; [unrolled: 1-line block ×3, first 2 shown]
	s_delay_alu instid0(VALU_DEP_2) | instskip(NEXT) | instid1(VALU_DEP_1)
	v_dual_fmac_f32 v12, v55, v95 :: v_dual_fmac_f32 v25, v42, v94
	v_dual_fmac_f32 v26, v46, v94 :: v_dual_fmac_f32 v25, v43, v95
	s_wait_loadcnt 0x0
	s_delay_alu instid0(VALU_DEP_1) | instskip(NEXT) | instid1(VALU_DEP_3)
	v_dual_fmac_f32 v26, v47, v95 :: v_dual_fmac_f32 v27, v64, v36
	v_fmac_f32_e32 v12, v68, v36
	s_delay_alu instid0(VALU_DEP_3) | instskip(NEXT) | instid1(VALU_DEP_3)
	v_fmac_f32_e32 v25, v56, v36
	v_dual_fmac_f32 v26, v60, v36 :: v_dual_fmac_f32 v27, v65, v37
	s_delay_alu instid0(VALU_DEP_3) | instskip(NEXT) | instid1(VALU_DEP_3)
	v_fmac_f32_e32 v12, v69, v37
	v_fmac_f32_e32 v25, v57, v37
	s_delay_alu instid0(VALU_DEP_3) | instskip(NEXT) | instid1(VALU_DEP_3)
	v_dual_fmac_f32 v26, v61, v37 :: v_dual_fmac_f32 v27, v66, v38
	v_fmac_f32_e32 v12, v70, v38
	s_delay_alu instid0(VALU_DEP_3) | instskip(NEXT) | instid1(VALU_DEP_3)
	v_fmac_f32_e32 v25, v58, v38
	v_dual_fmac_f32 v26, v62, v38 :: v_dual_fmac_f32 v27, v67, v39
	s_delay_alu instid0(VALU_DEP_3) | instskip(NEXT) | instid1(VALU_DEP_3)
	v_fmac_f32_e32 v12, v71, v39
	v_fmac_f32_e32 v25, v59, v39
	s_delay_alu instid0(VALU_DEP_3) | instskip(NEXT) | instid1(VALU_DEP_3)
	;; [unrolled: 9-line block ×3, first 2 shown]
	v_dual_fmac_f32 v26, v77, v97 :: v_dual_fmac_f32 v27, v82, v98
	v_fmac_f32_e32 v12, v86, v98
	s_delay_alu instid0(VALU_DEP_3) | instskip(NEXT) | instid1(VALU_DEP_3)
	v_fmac_f32_e32 v25, v74, v98
	v_dual_fmac_f32 v26, v78, v98 :: v_dual_fmac_f32 v27, v83, v99
	s_delay_alu instid0(VALU_DEP_3) | instskip(NEXT) | instid1(VALU_DEP_3)
	v_fmac_f32_e32 v12, v87, v99
	v_fmac_f32_e32 v25, v75, v99
	s_delay_alu instid0(VALU_DEP_3)
	v_fmac_f32_e32 v26, v79, v99
	s_wait_alu 0xfffe
	s_and_not1_b32 exec_lo, exec_lo, s11
	s_cbranch_execnz .LBB42_23
; %bb.24:
	s_or_b32 exec_lo, exec_lo, s11
.LBB42_25:
	s_wait_alu 0xfffe
	s_or_b32 exec_lo, exec_lo, s10
.LBB42_26:
	s_wait_alu 0xfffe
	s_or_b32 exec_lo, exec_lo, s5
	s_cbranch_execz .LBB42_28
	s_branch .LBB42_39
.LBB42_27:
                                        ; implicit-def: $vgpr25
                                        ; implicit-def: $vgpr26
                                        ; implicit-def: $vgpr27
                                        ; implicit-def: $vgpr12
.LBB42_28:
	v_dual_mov_b32 v25, 0 :: v_dual_mov_b32 v26, 0
	v_dual_mov_b32 v27, 0 :: v_dual_mov_b32 v12, 0
	s_and_saveexec_b32 s3, s2
	s_cbranch_execz .LBB42_38
; %bb.29:
	v_or_b32_e32 v11, 16, v0
	v_sub_co_u32 v15, s2, v1, v0
	s_wait_alu 0xf1ff
	v_subrev_co_ci_u32_e64 v16, null, 0, v2, s2
	s_delay_alu instid0(VALU_DEP_3)
	v_sub_co_u32 v11, vcc_lo, v11, v1
	s_wait_alu 0xfffd
	v_sub_co_ci_u32_e64 v12, null, 0, v2, vcc_lo
	s_mov_b32 s2, exec_lo
	v_add_co_u32 v11, vcc_lo, v11, v13
	s_wait_alu 0xfffd
	v_add_co_ci_u32_e64 v12, null, v12, v14, vcc_lo
	v_not_b32_e32 v13, v13
	v_not_b32_e32 v14, v14
	s_delay_alu instid0(VALU_DEP_3)
	v_cmp_gt_i64_e32 vcc_lo, v[11:12], v[7:8]
	s_wait_alu 0xfffd
	v_cndmask_b32_e32 v17, v8, v12, vcc_lo
	v_cndmask_b32_e32 v11, v7, v11, vcc_lo
	v_add_co_u32 v12, vcc_lo, v15, v13
	s_wait_alu 0xfffd
	v_add_co_ci_u32_e64 v14, null, v16, v14, vcc_lo
	s_delay_alu instid0(VALU_DEP_2) | instskip(SKIP_2) | instid1(VALU_DEP_3)
	v_add_co_u32 v13, vcc_lo, v12, v11
	v_mov_b32_e32 v12, 0
	s_wait_alu 0xfffd
	v_add_co_ci_u32_e64 v14, null, v14, v17, vcc_lo
	s_delay_alu instid0(VALU_DEP_3) | instskip(NEXT) | instid1(VALU_DEP_3)
	v_and_b32_e32 v11, 48, v13
	v_dual_mov_b32 v27, v12 :: v_dual_mov_b32 v26, v12
	v_mov_b32_e32 v25, v12
	s_delay_alu instid0(VALU_DEP_3)
	v_cmpx_ne_u64_e32 48, v[11:12]
	s_cbranch_execz .LBB42_33
; %bb.30:
	v_lshrrev_b32_e32 v11, 4, v13
	v_mov_b32_e32 v25, 0
	v_dual_mov_b32 v27, 0 :: v_dual_mov_b32 v26, 0
	s_delay_alu instid0(VALU_DEP_3) | instskip(SKIP_1) | instid1(VALU_DEP_2)
	v_add_nc_u32_e32 v15, 1, v11
	v_lshlrev_b64_e32 v[11:12], 3, v[5:6]
	v_and_b32_e32 v17, 3, v15
	s_delay_alu instid0(VALU_DEP_2) | instskip(SKIP_1) | instid1(VALU_DEP_3)
	v_add_co_u32 v15, vcc_lo, s8, v11
	s_wait_alu 0xfffd
	v_add_co_ci_u32_e64 v16, null, s9, v12, vcc_lo
	s_delay_alu instid0(VALU_DEP_3)
	v_sub_co_u32 v17, s4, 0, v17
	s_wait_alu 0xf1ff
	v_sub_co_ci_u32_e64 v18, null, 0, 0, s4
	v_mov_b32_e32 v12, 0
	s_mov_b32 s4, 0
.LBB42_31:                              ; =>This Inner Loop Header: Depth=1
	global_load_b64 v[23:24], v[15:16], off
	s_clause 0x1
	global_load_b128 v[19:22], v[9:10], off offset:16
	global_load_b128 v[28:31], v[9:10], off
	s_wait_loadcnt 0x2
	v_sub_co_u32 v23, vcc_lo, v23, v1
	s_wait_alu 0xfffd
	v_sub_co_ci_u32_e64 v24, null, v24, v2, vcc_lo
	s_delay_alu instid0(VALU_DEP_1) | instskip(SKIP_1) | instid1(VALU_DEP_1)
	v_lshlrev_b64_e32 v[23:24], 4, v[23:24]
	s_wait_kmcnt 0x0
	v_add_co_u32 v23, vcc_lo, s6, v23
	s_wait_alu 0xfffd
	s_delay_alu instid0(VALU_DEP_2)
	v_add_co_ci_u32_e64 v24, null, s7, v24, vcc_lo
	global_load_b128 v[32:35], v[23:24], off
	s_clause 0x1
	global_load_b128 v[36:39], v[9:10], off offset:32
	global_load_b128 v[40:43], v[9:10], off offset:48
	v_add_co_u32 v9, vcc_lo, 0x400, v9
	s_wait_alu 0xfffd
	v_add_co_ci_u32_e64 v10, null, 0, v10, vcc_lo
	v_add_co_u32 v5, vcc_lo, v5, 16
	s_wait_alu 0xfffd
	v_add_co_ci_u32_e64 v6, null, 0, v6, vcc_lo
	;; [unrolled: 3-line block ×4, first 2 shown]
	s_delay_alu instid0(VALU_DEP_1) | instskip(SKIP_4) | instid1(VALU_DEP_1)
	v_cmp_eq_u64_e32 vcc_lo, 0, v[17:18]
	s_wait_alu 0xfffe
	s_or_b32 s4, vcc_lo, s4
	s_wait_loadcnt 0x2
	v_fmac_f32_e32 v25, v31, v32
	v_dual_fmac_f32 v12, v28, v32 :: v_dual_fmac_f32 v25, v22, v33
	s_delay_alu instid0(VALU_DEP_1) | instskip(SKIP_1) | instid1(VALU_DEP_2)
	v_dual_fmac_f32 v27, v29, v32 :: v_dual_fmac_f32 v12, v19, v33
	s_wait_loadcnt 0x1
	v_dual_fmac_f32 v26, v30, v32 :: v_dual_fmac_f32 v25, v39, v34
	s_delay_alu instid0(VALU_DEP_2) | instskip(SKIP_1) | instid1(VALU_DEP_2)
	v_fmac_f32_e32 v27, v20, v33
	s_wait_loadcnt 0x0
	v_dual_fmac_f32 v26, v21, v33 :: v_dual_fmac_f32 v25, v43, v35
	s_delay_alu instid0(VALU_DEP_2) | instskip(SKIP_1) | instid1(VALU_DEP_2)
	v_fmac_f32_e32 v27, v37, v34
	v_fmac_f32_e32 v12, v36, v34
	v_dual_fmac_f32 v26, v38, v34 :: v_dual_fmac_f32 v27, v41, v35
	s_delay_alu instid0(VALU_DEP_2) | instskip(NEXT) | instid1(VALU_DEP_2)
	v_fmac_f32_e32 v12, v40, v35
	v_fmac_f32_e32 v26, v42, v35
	s_wait_alu 0xfffe
	s_and_not1_b32 exec_lo, exec_lo, s4
	s_cbranch_execnz .LBB42_31
; %bb.32:
	s_or_b32 exec_lo, exec_lo, s4
.LBB42_33:
	s_wait_alu 0xfffe
	s_or_b32 exec_lo, exec_lo, s2
	s_delay_alu instid0(SALU_CYCLE_1)
	s_mov_b32 s4, exec_lo
	v_cmpx_lt_u64_e32 47, v[13:14]
	s_cbranch_execz .LBB42_37
; %bb.34:
	v_lshlrev_b64_e32 v[13:14], 3, v[5:6]
	s_mov_b32 s5, 0
	s_delay_alu instid0(VALU_DEP_1) | instskip(SKIP_1) | instid1(VALU_DEP_2)
	v_add_co_u32 v11, vcc_lo, s8, v13
	s_wait_alu 0xfffd
	v_add_co_ci_u32_e64 v14, null, s9, v14, vcc_lo
	s_delay_alu instid0(VALU_DEP_2) | instskip(SKIP_1) | instid1(VALU_DEP_2)
	v_add_co_u32 v13, vcc_lo, 0x100, v11
	s_wait_alu 0xfffd
	v_add_co_ci_u32_e64 v14, null, 0, v14, vcc_lo
.LBB42_35:                              ; =>This Inner Loop Header: Depth=1
	s_clause 0x3
	global_load_b64 v[23:24], v[13:14], off offset:-256
	global_load_b64 v[76:77], v[13:14], off offset:-128
	global_load_b64 v[79:80], v[13:14], off
	global_load_b64 v[87:88], v[13:14], off offset:128
	s_clause 0xd
	global_load_b128 v[15:18], v[9:10], off offset:48
	global_load_b128 v[19:22], v[9:10], off offset:32
	;; [unrolled: 1-line block ×3, first 2 shown]
	global_load_b128 v[32:35], v[9:10], off
	global_load_b128 v[36:39], v[9:10], off offset:1072
	global_load_b128 v[40:43], v[9:10], off offset:1056
	;; [unrolled: 1-line block ×10, first 2 shown]
	s_wait_loadcnt 0x11
	v_sub_co_u32 v23, vcc_lo, v23, v1
	s_wait_alu 0xfffd
	v_sub_co_ci_u32_e64 v24, null, v24, v2, vcc_lo
	s_wait_loadcnt 0x10
	v_sub_co_u32 v81, vcc_lo, v76, v1
	s_wait_alu 0xfffd
	v_sub_co_ci_u32_e64 v82, null, v77, v2, vcc_lo
	v_lshlrev_b64_e32 v[23:24], 4, v[23:24]
	s_wait_loadcnt 0xf
	v_sub_co_u32 v84, vcc_lo, v79, v1
	s_wait_alu 0xfffd
	v_sub_co_ci_u32_e64 v85, null, v80, v2, vcc_lo
	s_wait_kmcnt 0x0
	v_add_co_u32 v23, s2, s6, v23
	s_wait_alu 0xf1ff
	v_add_co_ci_u32_e64 v24, null, s7, v24, s2
	v_lshlrev_b64_e32 v[84:85], 4, v[84:85]
	global_load_b128 v[76:79], v[23:24], off
	v_lshlrev_b64_e32 v[23:24], 4, v[81:82]
	v_add_co_u32 v84, s2, s6, v84
	s_wait_alu 0xf1ff
	v_add_co_ci_u32_e64 v85, null, s7, v85, s2
	s_delay_alu instid0(VALU_DEP_3)
	v_add_co_u32 v23, vcc_lo, s6, v23
	s_wait_alu 0xfffd
	v_add_co_ci_u32_e64 v24, null, s7, v24, vcc_lo
	global_load_b128 v[80:83], v[23:24], off
	s_wait_loadcnt 0x10
	v_sub_co_u32 v23, vcc_lo, v87, v1
	global_load_b128 v[84:87], v[84:85], off
	s_wait_alu 0xfffd
	v_sub_co_ci_u32_e64 v24, null, v88, v2, vcc_lo
	s_delay_alu instid0(VALU_DEP_1) | instskip(NEXT) | instid1(VALU_DEP_1)
	v_lshlrev_b64_e32 v[23:24], 4, v[23:24]
	v_add_co_u32 v23, vcc_lo, s6, v23
	s_wait_alu 0xfffd
	s_delay_alu instid0(VALU_DEP_2)
	v_add_co_ci_u32_e64 v24, null, s7, v24, vcc_lo
	global_load_b128 v[88:91], v[23:24], off
	global_load_b128 v[92:95], v[9:10], off offset:3104
	s_wait_loadcnt 0x4
	v_fmac_f32_e32 v27, v33, v76
	v_fmac_f32_e32 v12, v32, v76
	v_fmac_f32_e32 v25, v35, v76
	v_fmac_f32_e32 v26, v34, v76
	global_load_b128 v[32:35], v[9:10], off offset:3120
	v_fmac_f32_e32 v27, v29, v77
	v_fmac_f32_e32 v12, v28, v77
	v_fmac_f32_e32 v25, v31, v77
	v_fmac_f32_e32 v26, v30, v77
	v_add_co_u32 v9, vcc_lo, 0x1000, v9
	v_fmac_f32_e32 v27, v20, v78
	v_fmac_f32_e32 v12, v19, v78
	v_fmac_f32_e32 v25, v22, v78
	v_fmac_f32_e32 v26, v21, v78
	s_wait_alu 0xfffd
	v_add_co_ci_u32_e64 v10, null, 0, v10, vcc_lo
	v_fmac_f32_e32 v27, v16, v79
	v_fmac_f32_e32 v12, v15, v79
	;; [unrolled: 1-line block ×4, first 2 shown]
	v_add_co_u32 v5, vcc_lo, v5, 64
	s_wait_loadcnt 0x4
	v_fmac_f32_e32 v27, v49, v80
	v_fmac_f32_e32 v12, v48, v80
	;; [unrolled: 1-line block ×4, first 2 shown]
	s_wait_alu 0xfffd
	v_add_co_ci_u32_e64 v6, null, 0, v6, vcc_lo
	v_fmac_f32_e32 v27, v45, v81
	v_fmac_f32_e32 v12, v44, v81
	;; [unrolled: 1-line block ×4, first 2 shown]
	v_add_co_u32 v13, vcc_lo, 0x200, v13
	v_fmac_f32_e32 v27, v41, v82
	v_fmac_f32_e32 v12, v40, v82
	;; [unrolled: 1-line block ×4, first 2 shown]
	s_wait_alu 0xfffd
	v_add_co_ci_u32_e64 v14, null, 0, v14, vcc_lo
	v_fmac_f32_e32 v27, v37, v83
	v_fmac_f32_e32 v12, v36, v83
	v_fmac_f32_e32 v25, v39, v83
	v_fmac_f32_e32 v26, v38, v83
	v_cmp_ge_i64_e32 vcc_lo, v[5:6], v[7:8]
	s_wait_loadcnt 0x3
	v_fmac_f32_e32 v27, v65, v84
	v_fmac_f32_e32 v12, v64, v84
	;; [unrolled: 1-line block ×3, first 2 shown]
	s_delay_alu instid0(VALU_DEP_3) | instskip(NEXT) | instid1(VALU_DEP_3)
	v_dual_fmac_f32 v26, v66, v84 :: v_dual_fmac_f32 v27, v61, v85
	v_fmac_f32_e32 v12, v60, v85
	s_delay_alu instid0(VALU_DEP_3) | instskip(NEXT) | instid1(VALU_DEP_3)
	v_fmac_f32_e32 v25, v63, v85
	v_fmac_f32_e32 v26, v62, v85
	s_wait_alu 0xfffe
	s_or_b32 s5, vcc_lo, s5
	v_fmac_f32_e32 v27, v57, v86
	v_fmac_f32_e32 v12, v56, v86
	;; [unrolled: 1-line block ×3, first 2 shown]
	s_delay_alu instid0(VALU_DEP_3) | instskip(NEXT) | instid1(VALU_DEP_3)
	v_dual_fmac_f32 v26, v58, v86 :: v_dual_fmac_f32 v27, v53, v87
	v_fmac_f32_e32 v12, v52, v87
	s_delay_alu instid0(VALU_DEP_3) | instskip(SKIP_1) | instid1(VALU_DEP_3)
	v_fmac_f32_e32 v25, v55, v87
	s_wait_loadcnt 0x2
	v_dual_fmac_f32 v26, v54, v87 :: v_dual_fmac_f32 v27, v73, v88
	s_delay_alu instid0(VALU_DEP_3) | instskip(NEXT) | instid1(VALU_DEP_3)
	v_fmac_f32_e32 v12, v72, v88
	v_fmac_f32_e32 v25, v75, v88
	s_delay_alu instid0(VALU_DEP_3) | instskip(NEXT) | instid1(VALU_DEP_3)
	v_dual_fmac_f32 v26, v74, v88 :: v_dual_fmac_f32 v27, v69, v89
	v_fmac_f32_e32 v12, v68, v89
	s_delay_alu instid0(VALU_DEP_3) | instskip(SKIP_1) | instid1(VALU_DEP_3)
	v_fmac_f32_e32 v25, v71, v89
	s_wait_loadcnt 0x1
	v_dual_fmac_f32 v26, v70, v89 :: v_dual_fmac_f32 v27, v93, v90
	s_delay_alu instid0(VALU_DEP_3) | instskip(NEXT) | instid1(VALU_DEP_3)
	v_fmac_f32_e32 v12, v92, v90
	v_fmac_f32_e32 v25, v95, v90
	s_wait_loadcnt 0x0
	s_delay_alu instid0(VALU_DEP_1) | instskip(SKIP_2) | instid1(VALU_DEP_3)
	v_dual_fmac_f32 v26, v94, v90 :: v_dual_fmac_f32 v25, v35, v91
	v_fmac_f32_e32 v27, v33, v91
	v_fmac_f32_e32 v12, v32, v91
	v_fmac_f32_e32 v26, v34, v91
	s_wait_alu 0xfffe
	s_and_not1_b32 exec_lo, exec_lo, s5
	s_cbranch_execnz .LBB42_35
; %bb.36:
	s_or_b32 exec_lo, exec_lo, s5
.LBB42_37:
	s_wait_alu 0xfffe
	s_or_b32 exec_lo, exec_lo, s4
.LBB42_38:
	s_wait_alu 0xfffe
	s_or_b32 exec_lo, exec_lo, s3
.LBB42_39:
	v_mbcnt_lo_u32_b32 v1, -1, 0
	s_mov_b32 s2, -1
	s_delay_alu instid0(VALU_DEP_1) | instskip(SKIP_1) | instid1(VALU_DEP_2)
	v_xor_b32_e32 v2, 8, v1
	v_xor_b32_e32 v8, 4, v1
	v_cmp_gt_i32_e32 vcc_lo, 32, v2
	s_wait_alu 0xfffd
	v_cndmask_b32_e32 v2, v1, v2, vcc_lo
	s_delay_alu instid0(VALU_DEP_3) | instskip(NEXT) | instid1(VALU_DEP_2)
	v_cmp_gt_i32_e32 vcc_lo, 32, v8
	v_lshlrev_b32_e32 v2, 2, v2
	ds_bpermute_b32 v7, v2, v26
	s_wait_dscnt 0x0
	v_add_f32_e32 v7, v26, v7
	ds_bpermute_b32 v5, v2, v12
	s_wait_alu 0xfffd
	v_cndmask_b32_e32 v8, v1, v8, vcc_lo
	ds_bpermute_b32 v6, v2, v27
	ds_bpermute_b32 v2, v2, v25
	s_wait_dscnt 0x2
	v_dual_add_f32 v5, v12, v5 :: v_dual_lshlrev_b32 v8, 2, v8
	s_wait_dscnt 0x1
	v_add_f32_e32 v6, v27, v6
	s_wait_dscnt 0x0
	v_add_f32_e32 v2, v25, v2
	v_xor_b32_e32 v12, 2, v1
	ds_bpermute_b32 v9, v8, v5
	v_cmp_gt_i32_e32 vcc_lo, 32, v12
	s_wait_dscnt 0x0
	v_add_f32_e32 v5, v5, v9
	ds_bpermute_b32 v11, v8, v7
	ds_bpermute_b32 v10, v8, v6
	;; [unrolled: 1-line block ×3, first 2 shown]
	s_wait_dscnt 0x2
	s_wait_alu 0xfffd
	v_dual_add_f32 v7, v7, v11 :: v_dual_cndmask_b32 v12, v1, v12
	s_wait_dscnt 0x1
	v_add_f32_e32 v6, v6, v10
	s_wait_dscnt 0x0
	v_add_f32_e32 v8, v2, v8
	v_lshlrev_b32_e32 v12, 2, v12
	ds_bpermute_b32 v2, v12, v5
	ds_bpermute_b32 v9, v12, v6
	;; [unrolled: 1-line block ×4, first 2 shown]
	v_xor_b32_e32 v12, 1, v1
	s_delay_alu instid0(VALU_DEP_1) | instskip(SKIP_4) | instid1(VALU_DEP_2)
	v_cmp_gt_i32_e32 vcc_lo, 32, v12
	s_wait_alu 0xfffd
	v_cndmask_b32_e32 v1, v1, v12, vcc_lo
	v_cmp_eq_u32_e32 vcc_lo, 15, v0
	s_wait_dscnt 0x3
	v_dual_add_f32 v1, v5, v2 :: v_dual_lshlrev_b32 v12, 2, v1
	s_wait_dscnt 0x1
	v_dual_add_f32 v2, v6, v9 :: v_dual_add_f32 v5, v7, v10
	s_wait_dscnt 0x0
	v_add_f32_e32 v6, v8, v11
	ds_bpermute_b32 v7, v12, v1
	ds_bpermute_b32 v8, v12, v2
	;; [unrolled: 1-line block ×4, first 2 shown]
	s_and_b32 exec_lo, exec_lo, vcc_lo
	s_cbranch_execz .LBB42_10
; %bb.40:
	s_load_b64 s[0:1], s[0:1], 0x58
	s_wait_dscnt 0x2
	v_dual_add_f32 v0, v1, v7 :: v_dual_add_f32 v1, v2, v8
	s_wait_dscnt 0x0
	v_add_f32_e32 v6, v6, v10
	s_cmp_eq_f32 s16, 0
	s_delay_alu instid0(VALU_DEP_2) | instskip(SKIP_3) | instid1(VALU_DEP_3)
	v_dual_mul_f32 v0, s12, v0 :: v_dual_mul_f32 v1, s12, v1
	v_add_f32_e32 v2, v5, v9
	v_lshlrev_b64_e32 v[4:5], 4, v[3:4]
	v_mul_f32_e32 v3, s12, v6
	v_mul_f32_e32 v2, s12, v2
	s_cbranch_scc0 .LBB42_42
; %bb.41:
	s_wait_kmcnt 0x0
	s_delay_alu instid0(VALU_DEP_3)
	v_add_co_u32 v6, vcc_lo, s0, v4
	s_wait_alu 0xfffd
	v_add_co_ci_u32_e64 v7, null, s1, v5, vcc_lo
	s_mov_b32 s2, 0
	global_store_b128 v[6:7], v[0:3], off
.LBB42_42:
	s_wait_alu 0xfffe
	s_and_not1_b32 vcc_lo, exec_lo, s2
	s_wait_alu 0xfffe
	s_cbranch_vccnz .LBB42_10
; %bb.43:
	s_wait_kmcnt 0x0
	v_add_co_u32 v8, vcc_lo, s0, v4
	s_wait_alu 0xfffd
	v_add_co_ci_u32_e64 v9, null, s1, v5, vcc_lo
	global_load_b128 v[4:7], v[8:9], off
	s_wait_loadcnt 0x0
	v_dual_fmac_f32 v0, s16, v4 :: v_dual_fmac_f32 v1, s16, v5
	v_dual_fmac_f32 v2, s16, v6 :: v_dual_fmac_f32 v3, s16, v7
	global_store_b128 v[8:9], v[0:3], off
	s_nop 0
	s_sendmsg sendmsg(MSG_DEALLOC_VGPRS)
	s_endpgm
	.section	.rodata,"a",@progbits
	.p2align	6, 0x0
	.amdhsa_kernel _ZN9rocsparseL18bsrxmvn_4x4_kernelILj128ELj16EfllfffEEvT3_20rocsparse_direction_NS_24const_host_device_scalarIT1_EES1_PKS1_PKT2_SA_S7_PKT4_PKT5_S5_PT6_21rocsparse_index_base_b
		.amdhsa_group_segment_fixed_size 0
		.amdhsa_private_segment_fixed_size 0
		.amdhsa_kernarg_size 104
		.amdhsa_user_sgpr_count 2
		.amdhsa_user_sgpr_dispatch_ptr 0
		.amdhsa_user_sgpr_queue_ptr 0
		.amdhsa_user_sgpr_kernarg_segment_ptr 1
		.amdhsa_user_sgpr_dispatch_id 0
		.amdhsa_user_sgpr_private_segment_size 0
		.amdhsa_wavefront_size32 1
		.amdhsa_uses_dynamic_stack 0
		.amdhsa_enable_private_segment 0
		.amdhsa_system_sgpr_workgroup_id_x 1
		.amdhsa_system_sgpr_workgroup_id_y 0
		.amdhsa_system_sgpr_workgroup_id_z 0
		.amdhsa_system_sgpr_workgroup_info 0
		.amdhsa_system_vgpr_workitem_id 0
		.amdhsa_next_free_vgpr 100
		.amdhsa_next_free_sgpr 18
		.amdhsa_reserve_vcc 1
		.amdhsa_float_round_mode_32 0
		.amdhsa_float_round_mode_16_64 0
		.amdhsa_float_denorm_mode_32 3
		.amdhsa_float_denorm_mode_16_64 3
		.amdhsa_fp16_overflow 0
		.amdhsa_workgroup_processor_mode 1
		.amdhsa_memory_ordered 1
		.amdhsa_forward_progress 1
		.amdhsa_inst_pref_size 36
		.amdhsa_round_robin_scheduling 0
		.amdhsa_exception_fp_ieee_invalid_op 0
		.amdhsa_exception_fp_denorm_src 0
		.amdhsa_exception_fp_ieee_div_zero 0
		.amdhsa_exception_fp_ieee_overflow 0
		.amdhsa_exception_fp_ieee_underflow 0
		.amdhsa_exception_fp_ieee_inexact 0
		.amdhsa_exception_int_div_zero 0
	.end_amdhsa_kernel
	.section	.text._ZN9rocsparseL18bsrxmvn_4x4_kernelILj128ELj16EfllfffEEvT3_20rocsparse_direction_NS_24const_host_device_scalarIT1_EES1_PKS1_PKT2_SA_S7_PKT4_PKT5_S5_PT6_21rocsparse_index_base_b,"axG",@progbits,_ZN9rocsparseL18bsrxmvn_4x4_kernelILj128ELj16EfllfffEEvT3_20rocsparse_direction_NS_24const_host_device_scalarIT1_EES1_PKS1_PKT2_SA_S7_PKT4_PKT5_S5_PT6_21rocsparse_index_base_b,comdat
.Lfunc_end42:
	.size	_ZN9rocsparseL18bsrxmvn_4x4_kernelILj128ELj16EfllfffEEvT3_20rocsparse_direction_NS_24const_host_device_scalarIT1_EES1_PKS1_PKT2_SA_S7_PKT4_PKT5_S5_PT6_21rocsparse_index_base_b, .Lfunc_end42-_ZN9rocsparseL18bsrxmvn_4x4_kernelILj128ELj16EfllfffEEvT3_20rocsparse_direction_NS_24const_host_device_scalarIT1_EES1_PKS1_PKT2_SA_S7_PKT4_PKT5_S5_PT6_21rocsparse_index_base_b
                                        ; -- End function
	.set _ZN9rocsparseL18bsrxmvn_4x4_kernelILj128ELj16EfllfffEEvT3_20rocsparse_direction_NS_24const_host_device_scalarIT1_EES1_PKS1_PKT2_SA_S7_PKT4_PKT5_S5_PT6_21rocsparse_index_base_b.num_vgpr, 100
	.set _ZN9rocsparseL18bsrxmvn_4x4_kernelILj128ELj16EfllfffEEvT3_20rocsparse_direction_NS_24const_host_device_scalarIT1_EES1_PKS1_PKT2_SA_S7_PKT4_PKT5_S5_PT6_21rocsparse_index_base_b.num_agpr, 0
	.set _ZN9rocsparseL18bsrxmvn_4x4_kernelILj128ELj16EfllfffEEvT3_20rocsparse_direction_NS_24const_host_device_scalarIT1_EES1_PKS1_PKT2_SA_S7_PKT4_PKT5_S5_PT6_21rocsparse_index_base_b.numbered_sgpr, 18
	.set _ZN9rocsparseL18bsrxmvn_4x4_kernelILj128ELj16EfllfffEEvT3_20rocsparse_direction_NS_24const_host_device_scalarIT1_EES1_PKS1_PKT2_SA_S7_PKT4_PKT5_S5_PT6_21rocsparse_index_base_b.num_named_barrier, 0
	.set _ZN9rocsparseL18bsrxmvn_4x4_kernelILj128ELj16EfllfffEEvT3_20rocsparse_direction_NS_24const_host_device_scalarIT1_EES1_PKS1_PKT2_SA_S7_PKT4_PKT5_S5_PT6_21rocsparse_index_base_b.private_seg_size, 0
	.set _ZN9rocsparseL18bsrxmvn_4x4_kernelILj128ELj16EfllfffEEvT3_20rocsparse_direction_NS_24const_host_device_scalarIT1_EES1_PKS1_PKT2_SA_S7_PKT4_PKT5_S5_PT6_21rocsparse_index_base_b.uses_vcc, 1
	.set _ZN9rocsparseL18bsrxmvn_4x4_kernelILj128ELj16EfllfffEEvT3_20rocsparse_direction_NS_24const_host_device_scalarIT1_EES1_PKS1_PKT2_SA_S7_PKT4_PKT5_S5_PT6_21rocsparse_index_base_b.uses_flat_scratch, 0
	.set _ZN9rocsparseL18bsrxmvn_4x4_kernelILj128ELj16EfllfffEEvT3_20rocsparse_direction_NS_24const_host_device_scalarIT1_EES1_PKS1_PKT2_SA_S7_PKT4_PKT5_S5_PT6_21rocsparse_index_base_b.has_dyn_sized_stack, 0
	.set _ZN9rocsparseL18bsrxmvn_4x4_kernelILj128ELj16EfllfffEEvT3_20rocsparse_direction_NS_24const_host_device_scalarIT1_EES1_PKS1_PKT2_SA_S7_PKT4_PKT5_S5_PT6_21rocsparse_index_base_b.has_recursion, 0
	.set _ZN9rocsparseL18bsrxmvn_4x4_kernelILj128ELj16EfllfffEEvT3_20rocsparse_direction_NS_24const_host_device_scalarIT1_EES1_PKS1_PKT2_SA_S7_PKT4_PKT5_S5_PT6_21rocsparse_index_base_b.has_indirect_call, 0
	.section	.AMDGPU.csdata,"",@progbits
; Kernel info:
; codeLenInByte = 4536
; TotalNumSgprs: 20
; NumVgprs: 100
; ScratchSize: 0
; MemoryBound: 0
; FloatMode: 240
; IeeeMode: 1
; LDSByteSize: 0 bytes/workgroup (compile time only)
; SGPRBlocks: 0
; VGPRBlocks: 12
; NumSGPRsForWavesPerEU: 20
; NumVGPRsForWavesPerEU: 100
; Occupancy: 12
; WaveLimiterHint : 1
; COMPUTE_PGM_RSRC2:SCRATCH_EN: 0
; COMPUTE_PGM_RSRC2:USER_SGPR: 2
; COMPUTE_PGM_RSRC2:TRAP_HANDLER: 0
; COMPUTE_PGM_RSRC2:TGID_X_EN: 1
; COMPUTE_PGM_RSRC2:TGID_Y_EN: 0
; COMPUTE_PGM_RSRC2:TGID_Z_EN: 0
; COMPUTE_PGM_RSRC2:TIDIG_COMP_CNT: 0
	.section	.text._ZN9rocsparseL18bsrxmvn_4x4_kernelILj128ELj32EfllfffEEvT3_20rocsparse_direction_NS_24const_host_device_scalarIT1_EES1_PKS1_PKT2_SA_S7_PKT4_PKT5_S5_PT6_21rocsparse_index_base_b,"axG",@progbits,_ZN9rocsparseL18bsrxmvn_4x4_kernelILj128ELj32EfllfffEEvT3_20rocsparse_direction_NS_24const_host_device_scalarIT1_EES1_PKS1_PKT2_SA_S7_PKT4_PKT5_S5_PT6_21rocsparse_index_base_b,comdat
	.globl	_ZN9rocsparseL18bsrxmvn_4x4_kernelILj128ELj32EfllfffEEvT3_20rocsparse_direction_NS_24const_host_device_scalarIT1_EES1_PKS1_PKT2_SA_S7_PKT4_PKT5_S5_PT6_21rocsparse_index_base_b ; -- Begin function _ZN9rocsparseL18bsrxmvn_4x4_kernelILj128ELj32EfllfffEEvT3_20rocsparse_direction_NS_24const_host_device_scalarIT1_EES1_PKS1_PKT2_SA_S7_PKT4_PKT5_S5_PT6_21rocsparse_index_base_b
	.p2align	8
	.type	_ZN9rocsparseL18bsrxmvn_4x4_kernelILj128ELj32EfllfffEEvT3_20rocsparse_direction_NS_24const_host_device_scalarIT1_EES1_PKS1_PKT2_SA_S7_PKT4_PKT5_S5_PT6_21rocsparse_index_base_b,@function
_ZN9rocsparseL18bsrxmvn_4x4_kernelILj128ELj32EfllfffEEvT3_20rocsparse_direction_NS_24const_host_device_scalarIT1_EES1_PKS1_PKT2_SA_S7_PKT4_PKT5_S5_PT6_21rocsparse_index_base_b: ; @_ZN9rocsparseL18bsrxmvn_4x4_kernelILj128ELj32EfllfffEEvT3_20rocsparse_direction_NS_24const_host_device_scalarIT1_EES1_PKS1_PKT2_SA_S7_PKT4_PKT5_S5_PT6_21rocsparse_index_base_b
; %bb.0:
	s_clause 0x2
	s_load_b64 s[2:3], s[0:1], 0x60
	s_load_b128 s[12:15], s[0:1], 0x10
	s_load_b64 s[16:17], s[0:1], 0x50
	s_wait_kmcnt 0x0
	s_bitcmp1_b32 s3, 0
	s_cselect_b32 s3, -1, 0
	s_delay_alu instid0(SALU_CYCLE_1)
	s_and_b32 vcc_lo, exec_lo, s3
	s_xor_b32 s3, s3, -1
	s_cbranch_vccnz .LBB43_2
; %bb.1:
	s_load_b32 s12, s[12:13], 0x0
.LBB43_2:
	s_and_not1_b32 vcc_lo, exec_lo, s3
	s_cbranch_vccnz .LBB43_4
; %bb.3:
	s_load_b32 s16, s[16:17], 0x0
.LBB43_4:
	s_wait_kmcnt 0x0
	s_cmp_neq_f32 s12, 0
	s_mov_b32 s6, 0
	s_cselect_b32 s3, -1, 0
	s_cmp_neq_f32 s16, 1.0
	s_cselect_b32 s4, -1, 0
	s_delay_alu instid0(SALU_CYCLE_1) | instskip(NEXT) | instid1(SALU_CYCLE_1)
	s_or_b32 s3, s3, s4
	s_and_not1_b32 vcc_lo, exec_lo, s3
	s_cbranch_vccnz .LBB43_10
; %bb.5:
	s_load_b64 s[4:5], s[0:1], 0x20
	v_lshrrev_b32_e32 v1, 5, v0
	v_mov_b32_e32 v6, 0
	s_delay_alu instid0(VALU_DEP_2)
	v_lshl_or_b32 v5, ttmp9, 2, v1
	s_wait_kmcnt 0x0
	s_cmp_lg_u64 s[4:5], 0
	s_cbranch_scc0 .LBB43_11
; %bb.6:
	s_mov_b32 s7, 0
                                        ; implicit-def: $vgpr3_vgpr4
                                        ; implicit-def: $vgpr1_vgpr2
	s_mov_b32 s3, exec_lo
	v_cmpx_gt_i64_e64 s[14:15], v[5:6]
	s_xor_b32 s8, exec_lo, s3
	s_cbranch_execz .LBB43_8
; %bb.7:
	v_lshlrev_b64_e32 v[1:2], 3, v[5:6]
	s_mov_b32 s3, 0
	s_mov_b32 s6, exec_lo
	s_delay_alu instid0(VALU_DEP_1) | instskip(NEXT) | instid1(VALU_DEP_1)
	v_add_co_u32 v1, vcc_lo, s4, v1
	v_add_co_ci_u32_e64 v2, null, s5, v2, vcc_lo
	global_load_b64 v[1:2], v[1:2], off
	s_wait_loadcnt 0x0
	v_sub_co_u32 v3, vcc_lo, v1, s2
	s_wait_alu 0xfffd
	v_subrev_co_ci_u32_e64 v4, null, 0, v2, vcc_lo
	v_dual_mov_b32 v1, s2 :: v_dual_mov_b32 v2, s3
.LBB43_8:
	s_or_b32 exec_lo, exec_lo, s8
	s_delay_alu instid0(SALU_CYCLE_1)
	s_and_b32 vcc_lo, exec_lo, s7
	s_wait_alu 0xfffe
	s_cbranch_vccnz .LBB43_12
.LBB43_9:
	s_and_saveexec_b32 s2, s6
	s_cbranch_execnz .LBB43_15
.LBB43_10:
	s_nop 0
	s_sendmsg sendmsg(MSG_DEALLOC_VGPRS)
	s_endpgm
.LBB43_11:
                                        ; implicit-def: $vgpr3_vgpr4
                                        ; implicit-def: $vgpr1_vgpr2
	s_cbranch_execz .LBB43_9
.LBB43_12:
	s_load_b64 s[4:5], s[0:1], 0x0
	s_wait_kmcnt 0x0
	v_cmp_gt_i64_e32 vcc_lo, s[4:5], v[5:6]
	s_and_saveexec_b32 s4, vcc_lo
; %bb.13:
	s_mov_b32 s3, 0
	s_or_b32 s6, s6, exec_lo
; %bb.14:
	s_wait_alu 0xfffe
	s_or_b32 exec_lo, exec_lo, s4
	v_dual_mov_b32 v1, s2 :: v_dual_mov_b32 v2, s3
	v_dual_mov_b32 v3, v5 :: v_dual_mov_b32 v4, v6
	s_and_saveexec_b32 s2, s6
	s_cbranch_execz .LBB43_10
.LBB43_15:
	s_load_b256 s[4:11], s[0:1], 0x28
	s_delay_alu instid0(VALU_DEP_1) | instskip(SKIP_3) | instid1(VALU_DEP_2)
	v_lshlrev_b64_e32 v[5:6], 3, v[3:4]
	v_dual_mov_b32 v25, 0 :: v_dual_and_b32 v0, 31, v0
	s_load_b32 s3, s[0:1], 0x8
	s_wait_kmcnt 0x0
	v_add_co_u32 v7, vcc_lo, s4, v5
	s_wait_alu 0xfffd
	v_add_co_ci_u32_e64 v8, null, s5, v6, vcc_lo
	v_add_co_u32 v5, vcc_lo, s6, v5
	s_wait_alu 0xfffd
	v_add_co_ci_u32_e64 v6, null, s7, v6, vcc_lo
	v_add_co_u32 v9, vcc_lo, v7, 8
	global_load_b64 v[13:14], v[7:8], off
	s_wait_alu 0xfffd
	v_add_co_ci_u32_e64 v10, null, 0, v8, vcc_lo
	s_cmp_eq_u64 s[6:7], 0
	s_load_b64 s[6:7], s[0:1], 0x48
	s_cselect_b32 vcc_lo, -1, 0
	s_cmp_eq_u32 s3, 1
	s_wait_alu 0xfffe
	v_dual_cndmask_b32 v6, v6, v10 :: v_dual_cndmask_b32 v5, v5, v9
	global_load_b64 v[7:8], v[5:6], off
	s_wait_loadcnt 0x1
	v_sub_co_u32 v5, vcc_lo, v13, v1
	s_wait_alu 0xfffd
	v_sub_co_ci_u32_e64 v6, null, v14, v2, vcc_lo
	s_delay_alu instid0(VALU_DEP_2) | instskip(SKIP_1) | instid1(VALU_DEP_2)
	v_add_co_u32 v5, vcc_lo, v5, v0
	s_wait_alu 0xfffd
	v_add_co_ci_u32_e64 v6, null, 0, v6, vcc_lo
	s_delay_alu instid0(VALU_DEP_1) | instskip(SKIP_4) | instid1(VALU_DEP_3)
	v_lshlrev_b64_e32 v[9:10], 6, v[5:6]
	s_wait_loadcnt 0x0
	v_sub_co_u32 v7, vcc_lo, v7, v1
	s_wait_alu 0xfffd
	v_sub_co_ci_u32_e64 v8, null, v8, v2, vcc_lo
	v_add_co_u32 v9, vcc_lo, s10, v9
	s_delay_alu instid0(VALU_DEP_2)
	v_cmp_lt_i64_e64 s2, v[5:6], v[7:8]
	s_wait_alu 0xfffd
	v_add_co_ci_u32_e64 v10, null, s11, v10, vcc_lo
	s_cbranch_scc1 .LBB43_27
; %bb.16:
	v_dual_mov_b32 v26, 0 :: v_dual_mov_b32 v27, 0
	v_mov_b32_e32 v12, 0
	s_and_saveexec_b32 s5, s2
	s_cbranch_execz .LBB43_26
; %bb.17:
	v_or_b32_e32 v11, 32, v0
	v_not_b32_e32 v16, v13
	v_sub_co_u32 v17, s3, v1, v0
	v_not_b32_e32 v15, v14
	s_delay_alu instid0(VALU_DEP_4)
	v_sub_co_u32 v11, vcc_lo, v11, v1
	s_wait_alu 0xfffd
	v_sub_co_ci_u32_e64 v12, null, 0, v2, vcc_lo
	s_wait_alu 0xf1ff
	v_subrev_co_ci_u32_e64 v18, null, 0, v2, s3
	v_add_co_u32 v11, vcc_lo, v11, v13
	s_wait_alu 0xfffd
	v_add_co_ci_u32_e64 v12, null, v12, v14, vcc_lo
	s_mov_b32 s3, exec_lo
	v_cmp_gt_i64_e32 vcc_lo, v[11:12], v[7:8]
	s_wait_alu 0xfffd
	v_dual_cndmask_b32 v20, v8, v12 :: v_dual_cndmask_b32 v11, v7, v11
	v_add_co_u32 v12, vcc_lo, v17, v16
	s_wait_alu 0xfffd
	v_add_co_ci_u32_e64 v15, null, v18, v15, vcc_lo
	v_mov_b32_e32 v18, v10
	s_delay_alu instid0(VALU_DEP_3) | instskip(SKIP_3) | instid1(VALU_DEP_3)
	v_add_co_u32 v19, vcc_lo, v12, v11
	v_mov_b32_e32 v12, 0
	s_wait_alu 0xfffd
	v_add_co_ci_u32_e64 v20, null, v15, v20, vcc_lo
	v_dual_mov_b32 v16, v6 :: v_dual_and_b32 v11, 0x60, v19
	s_delay_alu instid0(VALU_DEP_3)
	v_mov_b32_e32 v25, v12
	v_mov_b32_e32 v15, v5
	v_dual_mov_b32 v27, v12 :: v_dual_mov_b32 v26, v12
	v_mov_b32_e32 v17, v9
	v_cmpx_ne_u64_e32 0x60, v[11:12]
	s_cbranch_execz .LBB43_21
; %bb.18:
	v_lshrrev_b32_e32 v11, 5, v19
	v_dual_mov_b32 v25, 0 :: v_dual_mov_b32 v18, v10
	v_dual_mov_b32 v17, v9 :: v_dual_mov_b32 v26, 0
	s_delay_alu instid0(VALU_DEP_3) | instskip(SKIP_3) | instid1(VALU_DEP_4)
	v_dual_mov_b32 v16, v6 :: v_dual_add_nc_u32 v21, 1, v11
	v_lshlrev_b64_e32 v[11:12], 3, v[5:6]
	v_mov_b32_e32 v15, v5
	v_mov_b32_e32 v27, 0
	v_and_b32_e32 v23, 3, v21
	s_delay_alu instid0(VALU_DEP_4) | instskip(NEXT) | instid1(VALU_DEP_2)
	v_add_co_u32 v21, vcc_lo, s8, v11
	v_sub_co_u32 v23, s4, 0, v23
	s_wait_alu 0xfffd
	v_add_co_ci_u32_e64 v22, null, s9, v12, vcc_lo
	s_wait_alu 0xf1ff
	v_sub_co_ci_u32_e64 v24, null, 0, 0, s4
	v_mov_b32_e32 v12, 0
	s_mov_b32 s4, 0
.LBB43_19:                              ; =>This Inner Loop Header: Depth=1
	global_load_b64 v[44:45], v[21:22], off
	s_clause 0x3
	global_load_b128 v[28:31], v[17:18], off offset:48
	global_load_b128 v[32:35], v[17:18], off offset:32
	;; [unrolled: 1-line block ×3, first 2 shown]
	global_load_b128 v[40:43], v[17:18], off
	s_wait_loadcnt 0x4
	v_sub_co_u32 v44, vcc_lo, v44, v1
	s_wait_alu 0xfffd
	v_sub_co_ci_u32_e64 v45, null, v45, v2, vcc_lo
	s_delay_alu instid0(VALU_DEP_1) | instskip(SKIP_1) | instid1(VALU_DEP_1)
	v_lshlrev_b64_e32 v[44:45], 4, v[44:45]
	s_wait_kmcnt 0x0
	v_add_co_u32 v44, vcc_lo, s6, v44
	s_wait_alu 0xfffd
	s_delay_alu instid0(VALU_DEP_2)
	v_add_co_ci_u32_e64 v45, null, s7, v45, vcc_lo
	v_add_co_u32 v17, vcc_lo, 0x800, v17
	s_wait_alu 0xfffd
	v_add_co_ci_u32_e64 v18, null, 0, v18, vcc_lo
	global_load_b128 v[44:47], v[44:45], off
	v_add_co_u32 v15, vcc_lo, v15, 32
	s_wait_alu 0xfffd
	v_add_co_ci_u32_e64 v16, null, 0, v16, vcc_lo
	v_add_co_u32 v21, vcc_lo, 0x100, v21
	s_wait_alu 0xfffd
	v_add_co_ci_u32_e64 v22, null, 0, v22, vcc_lo
	;; [unrolled: 3-line block ×3, first 2 shown]
	s_delay_alu instid0(VALU_DEP_1)
	v_cmp_eq_u64_e32 vcc_lo, 0, v[23:24]
	s_wait_alu 0xfffe
	s_or_b32 s4, vcc_lo, s4
	s_wait_loadcnt 0x0
	v_fmac_f32_e32 v27, v36, v44
	v_fmac_f32_e32 v12, v40, v44
	;; [unrolled: 1-line block ×3, first 2 shown]
	s_delay_alu instid0(VALU_DEP_3) | instskip(NEXT) | instid1(VALU_DEP_3)
	v_dual_fmac_f32 v26, v32, v44 :: v_dual_fmac_f32 v27, v37, v45
	v_fmac_f32_e32 v12, v41, v45
	s_delay_alu instid0(VALU_DEP_3) | instskip(NEXT) | instid1(VALU_DEP_3)
	v_fmac_f32_e32 v25, v29, v45
	v_dual_fmac_f32 v26, v33, v45 :: v_dual_fmac_f32 v27, v38, v46
	s_delay_alu instid0(VALU_DEP_3) | instskip(NEXT) | instid1(VALU_DEP_3)
	v_fmac_f32_e32 v12, v42, v46
	v_fmac_f32_e32 v25, v30, v46
	s_delay_alu instid0(VALU_DEP_3) | instskip(NEXT) | instid1(VALU_DEP_3)
	v_dual_fmac_f32 v26, v34, v46 :: v_dual_fmac_f32 v27, v39, v47
	v_fmac_f32_e32 v12, v43, v47
	s_delay_alu instid0(VALU_DEP_3) | instskip(NEXT) | instid1(VALU_DEP_3)
	v_fmac_f32_e32 v25, v31, v47
	v_fmac_f32_e32 v26, v35, v47
	s_wait_alu 0xfffe
	s_and_not1_b32 exec_lo, exec_lo, s4
	s_cbranch_execnz .LBB43_19
; %bb.20:
	s_or_b32 exec_lo, exec_lo, s4
.LBB43_21:
	s_wait_alu 0xfffe
	s_or_b32 exec_lo, exec_lo, s3
	s_delay_alu instid0(SALU_CYCLE_1)
	s_mov_b32 s10, exec_lo
	v_cmpx_lt_u64_e32 0x5f, v[19:20]
	s_cbranch_execz .LBB43_25
; %bb.22:
	v_lshlrev_b64_e32 v[19:20], 3, v[15:16]
	s_mov_b32 s11, 0
	s_delay_alu instid0(VALU_DEP_1) | instskip(SKIP_1) | instid1(VALU_DEP_2)
	v_add_co_u32 v11, vcc_lo, s8, v19
	s_wait_alu 0xfffd
	v_add_co_ci_u32_e64 v20, null, s9, v20, vcc_lo
	s_delay_alu instid0(VALU_DEP_2) | instskip(SKIP_1) | instid1(VALU_DEP_2)
	v_add_co_u32 v19, vcc_lo, 0x200, v11
	s_wait_alu 0xfffd
	v_add_co_ci_u32_e64 v20, null, 0, v20, vcc_lo
.LBB43_23:                              ; =>This Inner Loop Header: Depth=1
	s_clause 0x2
	global_load_b64 v[88:89], v[19:20], off offset:-512
	global_load_b64 v[90:91], v[19:20], off offset:-256
	global_load_b64 v[92:93], v[19:20], off
	s_clause 0xb
	global_load_b128 v[21:24], v[17:18], off offset:48
	global_load_b128 v[28:31], v[17:18], off offset:32
	;; [unrolled: 1-line block ×3, first 2 shown]
	global_load_b128 v[36:39], v[17:18], off
	global_load_b128 v[40:43], v[17:18], off offset:2096
	global_load_b128 v[44:47], v[17:18], off offset:2080
	;; [unrolled: 1-line block ×8, first 2 shown]
	global_load_b64 v[96:97], v[19:20], off offset:256
	s_clause 0x3
	global_load_b128 v[72:75], v[17:18], off offset:6192
	global_load_b128 v[76:79], v[17:18], off offset:6176
	;; [unrolled: 1-line block ×4, first 2 shown]
	v_add_co_u32 v19, s4, 0x400, v19
	s_wait_alu 0xf1ff
	v_add_co_ci_u32_e64 v20, null, 0, v20, s4
	s_wait_loadcnt 0x13
	v_sub_co_u32 v88, vcc_lo, v88, v1
	s_wait_alu 0xfffd
	v_sub_co_ci_u32_e64 v89, null, v89, v2, vcc_lo
	s_wait_loadcnt 0x12
	v_sub_co_u32 v90, vcc_lo, v90, v1
	s_wait_alu 0xfffd
	v_sub_co_ci_u32_e64 v91, null, v91, v2, vcc_lo
	v_lshlrev_b64_e32 v[88:89], 4, v[88:89]
	s_wait_loadcnt 0x11
	v_sub_co_u32 v98, vcc_lo, v92, v1
	s_wait_alu 0xfffd
	v_sub_co_ci_u32_e64 v99, null, v93, v2, vcc_lo
	v_lshlrev_b64_e32 v[91:92], 4, v[90:91]
	s_wait_kmcnt 0x0
	v_add_co_u32 v88, vcc_lo, s6, v88
	s_wait_alu 0xfffd
	v_add_co_ci_u32_e64 v89, null, s7, v89, vcc_lo
	s_delay_alu instid0(VALU_DEP_3)
	v_add_co_u32 v93, vcc_lo, s6, v91
	global_load_b128 v[88:91], v[88:89], off
	s_wait_alu 0xfffd
	v_add_co_ci_u32_e64 v94, null, s7, v92, vcc_lo
	s_wait_loadcnt 0x5
	v_sub_co_u32 v96, vcc_lo, v96, v1
	s_wait_alu 0xfffd
	v_sub_co_ci_u32_e64 v97, null, v97, v2, vcc_lo
	global_load_b128 v[92:95], v[93:94], off
	v_lshlrev_b64_e32 v[96:97], 4, v[96:97]
	s_delay_alu instid0(VALU_DEP_1) | instskip(SKIP_1) | instid1(VALU_DEP_2)
	v_add_co_u32 v96, vcc_lo, s6, v96
	s_wait_alu 0xfffd
	v_add_co_ci_u32_e64 v97, null, s7, v97, vcc_lo
	v_add_co_u32 v17, vcc_lo, 0x2000, v17
	s_wait_alu 0xfffd
	v_add_co_ci_u32_e64 v18, null, 0, v18, vcc_lo
	s_wait_loadcnt 0x1
	v_fmac_f32_e32 v26, v28, v88
	v_fmac_f32_e32 v27, v32, v88
	;; [unrolled: 1-line block ×3, first 2 shown]
	s_delay_alu instid0(VALU_DEP_3) | instskip(NEXT) | instid1(VALU_DEP_3)
	v_fmac_f32_e32 v26, v29, v89
	v_dual_fmac_f32 v12, v36, v88 :: v_dual_fmac_f32 v27, v33, v89
	s_delay_alu instid0(VALU_DEP_3) | instskip(NEXT) | instid1(VALU_DEP_2)
	v_fmac_f32_e32 v25, v22, v89
	v_dual_fmac_f32 v12, v37, v89 :: v_dual_fmac_f32 v27, v34, v90
	v_lshlrev_b64_e32 v[36:37], 4, v[98:99]
	global_load_b128 v[96:99], v[96:97], off
	v_fmac_f32_e32 v26, v30, v90
	v_dual_fmac_f32 v12, v38, v90 :: v_dual_fmac_f32 v27, v35, v91
	v_fmac_f32_e32 v25, v23, v90
	v_add_co_u32 v36, s3, s6, v36
	s_wait_alu 0xf1ff
	v_add_co_ci_u32_e64 v37, null, s7, v37, s3
	v_fmac_f32_e32 v12, v39, v91
	v_add_co_u32 v15, s3, 0x80, v15
	global_load_b128 v[36:39], v[36:37], off
	s_wait_loadcnt 0x2
	v_dual_fmac_f32 v26, v31, v91 :: v_dual_fmac_f32 v27, v48, v92
	v_fmac_f32_e32 v12, v52, v92
	s_wait_alu 0xf1ff
	v_add_co_ci_u32_e64 v16, null, 0, v16, s3
	s_delay_alu instid0(VALU_DEP_3) | instskip(NEXT) | instid1(VALU_DEP_3)
	v_fmac_f32_e32 v27, v49, v93
	v_dual_fmac_f32 v25, v24, v91 :: v_dual_fmac_f32 v12, v53, v93
	s_delay_alu instid0(VALU_DEP_3) | instskip(NEXT) | instid1(VALU_DEP_3)
	v_cmp_ge_i64_e32 vcc_lo, v[15:16], v[7:8]
	v_fmac_f32_e32 v27, v50, v94
	s_delay_alu instid0(VALU_DEP_3)
	v_fmac_f32_e32 v25, v40, v92
	v_fmac_f32_e32 v26, v44, v92
	;; [unrolled: 1-line block ×3, first 2 shown]
	s_wait_alu 0xfffe
	s_or_b32 s11, vcc_lo, s11
	v_fmac_f32_e32 v27, v51, v95
	v_fmac_f32_e32 v25, v41, v93
	;; [unrolled: 1-line block ×3, first 2 shown]
	s_delay_alu instid0(VALU_DEP_2) | instskip(NEXT) | instid1(VALU_DEP_1)
	v_dual_fmac_f32 v12, v55, v95 :: v_dual_fmac_f32 v25, v42, v94
	v_dual_fmac_f32 v26, v46, v94 :: v_dual_fmac_f32 v25, v43, v95
	s_wait_loadcnt 0x0
	s_delay_alu instid0(VALU_DEP_1) | instskip(NEXT) | instid1(VALU_DEP_3)
	v_dual_fmac_f32 v26, v47, v95 :: v_dual_fmac_f32 v27, v64, v36
	v_fmac_f32_e32 v12, v68, v36
	s_delay_alu instid0(VALU_DEP_3) | instskip(NEXT) | instid1(VALU_DEP_3)
	v_fmac_f32_e32 v25, v56, v36
	v_dual_fmac_f32 v26, v60, v36 :: v_dual_fmac_f32 v27, v65, v37
	s_delay_alu instid0(VALU_DEP_3) | instskip(NEXT) | instid1(VALU_DEP_3)
	v_fmac_f32_e32 v12, v69, v37
	v_fmac_f32_e32 v25, v57, v37
	s_delay_alu instid0(VALU_DEP_3) | instskip(NEXT) | instid1(VALU_DEP_3)
	v_dual_fmac_f32 v26, v61, v37 :: v_dual_fmac_f32 v27, v66, v38
	v_fmac_f32_e32 v12, v70, v38
	s_delay_alu instid0(VALU_DEP_3) | instskip(NEXT) | instid1(VALU_DEP_3)
	v_fmac_f32_e32 v25, v58, v38
	v_dual_fmac_f32 v26, v62, v38 :: v_dual_fmac_f32 v27, v67, v39
	s_delay_alu instid0(VALU_DEP_3) | instskip(NEXT) | instid1(VALU_DEP_3)
	v_fmac_f32_e32 v12, v71, v39
	v_fmac_f32_e32 v25, v59, v39
	s_delay_alu instid0(VALU_DEP_3) | instskip(NEXT) | instid1(VALU_DEP_3)
	;; [unrolled: 9-line block ×3, first 2 shown]
	v_dual_fmac_f32 v26, v77, v97 :: v_dual_fmac_f32 v27, v82, v98
	v_fmac_f32_e32 v12, v86, v98
	s_delay_alu instid0(VALU_DEP_3) | instskip(NEXT) | instid1(VALU_DEP_3)
	v_fmac_f32_e32 v25, v74, v98
	v_dual_fmac_f32 v26, v78, v98 :: v_dual_fmac_f32 v27, v83, v99
	s_delay_alu instid0(VALU_DEP_3) | instskip(NEXT) | instid1(VALU_DEP_3)
	v_fmac_f32_e32 v12, v87, v99
	v_fmac_f32_e32 v25, v75, v99
	s_delay_alu instid0(VALU_DEP_3)
	v_fmac_f32_e32 v26, v79, v99
	s_wait_alu 0xfffe
	s_and_not1_b32 exec_lo, exec_lo, s11
	s_cbranch_execnz .LBB43_23
; %bb.24:
	s_or_b32 exec_lo, exec_lo, s11
.LBB43_25:
	s_wait_alu 0xfffe
	s_or_b32 exec_lo, exec_lo, s10
.LBB43_26:
	s_wait_alu 0xfffe
	s_or_b32 exec_lo, exec_lo, s5
	s_cbranch_execz .LBB43_28
	s_branch .LBB43_39
.LBB43_27:
                                        ; implicit-def: $vgpr25
                                        ; implicit-def: $vgpr26
                                        ; implicit-def: $vgpr27
                                        ; implicit-def: $vgpr12
.LBB43_28:
	v_dual_mov_b32 v25, 0 :: v_dual_mov_b32 v26, 0
	v_dual_mov_b32 v27, 0 :: v_dual_mov_b32 v12, 0
	s_and_saveexec_b32 s3, s2
	s_cbranch_execz .LBB43_38
; %bb.29:
	v_or_b32_e32 v11, 32, v0
	v_sub_co_u32 v15, s2, v1, v0
	s_wait_alu 0xf1ff
	v_subrev_co_ci_u32_e64 v16, null, 0, v2, s2
	s_delay_alu instid0(VALU_DEP_3)
	v_sub_co_u32 v11, vcc_lo, v11, v1
	s_wait_alu 0xfffd
	v_sub_co_ci_u32_e64 v12, null, 0, v2, vcc_lo
	s_mov_b32 s2, exec_lo
	v_add_co_u32 v11, vcc_lo, v11, v13
	s_wait_alu 0xfffd
	v_add_co_ci_u32_e64 v12, null, v12, v14, vcc_lo
	v_not_b32_e32 v13, v13
	v_not_b32_e32 v14, v14
	s_delay_alu instid0(VALU_DEP_3)
	v_cmp_gt_i64_e32 vcc_lo, v[11:12], v[7:8]
	s_wait_alu 0xfffd
	v_cndmask_b32_e32 v17, v8, v12, vcc_lo
	v_cndmask_b32_e32 v11, v7, v11, vcc_lo
	v_add_co_u32 v12, vcc_lo, v15, v13
	s_wait_alu 0xfffd
	v_add_co_ci_u32_e64 v14, null, v16, v14, vcc_lo
	s_delay_alu instid0(VALU_DEP_2) | instskip(SKIP_2) | instid1(VALU_DEP_3)
	v_add_co_u32 v13, vcc_lo, v12, v11
	v_mov_b32_e32 v12, 0
	s_wait_alu 0xfffd
	v_add_co_ci_u32_e64 v14, null, v14, v17, vcc_lo
	s_delay_alu instid0(VALU_DEP_3) | instskip(NEXT) | instid1(VALU_DEP_3)
	v_and_b32_e32 v11, 0x60, v13
	v_dual_mov_b32 v27, v12 :: v_dual_mov_b32 v26, v12
	v_mov_b32_e32 v25, v12
	s_delay_alu instid0(VALU_DEP_3)
	v_cmpx_ne_u64_e32 0x60, v[11:12]
	s_cbranch_execz .LBB43_33
; %bb.30:
	v_lshrrev_b32_e32 v11, 5, v13
	v_mov_b32_e32 v25, 0
	v_dual_mov_b32 v27, 0 :: v_dual_mov_b32 v26, 0
	s_delay_alu instid0(VALU_DEP_3) | instskip(SKIP_1) | instid1(VALU_DEP_2)
	v_add_nc_u32_e32 v15, 1, v11
	v_lshlrev_b64_e32 v[11:12], 3, v[5:6]
	v_and_b32_e32 v17, 3, v15
	s_delay_alu instid0(VALU_DEP_2) | instskip(SKIP_1) | instid1(VALU_DEP_3)
	v_add_co_u32 v15, vcc_lo, s8, v11
	s_wait_alu 0xfffd
	v_add_co_ci_u32_e64 v16, null, s9, v12, vcc_lo
	s_delay_alu instid0(VALU_DEP_3)
	v_sub_co_u32 v17, s4, 0, v17
	s_wait_alu 0xf1ff
	v_sub_co_ci_u32_e64 v18, null, 0, 0, s4
	v_mov_b32_e32 v12, 0
	s_mov_b32 s4, 0
.LBB43_31:                              ; =>This Inner Loop Header: Depth=1
	global_load_b64 v[23:24], v[15:16], off
	s_clause 0x1
	global_load_b128 v[19:22], v[9:10], off offset:16
	global_load_b128 v[28:31], v[9:10], off
	s_wait_loadcnt 0x2
	v_sub_co_u32 v23, vcc_lo, v23, v1
	s_wait_alu 0xfffd
	v_sub_co_ci_u32_e64 v24, null, v24, v2, vcc_lo
	s_delay_alu instid0(VALU_DEP_1) | instskip(SKIP_1) | instid1(VALU_DEP_1)
	v_lshlrev_b64_e32 v[23:24], 4, v[23:24]
	s_wait_kmcnt 0x0
	v_add_co_u32 v23, vcc_lo, s6, v23
	s_wait_alu 0xfffd
	s_delay_alu instid0(VALU_DEP_2)
	v_add_co_ci_u32_e64 v24, null, s7, v24, vcc_lo
	global_load_b128 v[32:35], v[23:24], off
	s_clause 0x1
	global_load_b128 v[36:39], v[9:10], off offset:32
	global_load_b128 v[40:43], v[9:10], off offset:48
	v_add_co_u32 v9, vcc_lo, 0x800, v9
	s_wait_alu 0xfffd
	v_add_co_ci_u32_e64 v10, null, 0, v10, vcc_lo
	v_add_co_u32 v5, vcc_lo, v5, 32
	s_wait_alu 0xfffd
	v_add_co_ci_u32_e64 v6, null, 0, v6, vcc_lo
	;; [unrolled: 3-line block ×4, first 2 shown]
	s_delay_alu instid0(VALU_DEP_1) | instskip(SKIP_4) | instid1(VALU_DEP_1)
	v_cmp_eq_u64_e32 vcc_lo, 0, v[17:18]
	s_wait_alu 0xfffe
	s_or_b32 s4, vcc_lo, s4
	s_wait_loadcnt 0x2
	v_fmac_f32_e32 v25, v31, v32
	v_dual_fmac_f32 v12, v28, v32 :: v_dual_fmac_f32 v25, v22, v33
	s_delay_alu instid0(VALU_DEP_1) | instskip(SKIP_1) | instid1(VALU_DEP_2)
	v_dual_fmac_f32 v27, v29, v32 :: v_dual_fmac_f32 v12, v19, v33
	s_wait_loadcnt 0x1
	v_dual_fmac_f32 v26, v30, v32 :: v_dual_fmac_f32 v25, v39, v34
	s_delay_alu instid0(VALU_DEP_2) | instskip(SKIP_1) | instid1(VALU_DEP_2)
	v_fmac_f32_e32 v27, v20, v33
	s_wait_loadcnt 0x0
	v_dual_fmac_f32 v26, v21, v33 :: v_dual_fmac_f32 v25, v43, v35
	s_delay_alu instid0(VALU_DEP_2) | instskip(SKIP_1) | instid1(VALU_DEP_2)
	v_fmac_f32_e32 v27, v37, v34
	v_fmac_f32_e32 v12, v36, v34
	v_dual_fmac_f32 v26, v38, v34 :: v_dual_fmac_f32 v27, v41, v35
	s_delay_alu instid0(VALU_DEP_2) | instskip(NEXT) | instid1(VALU_DEP_2)
	v_fmac_f32_e32 v12, v40, v35
	v_fmac_f32_e32 v26, v42, v35
	s_wait_alu 0xfffe
	s_and_not1_b32 exec_lo, exec_lo, s4
	s_cbranch_execnz .LBB43_31
; %bb.32:
	s_or_b32 exec_lo, exec_lo, s4
.LBB43_33:
	s_wait_alu 0xfffe
	s_or_b32 exec_lo, exec_lo, s2
	s_delay_alu instid0(SALU_CYCLE_1)
	s_mov_b32 s4, exec_lo
	v_cmpx_lt_u64_e32 0x5f, v[13:14]
	s_cbranch_execz .LBB43_37
; %bb.34:
	v_lshlrev_b64_e32 v[13:14], 3, v[5:6]
	s_mov_b32 s5, 0
	s_delay_alu instid0(VALU_DEP_1) | instskip(SKIP_1) | instid1(VALU_DEP_2)
	v_add_co_u32 v11, vcc_lo, s8, v13
	s_wait_alu 0xfffd
	v_add_co_ci_u32_e64 v14, null, s9, v14, vcc_lo
	s_delay_alu instid0(VALU_DEP_2) | instskip(SKIP_1) | instid1(VALU_DEP_2)
	v_add_co_u32 v13, vcc_lo, 0x200, v11
	s_wait_alu 0xfffd
	v_add_co_ci_u32_e64 v14, null, 0, v14, vcc_lo
.LBB43_35:                              ; =>This Inner Loop Header: Depth=1
	s_clause 0x3
	global_load_b64 v[23:24], v[13:14], off offset:-512
	global_load_b64 v[76:77], v[13:14], off offset:-256
	global_load_b64 v[79:80], v[13:14], off
	global_load_b64 v[87:88], v[13:14], off offset:256
	s_clause 0xd
	global_load_b128 v[15:18], v[9:10], off offset:48
	global_load_b128 v[19:22], v[9:10], off offset:32
	;; [unrolled: 1-line block ×3, first 2 shown]
	global_load_b128 v[32:35], v[9:10], off
	global_load_b128 v[36:39], v[9:10], off offset:2096
	global_load_b128 v[40:43], v[9:10], off offset:2080
	;; [unrolled: 1-line block ×10, first 2 shown]
	s_wait_loadcnt 0x11
	v_sub_co_u32 v23, vcc_lo, v23, v1
	s_wait_alu 0xfffd
	v_sub_co_ci_u32_e64 v24, null, v24, v2, vcc_lo
	s_wait_loadcnt 0x10
	v_sub_co_u32 v81, vcc_lo, v76, v1
	s_wait_alu 0xfffd
	v_sub_co_ci_u32_e64 v82, null, v77, v2, vcc_lo
	v_lshlrev_b64_e32 v[23:24], 4, v[23:24]
	s_wait_loadcnt 0xf
	v_sub_co_u32 v84, vcc_lo, v79, v1
	s_wait_alu 0xfffd
	v_sub_co_ci_u32_e64 v85, null, v80, v2, vcc_lo
	s_wait_kmcnt 0x0
	v_add_co_u32 v23, s2, s6, v23
	s_wait_alu 0xf1ff
	v_add_co_ci_u32_e64 v24, null, s7, v24, s2
	v_lshlrev_b64_e32 v[84:85], 4, v[84:85]
	global_load_b128 v[76:79], v[23:24], off
	v_lshlrev_b64_e32 v[23:24], 4, v[81:82]
	v_add_co_u32 v84, s2, s6, v84
	s_wait_alu 0xf1ff
	v_add_co_ci_u32_e64 v85, null, s7, v85, s2
	s_delay_alu instid0(VALU_DEP_3)
	v_add_co_u32 v23, vcc_lo, s6, v23
	s_wait_alu 0xfffd
	v_add_co_ci_u32_e64 v24, null, s7, v24, vcc_lo
	global_load_b128 v[80:83], v[23:24], off
	s_wait_loadcnt 0x10
	v_sub_co_u32 v23, vcc_lo, v87, v1
	global_load_b128 v[84:87], v[84:85], off
	s_wait_alu 0xfffd
	v_sub_co_ci_u32_e64 v24, null, v88, v2, vcc_lo
	s_delay_alu instid0(VALU_DEP_1) | instskip(NEXT) | instid1(VALU_DEP_1)
	v_lshlrev_b64_e32 v[23:24], 4, v[23:24]
	v_add_co_u32 v23, vcc_lo, s6, v23
	s_wait_alu 0xfffd
	s_delay_alu instid0(VALU_DEP_2)
	v_add_co_ci_u32_e64 v24, null, s7, v24, vcc_lo
	global_load_b128 v[88:91], v[23:24], off
	global_load_b128 v[92:95], v[9:10], off offset:6176
	s_wait_loadcnt 0x4
	v_fmac_f32_e32 v27, v33, v76
	v_fmac_f32_e32 v12, v32, v76
	v_fmac_f32_e32 v25, v35, v76
	v_fmac_f32_e32 v26, v34, v76
	global_load_b128 v[32:35], v[9:10], off offset:6192
	v_fmac_f32_e32 v27, v29, v77
	v_fmac_f32_e32 v12, v28, v77
	;; [unrolled: 1-line block ×4, first 2 shown]
	v_add_co_u32 v9, vcc_lo, 0x2000, v9
	v_fmac_f32_e32 v27, v20, v78
	v_fmac_f32_e32 v12, v19, v78
	;; [unrolled: 1-line block ×4, first 2 shown]
	s_wait_alu 0xfffd
	v_add_co_ci_u32_e64 v10, null, 0, v10, vcc_lo
	v_fmac_f32_e32 v27, v16, v79
	v_fmac_f32_e32 v12, v15, v79
	;; [unrolled: 1-line block ×4, first 2 shown]
	v_add_co_u32 v5, vcc_lo, 0x80, v5
	s_wait_loadcnt 0x4
	v_fmac_f32_e32 v27, v49, v80
	v_fmac_f32_e32 v12, v48, v80
	;; [unrolled: 1-line block ×4, first 2 shown]
	s_wait_alu 0xfffd
	v_add_co_ci_u32_e64 v6, null, 0, v6, vcc_lo
	v_fmac_f32_e32 v27, v45, v81
	v_fmac_f32_e32 v12, v44, v81
	;; [unrolled: 1-line block ×4, first 2 shown]
	v_add_co_u32 v13, vcc_lo, 0x400, v13
	v_fmac_f32_e32 v27, v41, v82
	v_fmac_f32_e32 v12, v40, v82
	;; [unrolled: 1-line block ×4, first 2 shown]
	s_wait_alu 0xfffd
	v_add_co_ci_u32_e64 v14, null, 0, v14, vcc_lo
	v_fmac_f32_e32 v27, v37, v83
	v_fmac_f32_e32 v12, v36, v83
	;; [unrolled: 1-line block ×4, first 2 shown]
	v_cmp_ge_i64_e32 vcc_lo, v[5:6], v[7:8]
	s_wait_loadcnt 0x3
	v_fmac_f32_e32 v27, v65, v84
	v_fmac_f32_e32 v12, v64, v84
	;; [unrolled: 1-line block ×3, first 2 shown]
	s_delay_alu instid0(VALU_DEP_3) | instskip(NEXT) | instid1(VALU_DEP_3)
	v_dual_fmac_f32 v26, v66, v84 :: v_dual_fmac_f32 v27, v61, v85
	v_fmac_f32_e32 v12, v60, v85
	s_delay_alu instid0(VALU_DEP_3) | instskip(NEXT) | instid1(VALU_DEP_3)
	v_fmac_f32_e32 v25, v63, v85
	v_fmac_f32_e32 v26, v62, v85
	s_wait_alu 0xfffe
	s_or_b32 s5, vcc_lo, s5
	v_fmac_f32_e32 v27, v57, v86
	v_fmac_f32_e32 v12, v56, v86
	;; [unrolled: 1-line block ×3, first 2 shown]
	s_delay_alu instid0(VALU_DEP_3) | instskip(NEXT) | instid1(VALU_DEP_3)
	v_dual_fmac_f32 v26, v58, v86 :: v_dual_fmac_f32 v27, v53, v87
	v_fmac_f32_e32 v12, v52, v87
	s_delay_alu instid0(VALU_DEP_3) | instskip(SKIP_1) | instid1(VALU_DEP_3)
	v_fmac_f32_e32 v25, v55, v87
	s_wait_loadcnt 0x2
	v_dual_fmac_f32 v26, v54, v87 :: v_dual_fmac_f32 v27, v73, v88
	s_delay_alu instid0(VALU_DEP_3) | instskip(NEXT) | instid1(VALU_DEP_3)
	v_fmac_f32_e32 v12, v72, v88
	v_fmac_f32_e32 v25, v75, v88
	s_delay_alu instid0(VALU_DEP_3) | instskip(NEXT) | instid1(VALU_DEP_3)
	v_dual_fmac_f32 v26, v74, v88 :: v_dual_fmac_f32 v27, v69, v89
	v_fmac_f32_e32 v12, v68, v89
	s_delay_alu instid0(VALU_DEP_3) | instskip(SKIP_1) | instid1(VALU_DEP_3)
	v_fmac_f32_e32 v25, v71, v89
	s_wait_loadcnt 0x1
	v_dual_fmac_f32 v26, v70, v89 :: v_dual_fmac_f32 v27, v93, v90
	s_delay_alu instid0(VALU_DEP_3) | instskip(NEXT) | instid1(VALU_DEP_3)
	v_fmac_f32_e32 v12, v92, v90
	v_fmac_f32_e32 v25, v95, v90
	s_wait_loadcnt 0x0
	s_delay_alu instid0(VALU_DEP_1) | instskip(SKIP_2) | instid1(VALU_DEP_3)
	v_dual_fmac_f32 v26, v94, v90 :: v_dual_fmac_f32 v25, v35, v91
	v_fmac_f32_e32 v27, v33, v91
	v_fmac_f32_e32 v12, v32, v91
	;; [unrolled: 1-line block ×3, first 2 shown]
	s_wait_alu 0xfffe
	s_and_not1_b32 exec_lo, exec_lo, s5
	s_cbranch_execnz .LBB43_35
; %bb.36:
	s_or_b32 exec_lo, exec_lo, s5
.LBB43_37:
	s_wait_alu 0xfffe
	s_or_b32 exec_lo, exec_lo, s4
.LBB43_38:
	s_wait_alu 0xfffe
	s_or_b32 exec_lo, exec_lo, s3
.LBB43_39:
	v_mbcnt_lo_u32_b32 v1, -1, 0
	s_mov_b32 s2, -1
	s_delay_alu instid0(VALU_DEP_1) | instskip(SKIP_1) | instid1(VALU_DEP_2)
	v_xor_b32_e32 v2, 16, v1
	v_xor_b32_e32 v8, 8, v1
	v_cmp_gt_i32_e32 vcc_lo, 32, v2
	s_wait_alu 0xfffd
	v_cndmask_b32_e32 v2, v1, v2, vcc_lo
	s_delay_alu instid0(VALU_DEP_3) | instskip(NEXT) | instid1(VALU_DEP_2)
	v_cmp_gt_i32_e32 vcc_lo, 32, v8
	v_lshlrev_b32_e32 v2, 2, v2
	ds_bpermute_b32 v7, v2, v26
	s_wait_dscnt 0x0
	v_add_f32_e32 v7, v26, v7
	ds_bpermute_b32 v5, v2, v12
	s_wait_alu 0xfffd
	v_cndmask_b32_e32 v8, v1, v8, vcc_lo
	ds_bpermute_b32 v6, v2, v27
	ds_bpermute_b32 v2, v2, v25
	s_wait_dscnt 0x2
	v_dual_add_f32 v5, v12, v5 :: v_dual_lshlrev_b32 v8, 2, v8
	v_xor_b32_e32 v12, 4, v1
	s_wait_dscnt 0x0
	v_add_f32_e32 v2, v25, v2
	ds_bpermute_b32 v9, v8, v5
	v_cmp_gt_i32_e32 vcc_lo, 32, v12
	s_wait_dscnt 0x0
	v_add_f32_e32 v5, v5, v9
	ds_bpermute_b32 v11, v8, v7
	v_add_f32_e32 v6, v27, v6
	ds_bpermute_b32 v10, v8, v6
	ds_bpermute_b32 v8, v8, v2
	s_wait_dscnt 0x2
	s_wait_alu 0xfffd
	v_dual_add_f32 v7, v7, v11 :: v_dual_cndmask_b32 v12, v1, v12
	s_delay_alu instid0(VALU_DEP_1)
	v_lshlrev_b32_e32 v12, 2, v12
	s_wait_dscnt 0x0
	v_add_f32_e32 v2, v2, v8
	ds_bpermute_b32 v8, v12, v5
	ds_bpermute_b32 v11, v12, v2
	s_wait_dscnt 0x1
	v_dual_add_f32 v5, v5, v8 :: v_dual_add_f32 v6, v6, v10
	ds_bpermute_b32 v10, v12, v7
	s_wait_dscnt 0x1
	v_add_f32_e32 v8, v2, v11
	ds_bpermute_b32 v9, v12, v6
	v_xor_b32_e32 v12, 2, v1
	s_delay_alu instid0(VALU_DEP_1) | instskip(SKIP_3) | instid1(VALU_DEP_1)
	v_cmp_gt_i32_e32 vcc_lo, 32, v12
	s_wait_alu 0xfffd
	v_cndmask_b32_e32 v12, v1, v12, vcc_lo
	s_wait_dscnt 0x1
	v_dual_add_f32 v7, v7, v10 :: v_dual_lshlrev_b32 v12, 2, v12
	s_wait_dscnt 0x0
	v_add_f32_e32 v6, v6, v9
	ds_bpermute_b32 v2, v12, v5
	ds_bpermute_b32 v10, v12, v7
	;; [unrolled: 1-line block ×4, first 2 shown]
	v_xor_b32_e32 v12, 1, v1
	s_delay_alu instid0(VALU_DEP_1) | instskip(SKIP_4) | instid1(VALU_DEP_2)
	v_cmp_gt_i32_e32 vcc_lo, 32, v12
	s_wait_alu 0xfffd
	v_cndmask_b32_e32 v1, v1, v12, vcc_lo
	v_cmp_eq_u32_e32 vcc_lo, 31, v0
	s_wait_dscnt 0x3
	v_dual_add_f32 v1, v5, v2 :: v_dual_lshlrev_b32 v12, 2, v1
	s_wait_dscnt 0x0
	v_dual_add_f32 v5, v7, v10 :: v_dual_add_f32 v2, v6, v9
	v_add_f32_e32 v6, v8, v11
	ds_bpermute_b32 v7, v12, v1
	ds_bpermute_b32 v9, v12, v5
	ds_bpermute_b32 v8, v12, v2
	ds_bpermute_b32 v10, v12, v6
	s_and_b32 exec_lo, exec_lo, vcc_lo
	s_cbranch_execz .LBB43_10
; %bb.40:
	s_load_b64 s[0:1], s[0:1], 0x58
	s_wait_dscnt 0x1
	v_dual_add_f32 v0, v1, v7 :: v_dual_add_f32 v1, v2, v8
	s_wait_dscnt 0x0
	v_add_f32_e32 v6, v6, v10
	s_cmp_eq_f32 s16, 0
	s_delay_alu instid0(VALU_DEP_2) | instskip(SKIP_3) | instid1(VALU_DEP_3)
	v_dual_mul_f32 v0, s12, v0 :: v_dual_mul_f32 v1, s12, v1
	v_add_f32_e32 v2, v5, v9
	v_lshlrev_b64_e32 v[4:5], 4, v[3:4]
	v_mul_f32_e32 v3, s12, v6
	v_mul_f32_e32 v2, s12, v2
	s_cbranch_scc0 .LBB43_42
; %bb.41:
	s_wait_kmcnt 0x0
	s_delay_alu instid0(VALU_DEP_3)
	v_add_co_u32 v6, vcc_lo, s0, v4
	s_wait_alu 0xfffd
	v_add_co_ci_u32_e64 v7, null, s1, v5, vcc_lo
	s_mov_b32 s2, 0
	global_store_b128 v[6:7], v[0:3], off
.LBB43_42:
	s_wait_alu 0xfffe
	s_and_not1_b32 vcc_lo, exec_lo, s2
	s_wait_alu 0xfffe
	s_cbranch_vccnz .LBB43_10
; %bb.43:
	s_wait_kmcnt 0x0
	v_add_co_u32 v8, vcc_lo, s0, v4
	s_wait_alu 0xfffd
	v_add_co_ci_u32_e64 v9, null, s1, v5, vcc_lo
	global_load_b128 v[4:7], v[8:9], off
	s_wait_loadcnt 0x0
	v_dual_fmac_f32 v0, s16, v4 :: v_dual_fmac_f32 v1, s16, v5
	v_dual_fmac_f32 v2, s16, v6 :: v_dual_fmac_f32 v3, s16, v7
	global_store_b128 v[8:9], v[0:3], off
	s_nop 0
	s_sendmsg sendmsg(MSG_DEALLOC_VGPRS)
	s_endpgm
	.section	.rodata,"a",@progbits
	.p2align	6, 0x0
	.amdhsa_kernel _ZN9rocsparseL18bsrxmvn_4x4_kernelILj128ELj32EfllfffEEvT3_20rocsparse_direction_NS_24const_host_device_scalarIT1_EES1_PKS1_PKT2_SA_S7_PKT4_PKT5_S5_PT6_21rocsparse_index_base_b
		.amdhsa_group_segment_fixed_size 0
		.amdhsa_private_segment_fixed_size 0
		.amdhsa_kernarg_size 104
		.amdhsa_user_sgpr_count 2
		.amdhsa_user_sgpr_dispatch_ptr 0
		.amdhsa_user_sgpr_queue_ptr 0
		.amdhsa_user_sgpr_kernarg_segment_ptr 1
		.amdhsa_user_sgpr_dispatch_id 0
		.amdhsa_user_sgpr_private_segment_size 0
		.amdhsa_wavefront_size32 1
		.amdhsa_uses_dynamic_stack 0
		.amdhsa_enable_private_segment 0
		.amdhsa_system_sgpr_workgroup_id_x 1
		.amdhsa_system_sgpr_workgroup_id_y 0
		.amdhsa_system_sgpr_workgroup_id_z 0
		.amdhsa_system_sgpr_workgroup_info 0
		.amdhsa_system_vgpr_workitem_id 0
		.amdhsa_next_free_vgpr 100
		.amdhsa_next_free_sgpr 18
		.amdhsa_reserve_vcc 1
		.amdhsa_float_round_mode_32 0
		.amdhsa_float_round_mode_16_64 0
		.amdhsa_float_denorm_mode_32 3
		.amdhsa_float_denorm_mode_16_64 3
		.amdhsa_fp16_overflow 0
		.amdhsa_workgroup_processor_mode 1
		.amdhsa_memory_ordered 1
		.amdhsa_forward_progress 1
		.amdhsa_inst_pref_size 37
		.amdhsa_round_robin_scheduling 0
		.amdhsa_exception_fp_ieee_invalid_op 0
		.amdhsa_exception_fp_denorm_src 0
		.amdhsa_exception_fp_ieee_div_zero 0
		.amdhsa_exception_fp_ieee_overflow 0
		.amdhsa_exception_fp_ieee_underflow 0
		.amdhsa_exception_fp_ieee_inexact 0
		.amdhsa_exception_int_div_zero 0
	.end_amdhsa_kernel
	.section	.text._ZN9rocsparseL18bsrxmvn_4x4_kernelILj128ELj32EfllfffEEvT3_20rocsparse_direction_NS_24const_host_device_scalarIT1_EES1_PKS1_PKT2_SA_S7_PKT4_PKT5_S5_PT6_21rocsparse_index_base_b,"axG",@progbits,_ZN9rocsparseL18bsrxmvn_4x4_kernelILj128ELj32EfllfffEEvT3_20rocsparse_direction_NS_24const_host_device_scalarIT1_EES1_PKS1_PKT2_SA_S7_PKT4_PKT5_S5_PT6_21rocsparse_index_base_b,comdat
.Lfunc_end43:
	.size	_ZN9rocsparseL18bsrxmvn_4x4_kernelILj128ELj32EfllfffEEvT3_20rocsparse_direction_NS_24const_host_device_scalarIT1_EES1_PKS1_PKT2_SA_S7_PKT4_PKT5_S5_PT6_21rocsparse_index_base_b, .Lfunc_end43-_ZN9rocsparseL18bsrxmvn_4x4_kernelILj128ELj32EfllfffEEvT3_20rocsparse_direction_NS_24const_host_device_scalarIT1_EES1_PKS1_PKT2_SA_S7_PKT4_PKT5_S5_PT6_21rocsparse_index_base_b
                                        ; -- End function
	.set _ZN9rocsparseL18bsrxmvn_4x4_kernelILj128ELj32EfllfffEEvT3_20rocsparse_direction_NS_24const_host_device_scalarIT1_EES1_PKS1_PKT2_SA_S7_PKT4_PKT5_S5_PT6_21rocsparse_index_base_b.num_vgpr, 100
	.set _ZN9rocsparseL18bsrxmvn_4x4_kernelILj128ELj32EfllfffEEvT3_20rocsparse_direction_NS_24const_host_device_scalarIT1_EES1_PKS1_PKT2_SA_S7_PKT4_PKT5_S5_PT6_21rocsparse_index_base_b.num_agpr, 0
	.set _ZN9rocsparseL18bsrxmvn_4x4_kernelILj128ELj32EfllfffEEvT3_20rocsparse_direction_NS_24const_host_device_scalarIT1_EES1_PKS1_PKT2_SA_S7_PKT4_PKT5_S5_PT6_21rocsparse_index_base_b.numbered_sgpr, 18
	.set _ZN9rocsparseL18bsrxmvn_4x4_kernelILj128ELj32EfllfffEEvT3_20rocsparse_direction_NS_24const_host_device_scalarIT1_EES1_PKS1_PKT2_SA_S7_PKT4_PKT5_S5_PT6_21rocsparse_index_base_b.num_named_barrier, 0
	.set _ZN9rocsparseL18bsrxmvn_4x4_kernelILj128ELj32EfllfffEEvT3_20rocsparse_direction_NS_24const_host_device_scalarIT1_EES1_PKS1_PKT2_SA_S7_PKT4_PKT5_S5_PT6_21rocsparse_index_base_b.private_seg_size, 0
	.set _ZN9rocsparseL18bsrxmvn_4x4_kernelILj128ELj32EfllfffEEvT3_20rocsparse_direction_NS_24const_host_device_scalarIT1_EES1_PKS1_PKT2_SA_S7_PKT4_PKT5_S5_PT6_21rocsparse_index_base_b.uses_vcc, 1
	.set _ZN9rocsparseL18bsrxmvn_4x4_kernelILj128ELj32EfllfffEEvT3_20rocsparse_direction_NS_24const_host_device_scalarIT1_EES1_PKS1_PKT2_SA_S7_PKT4_PKT5_S5_PT6_21rocsparse_index_base_b.uses_flat_scratch, 0
	.set _ZN9rocsparseL18bsrxmvn_4x4_kernelILj128ELj32EfllfffEEvT3_20rocsparse_direction_NS_24const_host_device_scalarIT1_EES1_PKS1_PKT2_SA_S7_PKT4_PKT5_S5_PT6_21rocsparse_index_base_b.has_dyn_sized_stack, 0
	.set _ZN9rocsparseL18bsrxmvn_4x4_kernelILj128ELj32EfllfffEEvT3_20rocsparse_direction_NS_24const_host_device_scalarIT1_EES1_PKS1_PKT2_SA_S7_PKT4_PKT5_S5_PT6_21rocsparse_index_base_b.has_recursion, 0
	.set _ZN9rocsparseL18bsrxmvn_4x4_kernelILj128ELj32EfllfffEEvT3_20rocsparse_direction_NS_24const_host_device_scalarIT1_EES1_PKS1_PKT2_SA_S7_PKT4_PKT5_S5_PT6_21rocsparse_index_base_b.has_indirect_call, 0
	.section	.AMDGPU.csdata,"",@progbits
; Kernel info:
; codeLenInByte = 4648
; TotalNumSgprs: 20
; NumVgprs: 100
; ScratchSize: 0
; MemoryBound: 0
; FloatMode: 240
; IeeeMode: 1
; LDSByteSize: 0 bytes/workgroup (compile time only)
; SGPRBlocks: 0
; VGPRBlocks: 12
; NumSGPRsForWavesPerEU: 20
; NumVGPRsForWavesPerEU: 100
; Occupancy: 12
; WaveLimiterHint : 1
; COMPUTE_PGM_RSRC2:SCRATCH_EN: 0
; COMPUTE_PGM_RSRC2:USER_SGPR: 2
; COMPUTE_PGM_RSRC2:TRAP_HANDLER: 0
; COMPUTE_PGM_RSRC2:TGID_X_EN: 1
; COMPUTE_PGM_RSRC2:TGID_Y_EN: 0
; COMPUTE_PGM_RSRC2:TGID_Z_EN: 0
; COMPUTE_PGM_RSRC2:TIDIG_COMP_CNT: 0
	.section	.text._ZN9rocsparseL18bsrxmvn_4x4_kernelILj128ELj64EfllfffEEvT3_20rocsparse_direction_NS_24const_host_device_scalarIT1_EES1_PKS1_PKT2_SA_S7_PKT4_PKT5_S5_PT6_21rocsparse_index_base_b,"axG",@progbits,_ZN9rocsparseL18bsrxmvn_4x4_kernelILj128ELj64EfllfffEEvT3_20rocsparse_direction_NS_24const_host_device_scalarIT1_EES1_PKS1_PKT2_SA_S7_PKT4_PKT5_S5_PT6_21rocsparse_index_base_b,comdat
	.globl	_ZN9rocsparseL18bsrxmvn_4x4_kernelILj128ELj64EfllfffEEvT3_20rocsparse_direction_NS_24const_host_device_scalarIT1_EES1_PKS1_PKT2_SA_S7_PKT4_PKT5_S5_PT6_21rocsparse_index_base_b ; -- Begin function _ZN9rocsparseL18bsrxmvn_4x4_kernelILj128ELj64EfllfffEEvT3_20rocsparse_direction_NS_24const_host_device_scalarIT1_EES1_PKS1_PKT2_SA_S7_PKT4_PKT5_S5_PT6_21rocsparse_index_base_b
	.p2align	8
	.type	_ZN9rocsparseL18bsrxmvn_4x4_kernelILj128ELj64EfllfffEEvT3_20rocsparse_direction_NS_24const_host_device_scalarIT1_EES1_PKS1_PKT2_SA_S7_PKT4_PKT5_S5_PT6_21rocsparse_index_base_b,@function
_ZN9rocsparseL18bsrxmvn_4x4_kernelILj128ELj64EfllfffEEvT3_20rocsparse_direction_NS_24const_host_device_scalarIT1_EES1_PKS1_PKT2_SA_S7_PKT4_PKT5_S5_PT6_21rocsparse_index_base_b: ; @_ZN9rocsparseL18bsrxmvn_4x4_kernelILj128ELj64EfllfffEEvT3_20rocsparse_direction_NS_24const_host_device_scalarIT1_EES1_PKS1_PKT2_SA_S7_PKT4_PKT5_S5_PT6_21rocsparse_index_base_b
; %bb.0:
	s_clause 0x2
	s_load_b64 s[2:3], s[0:1], 0x60
	s_load_b128 s[12:15], s[0:1], 0x10
	s_load_b64 s[16:17], s[0:1], 0x50
	s_wait_kmcnt 0x0
	s_bitcmp1_b32 s3, 0
	s_cselect_b32 s3, -1, 0
	s_delay_alu instid0(SALU_CYCLE_1)
	s_and_b32 vcc_lo, exec_lo, s3
	s_xor_b32 s3, s3, -1
	s_cbranch_vccnz .LBB44_2
; %bb.1:
	s_load_b32 s12, s[12:13], 0x0
.LBB44_2:
	s_and_not1_b32 vcc_lo, exec_lo, s3
	s_cbranch_vccnz .LBB44_4
; %bb.3:
	s_load_b32 s16, s[16:17], 0x0
.LBB44_4:
	s_wait_kmcnt 0x0
	s_cmp_neq_f32 s12, 0
	s_mov_b32 s6, 0
	s_cselect_b32 s3, -1, 0
	s_cmp_neq_f32 s16, 1.0
	s_cselect_b32 s4, -1, 0
	s_delay_alu instid0(SALU_CYCLE_1) | instskip(NEXT) | instid1(SALU_CYCLE_1)
	s_or_b32 s3, s3, s4
	s_and_not1_b32 vcc_lo, exec_lo, s3
	s_cbranch_vccnz .LBB44_10
; %bb.5:
	s_load_b64 s[4:5], s[0:1], 0x20
	v_lshrrev_b32_e32 v1, 6, v0
	v_mov_b32_e32 v6, 0
	s_delay_alu instid0(VALU_DEP_2)
	v_lshl_or_b32 v5, ttmp9, 1, v1
	s_wait_kmcnt 0x0
	s_cmp_lg_u64 s[4:5], 0
	s_cbranch_scc0 .LBB44_11
; %bb.6:
	s_mov_b32 s7, 0
                                        ; implicit-def: $vgpr3_vgpr4
                                        ; implicit-def: $vgpr1_vgpr2
	s_mov_b32 s3, exec_lo
	v_cmpx_gt_i64_e64 s[14:15], v[5:6]
	s_xor_b32 s8, exec_lo, s3
	s_cbranch_execz .LBB44_8
; %bb.7:
	v_lshlrev_b64_e32 v[1:2], 3, v[5:6]
	s_mov_b32 s3, 0
	s_mov_b32 s6, exec_lo
	s_delay_alu instid0(VALU_DEP_1) | instskip(NEXT) | instid1(VALU_DEP_1)
	v_add_co_u32 v1, vcc_lo, s4, v1
	v_add_co_ci_u32_e64 v2, null, s5, v2, vcc_lo
	global_load_b64 v[1:2], v[1:2], off
	s_wait_loadcnt 0x0
	v_sub_co_u32 v3, vcc_lo, v1, s2
	s_wait_alu 0xfffd
	v_subrev_co_ci_u32_e64 v4, null, 0, v2, vcc_lo
	v_dual_mov_b32 v1, s2 :: v_dual_mov_b32 v2, s3
.LBB44_8:
	s_or_b32 exec_lo, exec_lo, s8
	s_delay_alu instid0(SALU_CYCLE_1)
	s_and_b32 vcc_lo, exec_lo, s7
	s_wait_alu 0xfffe
	s_cbranch_vccnz .LBB44_12
.LBB44_9:
	s_and_saveexec_b32 s2, s6
	s_cbranch_execnz .LBB44_15
.LBB44_10:
	s_nop 0
	s_sendmsg sendmsg(MSG_DEALLOC_VGPRS)
	s_endpgm
.LBB44_11:
                                        ; implicit-def: $vgpr3_vgpr4
                                        ; implicit-def: $vgpr1_vgpr2
	s_cbranch_execz .LBB44_9
.LBB44_12:
	s_load_b64 s[4:5], s[0:1], 0x0
	s_wait_kmcnt 0x0
	v_cmp_gt_i64_e32 vcc_lo, s[4:5], v[5:6]
	s_and_saveexec_b32 s4, vcc_lo
; %bb.13:
	s_mov_b32 s3, 0
	s_or_b32 s6, s6, exec_lo
; %bb.14:
	s_wait_alu 0xfffe
	s_or_b32 exec_lo, exec_lo, s4
	v_dual_mov_b32 v1, s2 :: v_dual_mov_b32 v2, s3
	v_dual_mov_b32 v3, v5 :: v_dual_mov_b32 v4, v6
	s_and_saveexec_b32 s2, s6
	s_cbranch_execz .LBB44_10
.LBB44_15:
	s_load_b256 s[4:11], s[0:1], 0x28
	s_delay_alu instid0(VALU_DEP_1) | instskip(SKIP_3) | instid1(VALU_DEP_2)
	v_lshlrev_b64_e32 v[5:6], 3, v[3:4]
	v_dual_mov_b32 v25, 0 :: v_dual_and_b32 v0, 63, v0
	s_load_b32 s3, s[0:1], 0x8
	s_wait_kmcnt 0x0
	v_add_co_u32 v7, vcc_lo, s4, v5
	s_wait_alu 0xfffd
	v_add_co_ci_u32_e64 v8, null, s5, v6, vcc_lo
	v_add_co_u32 v5, vcc_lo, s6, v5
	s_wait_alu 0xfffd
	v_add_co_ci_u32_e64 v6, null, s7, v6, vcc_lo
	v_add_co_u32 v9, vcc_lo, v7, 8
	global_load_b64 v[13:14], v[7:8], off
	s_wait_alu 0xfffd
	v_add_co_ci_u32_e64 v10, null, 0, v8, vcc_lo
	s_cmp_eq_u64 s[6:7], 0
	s_load_b64 s[6:7], s[0:1], 0x48
	s_cselect_b32 vcc_lo, -1, 0
	s_cmp_eq_u32 s3, 1
	s_wait_alu 0xfffe
	v_dual_cndmask_b32 v6, v6, v10 :: v_dual_cndmask_b32 v5, v5, v9
	global_load_b64 v[7:8], v[5:6], off
	s_wait_loadcnt 0x1
	v_sub_co_u32 v5, vcc_lo, v13, v1
	s_wait_alu 0xfffd
	v_sub_co_ci_u32_e64 v6, null, v14, v2, vcc_lo
	s_delay_alu instid0(VALU_DEP_2) | instskip(SKIP_1) | instid1(VALU_DEP_2)
	v_add_co_u32 v5, vcc_lo, v5, v0
	s_wait_alu 0xfffd
	v_add_co_ci_u32_e64 v6, null, 0, v6, vcc_lo
	s_delay_alu instid0(VALU_DEP_1) | instskip(SKIP_4) | instid1(VALU_DEP_3)
	v_lshlrev_b64_e32 v[9:10], 6, v[5:6]
	s_wait_loadcnt 0x0
	v_sub_co_u32 v7, vcc_lo, v7, v1
	s_wait_alu 0xfffd
	v_sub_co_ci_u32_e64 v8, null, v8, v2, vcc_lo
	v_add_co_u32 v9, vcc_lo, s10, v9
	s_delay_alu instid0(VALU_DEP_2)
	v_cmp_lt_i64_e64 s2, v[5:6], v[7:8]
	s_wait_alu 0xfffd
	v_add_co_ci_u32_e64 v10, null, s11, v10, vcc_lo
	s_cbranch_scc1 .LBB44_27
; %bb.16:
	v_dual_mov_b32 v26, 0 :: v_dual_mov_b32 v27, 0
	v_mov_b32_e32 v12, 0
	s_and_saveexec_b32 s5, s2
	s_cbranch_execz .LBB44_26
; %bb.17:
	v_or_b32_e32 v11, 64, v0
	v_not_b32_e32 v16, v13
	v_sub_co_u32 v17, s3, v1, v0
	v_not_b32_e32 v15, v14
	s_delay_alu instid0(VALU_DEP_4)
	v_sub_co_u32 v11, vcc_lo, v11, v1
	s_wait_alu 0xfffd
	v_sub_co_ci_u32_e64 v12, null, 0, v2, vcc_lo
	s_wait_alu 0xf1ff
	v_subrev_co_ci_u32_e64 v18, null, 0, v2, s3
	v_add_co_u32 v11, vcc_lo, v11, v13
	s_wait_alu 0xfffd
	v_add_co_ci_u32_e64 v12, null, v12, v14, vcc_lo
	s_mov_b32 s3, exec_lo
	v_cmp_gt_i64_e32 vcc_lo, v[11:12], v[7:8]
	s_wait_alu 0xfffd
	v_dual_cndmask_b32 v20, v8, v12 :: v_dual_cndmask_b32 v11, v7, v11
	v_add_co_u32 v12, vcc_lo, v17, v16
	s_wait_alu 0xfffd
	v_add_co_ci_u32_e64 v15, null, v18, v15, vcc_lo
	v_mov_b32_e32 v18, v10
	s_delay_alu instid0(VALU_DEP_3) | instskip(SKIP_3) | instid1(VALU_DEP_3)
	v_add_co_u32 v19, vcc_lo, v12, v11
	v_mov_b32_e32 v12, 0
	s_wait_alu 0xfffd
	v_add_co_ci_u32_e64 v20, null, v15, v20, vcc_lo
	v_dual_mov_b32 v16, v6 :: v_dual_and_b32 v11, 0xc0, v19
	s_delay_alu instid0(VALU_DEP_3)
	v_mov_b32_e32 v25, v12
	v_mov_b32_e32 v15, v5
	v_dual_mov_b32 v27, v12 :: v_dual_mov_b32 v26, v12
	v_mov_b32_e32 v17, v9
	v_cmpx_ne_u64_e32 0xc0, v[11:12]
	s_cbranch_execz .LBB44_21
; %bb.18:
	v_lshrrev_b32_e32 v11, 6, v19
	v_dual_mov_b32 v25, 0 :: v_dual_mov_b32 v18, v10
	v_dual_mov_b32 v17, v9 :: v_dual_mov_b32 v26, 0
	s_delay_alu instid0(VALU_DEP_3) | instskip(SKIP_3) | instid1(VALU_DEP_4)
	v_dual_mov_b32 v16, v6 :: v_dual_add_nc_u32 v21, 1, v11
	v_lshlrev_b64_e32 v[11:12], 3, v[5:6]
	v_mov_b32_e32 v15, v5
	v_mov_b32_e32 v27, 0
	v_and_b32_e32 v23, 3, v21
	s_delay_alu instid0(VALU_DEP_4) | instskip(NEXT) | instid1(VALU_DEP_2)
	v_add_co_u32 v21, vcc_lo, s8, v11
	v_sub_co_u32 v23, s4, 0, v23
	s_wait_alu 0xfffd
	v_add_co_ci_u32_e64 v22, null, s9, v12, vcc_lo
	s_wait_alu 0xf1ff
	v_sub_co_ci_u32_e64 v24, null, 0, 0, s4
	v_mov_b32_e32 v12, 0
	s_mov_b32 s4, 0
.LBB44_19:                              ; =>This Inner Loop Header: Depth=1
	global_load_b64 v[44:45], v[21:22], off
	s_clause 0x3
	global_load_b128 v[28:31], v[17:18], off offset:48
	global_load_b128 v[32:35], v[17:18], off offset:32
	global_load_b128 v[36:39], v[17:18], off offset:16
	global_load_b128 v[40:43], v[17:18], off
	s_wait_loadcnt 0x4
	v_sub_co_u32 v44, vcc_lo, v44, v1
	s_wait_alu 0xfffd
	v_sub_co_ci_u32_e64 v45, null, v45, v2, vcc_lo
	s_delay_alu instid0(VALU_DEP_1) | instskip(SKIP_1) | instid1(VALU_DEP_1)
	v_lshlrev_b64_e32 v[44:45], 4, v[44:45]
	s_wait_kmcnt 0x0
	v_add_co_u32 v44, vcc_lo, s6, v44
	s_wait_alu 0xfffd
	s_delay_alu instid0(VALU_DEP_2)
	v_add_co_ci_u32_e64 v45, null, s7, v45, vcc_lo
	v_add_co_u32 v17, vcc_lo, 0x1000, v17
	s_wait_alu 0xfffd
	v_add_co_ci_u32_e64 v18, null, 0, v18, vcc_lo
	global_load_b128 v[44:47], v[44:45], off
	v_add_co_u32 v15, vcc_lo, v15, 64
	s_wait_alu 0xfffd
	v_add_co_ci_u32_e64 v16, null, 0, v16, vcc_lo
	v_add_co_u32 v21, vcc_lo, 0x200, v21
	s_wait_alu 0xfffd
	v_add_co_ci_u32_e64 v22, null, 0, v22, vcc_lo
	;; [unrolled: 3-line block ×3, first 2 shown]
	s_delay_alu instid0(VALU_DEP_1)
	v_cmp_eq_u64_e32 vcc_lo, 0, v[23:24]
	s_wait_alu 0xfffe
	s_or_b32 s4, vcc_lo, s4
	s_wait_loadcnt 0x0
	v_fmac_f32_e32 v27, v36, v44
	v_fmac_f32_e32 v12, v40, v44
	;; [unrolled: 1-line block ×3, first 2 shown]
	s_delay_alu instid0(VALU_DEP_3) | instskip(NEXT) | instid1(VALU_DEP_3)
	v_dual_fmac_f32 v26, v32, v44 :: v_dual_fmac_f32 v27, v37, v45
	v_fmac_f32_e32 v12, v41, v45
	s_delay_alu instid0(VALU_DEP_3) | instskip(NEXT) | instid1(VALU_DEP_3)
	v_fmac_f32_e32 v25, v29, v45
	v_dual_fmac_f32 v26, v33, v45 :: v_dual_fmac_f32 v27, v38, v46
	s_delay_alu instid0(VALU_DEP_3) | instskip(NEXT) | instid1(VALU_DEP_3)
	v_fmac_f32_e32 v12, v42, v46
	v_fmac_f32_e32 v25, v30, v46
	s_delay_alu instid0(VALU_DEP_3) | instskip(NEXT) | instid1(VALU_DEP_3)
	v_dual_fmac_f32 v26, v34, v46 :: v_dual_fmac_f32 v27, v39, v47
	v_fmac_f32_e32 v12, v43, v47
	s_delay_alu instid0(VALU_DEP_3) | instskip(NEXT) | instid1(VALU_DEP_3)
	v_fmac_f32_e32 v25, v31, v47
	v_fmac_f32_e32 v26, v35, v47
	s_wait_alu 0xfffe
	s_and_not1_b32 exec_lo, exec_lo, s4
	s_cbranch_execnz .LBB44_19
; %bb.20:
	s_or_b32 exec_lo, exec_lo, s4
.LBB44_21:
	s_wait_alu 0xfffe
	s_or_b32 exec_lo, exec_lo, s3
	s_delay_alu instid0(SALU_CYCLE_1)
	s_mov_b32 s10, exec_lo
	v_cmpx_lt_u64_e32 0xbf, v[19:20]
	s_cbranch_execz .LBB44_25
; %bb.22:
	v_lshlrev_b64_e32 v[19:20], 3, v[15:16]
	s_mov_b32 s11, 0
	s_delay_alu instid0(VALU_DEP_1) | instskip(SKIP_1) | instid1(VALU_DEP_2)
	v_add_co_u32 v11, vcc_lo, s8, v19
	s_wait_alu 0xfffd
	v_add_co_ci_u32_e64 v20, null, s9, v20, vcc_lo
	s_delay_alu instid0(VALU_DEP_2) | instskip(SKIP_1) | instid1(VALU_DEP_2)
	v_add_co_u32 v19, vcc_lo, 0x400, v11
	s_wait_alu 0xfffd
	v_add_co_ci_u32_e64 v20, null, 0, v20, vcc_lo
.LBB44_23:                              ; =>This Inner Loop Header: Depth=1
	s_clause 0x2
	global_load_b64 v[88:89], v[19:20], off offset:-1024
	global_load_b64 v[90:91], v[19:20], off offset:-512
	global_load_b64 v[92:93], v[19:20], off
	s_clause 0xb
	global_load_b128 v[21:24], v[17:18], off offset:48
	global_load_b128 v[28:31], v[17:18], off offset:32
	;; [unrolled: 1-line block ×3, first 2 shown]
	global_load_b128 v[36:39], v[17:18], off
	global_load_b128 v[40:43], v[17:18], off offset:4144
	global_load_b128 v[44:47], v[17:18], off offset:4128
	;; [unrolled: 1-line block ×8, first 2 shown]
	global_load_b64 v[96:97], v[19:20], off offset:512
	s_clause 0x3
	global_load_b128 v[72:75], v[17:18], off offset:12336
	global_load_b128 v[76:79], v[17:18], off offset:12320
	global_load_b128 v[80:83], v[17:18], off offset:12304
	global_load_b128 v[84:87], v[17:18], off offset:12288
	v_add_co_u32 v19, s4, 0x800, v19
	s_wait_alu 0xf1ff
	v_add_co_ci_u32_e64 v20, null, 0, v20, s4
	s_wait_loadcnt 0x13
	v_sub_co_u32 v88, vcc_lo, v88, v1
	s_wait_alu 0xfffd
	v_sub_co_ci_u32_e64 v89, null, v89, v2, vcc_lo
	s_wait_loadcnt 0x12
	v_sub_co_u32 v90, vcc_lo, v90, v1
	s_wait_alu 0xfffd
	v_sub_co_ci_u32_e64 v91, null, v91, v2, vcc_lo
	v_lshlrev_b64_e32 v[88:89], 4, v[88:89]
	s_wait_loadcnt 0x11
	v_sub_co_u32 v98, vcc_lo, v92, v1
	s_wait_alu 0xfffd
	v_sub_co_ci_u32_e64 v99, null, v93, v2, vcc_lo
	v_lshlrev_b64_e32 v[91:92], 4, v[90:91]
	s_wait_kmcnt 0x0
	v_add_co_u32 v88, vcc_lo, s6, v88
	s_wait_alu 0xfffd
	v_add_co_ci_u32_e64 v89, null, s7, v89, vcc_lo
	s_delay_alu instid0(VALU_DEP_3)
	v_add_co_u32 v93, vcc_lo, s6, v91
	global_load_b128 v[88:91], v[88:89], off
	s_wait_alu 0xfffd
	v_add_co_ci_u32_e64 v94, null, s7, v92, vcc_lo
	s_wait_loadcnt 0x5
	v_sub_co_u32 v96, vcc_lo, v96, v1
	s_wait_alu 0xfffd
	v_sub_co_ci_u32_e64 v97, null, v97, v2, vcc_lo
	global_load_b128 v[92:95], v[93:94], off
	v_lshlrev_b64_e32 v[96:97], 4, v[96:97]
	s_delay_alu instid0(VALU_DEP_1) | instskip(SKIP_1) | instid1(VALU_DEP_2)
	v_add_co_u32 v96, vcc_lo, s6, v96
	s_wait_alu 0xfffd
	v_add_co_ci_u32_e64 v97, null, s7, v97, vcc_lo
	v_add_co_u32 v17, vcc_lo, 0x4000, v17
	s_wait_alu 0xfffd
	v_add_co_ci_u32_e64 v18, null, 0, v18, vcc_lo
	s_wait_loadcnt 0x1
	v_fmac_f32_e32 v26, v28, v88
	v_fmac_f32_e32 v27, v32, v88
	;; [unrolled: 1-line block ×3, first 2 shown]
	s_delay_alu instid0(VALU_DEP_3) | instskip(NEXT) | instid1(VALU_DEP_3)
	v_fmac_f32_e32 v26, v29, v89
	v_dual_fmac_f32 v12, v36, v88 :: v_dual_fmac_f32 v27, v33, v89
	s_delay_alu instid0(VALU_DEP_3) | instskip(NEXT) | instid1(VALU_DEP_2)
	v_fmac_f32_e32 v25, v22, v89
	v_dual_fmac_f32 v12, v37, v89 :: v_dual_fmac_f32 v27, v34, v90
	v_lshlrev_b64_e32 v[36:37], 4, v[98:99]
	global_load_b128 v[96:99], v[96:97], off
	v_fmac_f32_e32 v26, v30, v90
	v_dual_fmac_f32 v12, v38, v90 :: v_dual_fmac_f32 v27, v35, v91
	v_fmac_f32_e32 v25, v23, v90
	v_add_co_u32 v36, s3, s6, v36
	s_wait_alu 0xf1ff
	v_add_co_ci_u32_e64 v37, null, s7, v37, s3
	v_fmac_f32_e32 v12, v39, v91
	v_add_co_u32 v15, s3, 0x100, v15
	global_load_b128 v[36:39], v[36:37], off
	s_wait_loadcnt 0x2
	v_dual_fmac_f32 v26, v31, v91 :: v_dual_fmac_f32 v27, v48, v92
	v_fmac_f32_e32 v12, v52, v92
	s_wait_alu 0xf1ff
	v_add_co_ci_u32_e64 v16, null, 0, v16, s3
	s_delay_alu instid0(VALU_DEP_3) | instskip(NEXT) | instid1(VALU_DEP_3)
	v_fmac_f32_e32 v27, v49, v93
	v_dual_fmac_f32 v25, v24, v91 :: v_dual_fmac_f32 v12, v53, v93
	s_delay_alu instid0(VALU_DEP_3) | instskip(NEXT) | instid1(VALU_DEP_3)
	v_cmp_ge_i64_e32 vcc_lo, v[15:16], v[7:8]
	v_fmac_f32_e32 v27, v50, v94
	s_delay_alu instid0(VALU_DEP_3)
	v_fmac_f32_e32 v25, v40, v92
	v_fmac_f32_e32 v26, v44, v92
	;; [unrolled: 1-line block ×3, first 2 shown]
	s_wait_alu 0xfffe
	s_or_b32 s11, vcc_lo, s11
	v_fmac_f32_e32 v27, v51, v95
	v_fmac_f32_e32 v25, v41, v93
	;; [unrolled: 1-line block ×3, first 2 shown]
	s_delay_alu instid0(VALU_DEP_2) | instskip(NEXT) | instid1(VALU_DEP_1)
	v_dual_fmac_f32 v12, v55, v95 :: v_dual_fmac_f32 v25, v42, v94
	v_dual_fmac_f32 v26, v46, v94 :: v_dual_fmac_f32 v25, v43, v95
	s_wait_loadcnt 0x0
	s_delay_alu instid0(VALU_DEP_1) | instskip(NEXT) | instid1(VALU_DEP_3)
	v_dual_fmac_f32 v26, v47, v95 :: v_dual_fmac_f32 v27, v64, v36
	v_fmac_f32_e32 v12, v68, v36
	s_delay_alu instid0(VALU_DEP_3) | instskip(NEXT) | instid1(VALU_DEP_3)
	v_fmac_f32_e32 v25, v56, v36
	v_dual_fmac_f32 v26, v60, v36 :: v_dual_fmac_f32 v27, v65, v37
	s_delay_alu instid0(VALU_DEP_3) | instskip(NEXT) | instid1(VALU_DEP_3)
	v_fmac_f32_e32 v12, v69, v37
	v_fmac_f32_e32 v25, v57, v37
	s_delay_alu instid0(VALU_DEP_3) | instskip(NEXT) | instid1(VALU_DEP_3)
	v_dual_fmac_f32 v26, v61, v37 :: v_dual_fmac_f32 v27, v66, v38
	v_fmac_f32_e32 v12, v70, v38
	s_delay_alu instid0(VALU_DEP_3) | instskip(NEXT) | instid1(VALU_DEP_3)
	v_fmac_f32_e32 v25, v58, v38
	v_dual_fmac_f32 v26, v62, v38 :: v_dual_fmac_f32 v27, v67, v39
	s_delay_alu instid0(VALU_DEP_3) | instskip(NEXT) | instid1(VALU_DEP_3)
	v_fmac_f32_e32 v12, v71, v39
	v_fmac_f32_e32 v25, v59, v39
	s_delay_alu instid0(VALU_DEP_3) | instskip(NEXT) | instid1(VALU_DEP_3)
	;; [unrolled: 9-line block ×3, first 2 shown]
	v_dual_fmac_f32 v26, v77, v97 :: v_dual_fmac_f32 v27, v82, v98
	v_fmac_f32_e32 v12, v86, v98
	s_delay_alu instid0(VALU_DEP_3) | instskip(NEXT) | instid1(VALU_DEP_3)
	v_fmac_f32_e32 v25, v74, v98
	v_dual_fmac_f32 v26, v78, v98 :: v_dual_fmac_f32 v27, v83, v99
	s_delay_alu instid0(VALU_DEP_3) | instskip(NEXT) | instid1(VALU_DEP_3)
	v_fmac_f32_e32 v12, v87, v99
	v_fmac_f32_e32 v25, v75, v99
	s_delay_alu instid0(VALU_DEP_3)
	v_fmac_f32_e32 v26, v79, v99
	s_wait_alu 0xfffe
	s_and_not1_b32 exec_lo, exec_lo, s11
	s_cbranch_execnz .LBB44_23
; %bb.24:
	s_or_b32 exec_lo, exec_lo, s11
.LBB44_25:
	s_wait_alu 0xfffe
	s_or_b32 exec_lo, exec_lo, s10
.LBB44_26:
	s_wait_alu 0xfffe
	s_or_b32 exec_lo, exec_lo, s5
	s_cbranch_execz .LBB44_28
	s_branch .LBB44_39
.LBB44_27:
                                        ; implicit-def: $vgpr25
                                        ; implicit-def: $vgpr26
                                        ; implicit-def: $vgpr27
                                        ; implicit-def: $vgpr12
.LBB44_28:
	v_dual_mov_b32 v25, 0 :: v_dual_mov_b32 v26, 0
	v_dual_mov_b32 v27, 0 :: v_dual_mov_b32 v12, 0
	s_and_saveexec_b32 s3, s2
	s_cbranch_execz .LBB44_38
; %bb.29:
	v_or_b32_e32 v11, 64, v0
	v_sub_co_u32 v15, s2, v1, v0
	s_wait_alu 0xf1ff
	v_subrev_co_ci_u32_e64 v16, null, 0, v2, s2
	s_delay_alu instid0(VALU_DEP_3)
	v_sub_co_u32 v11, vcc_lo, v11, v1
	s_wait_alu 0xfffd
	v_sub_co_ci_u32_e64 v12, null, 0, v2, vcc_lo
	s_mov_b32 s2, exec_lo
	v_add_co_u32 v11, vcc_lo, v11, v13
	s_wait_alu 0xfffd
	v_add_co_ci_u32_e64 v12, null, v12, v14, vcc_lo
	v_not_b32_e32 v13, v13
	v_not_b32_e32 v14, v14
	s_delay_alu instid0(VALU_DEP_3)
	v_cmp_gt_i64_e32 vcc_lo, v[11:12], v[7:8]
	s_wait_alu 0xfffd
	v_cndmask_b32_e32 v17, v8, v12, vcc_lo
	v_cndmask_b32_e32 v11, v7, v11, vcc_lo
	v_add_co_u32 v12, vcc_lo, v15, v13
	s_wait_alu 0xfffd
	v_add_co_ci_u32_e64 v14, null, v16, v14, vcc_lo
	s_delay_alu instid0(VALU_DEP_2) | instskip(SKIP_2) | instid1(VALU_DEP_3)
	v_add_co_u32 v13, vcc_lo, v12, v11
	v_mov_b32_e32 v12, 0
	s_wait_alu 0xfffd
	v_add_co_ci_u32_e64 v14, null, v14, v17, vcc_lo
	s_delay_alu instid0(VALU_DEP_3) | instskip(NEXT) | instid1(VALU_DEP_3)
	v_and_b32_e32 v11, 0xc0, v13
	v_dual_mov_b32 v27, v12 :: v_dual_mov_b32 v26, v12
	v_mov_b32_e32 v25, v12
	s_delay_alu instid0(VALU_DEP_3)
	v_cmpx_ne_u64_e32 0xc0, v[11:12]
	s_cbranch_execz .LBB44_33
; %bb.30:
	v_lshrrev_b32_e32 v11, 6, v13
	v_mov_b32_e32 v25, 0
	v_dual_mov_b32 v27, 0 :: v_dual_mov_b32 v26, 0
	s_delay_alu instid0(VALU_DEP_3) | instskip(SKIP_1) | instid1(VALU_DEP_2)
	v_add_nc_u32_e32 v15, 1, v11
	v_lshlrev_b64_e32 v[11:12], 3, v[5:6]
	v_and_b32_e32 v17, 3, v15
	s_delay_alu instid0(VALU_DEP_2) | instskip(SKIP_1) | instid1(VALU_DEP_3)
	v_add_co_u32 v15, vcc_lo, s8, v11
	s_wait_alu 0xfffd
	v_add_co_ci_u32_e64 v16, null, s9, v12, vcc_lo
	s_delay_alu instid0(VALU_DEP_3)
	v_sub_co_u32 v17, s4, 0, v17
	s_wait_alu 0xf1ff
	v_sub_co_ci_u32_e64 v18, null, 0, 0, s4
	v_mov_b32_e32 v12, 0
	s_mov_b32 s4, 0
.LBB44_31:                              ; =>This Inner Loop Header: Depth=1
	global_load_b64 v[23:24], v[15:16], off
	s_clause 0x1
	global_load_b128 v[19:22], v[9:10], off offset:16
	global_load_b128 v[28:31], v[9:10], off
	s_wait_loadcnt 0x2
	v_sub_co_u32 v23, vcc_lo, v23, v1
	s_wait_alu 0xfffd
	v_sub_co_ci_u32_e64 v24, null, v24, v2, vcc_lo
	s_delay_alu instid0(VALU_DEP_1) | instskip(SKIP_1) | instid1(VALU_DEP_1)
	v_lshlrev_b64_e32 v[23:24], 4, v[23:24]
	s_wait_kmcnt 0x0
	v_add_co_u32 v23, vcc_lo, s6, v23
	s_wait_alu 0xfffd
	s_delay_alu instid0(VALU_DEP_2)
	v_add_co_ci_u32_e64 v24, null, s7, v24, vcc_lo
	global_load_b128 v[32:35], v[23:24], off
	s_clause 0x1
	global_load_b128 v[36:39], v[9:10], off offset:32
	global_load_b128 v[40:43], v[9:10], off offset:48
	v_add_co_u32 v9, vcc_lo, 0x1000, v9
	s_wait_alu 0xfffd
	v_add_co_ci_u32_e64 v10, null, 0, v10, vcc_lo
	v_add_co_u32 v5, vcc_lo, v5, 64
	s_wait_alu 0xfffd
	v_add_co_ci_u32_e64 v6, null, 0, v6, vcc_lo
	v_add_co_u32 v15, vcc_lo, 0x200, v15
	s_wait_alu 0xfffd
	v_add_co_ci_u32_e64 v16, null, 0, v16, vcc_lo
	v_add_co_u32 v17, vcc_lo, v17, 1
	s_wait_alu 0xfffd
	v_add_co_ci_u32_e64 v18, null, 0, v18, vcc_lo
	s_delay_alu instid0(VALU_DEP_1) | instskip(SKIP_4) | instid1(VALU_DEP_1)
	v_cmp_eq_u64_e32 vcc_lo, 0, v[17:18]
	s_wait_alu 0xfffe
	s_or_b32 s4, vcc_lo, s4
	s_wait_loadcnt 0x2
	v_fmac_f32_e32 v25, v31, v32
	v_dual_fmac_f32 v12, v28, v32 :: v_dual_fmac_f32 v25, v22, v33
	s_delay_alu instid0(VALU_DEP_1) | instskip(SKIP_1) | instid1(VALU_DEP_2)
	v_dual_fmac_f32 v27, v29, v32 :: v_dual_fmac_f32 v12, v19, v33
	s_wait_loadcnt 0x1
	v_dual_fmac_f32 v26, v30, v32 :: v_dual_fmac_f32 v25, v39, v34
	s_delay_alu instid0(VALU_DEP_2) | instskip(SKIP_1) | instid1(VALU_DEP_2)
	v_fmac_f32_e32 v27, v20, v33
	s_wait_loadcnt 0x0
	v_dual_fmac_f32 v26, v21, v33 :: v_dual_fmac_f32 v25, v43, v35
	s_delay_alu instid0(VALU_DEP_2) | instskip(SKIP_1) | instid1(VALU_DEP_2)
	v_fmac_f32_e32 v27, v37, v34
	v_fmac_f32_e32 v12, v36, v34
	v_dual_fmac_f32 v26, v38, v34 :: v_dual_fmac_f32 v27, v41, v35
	s_delay_alu instid0(VALU_DEP_2) | instskip(NEXT) | instid1(VALU_DEP_2)
	v_fmac_f32_e32 v12, v40, v35
	v_fmac_f32_e32 v26, v42, v35
	s_wait_alu 0xfffe
	s_and_not1_b32 exec_lo, exec_lo, s4
	s_cbranch_execnz .LBB44_31
; %bb.32:
	s_or_b32 exec_lo, exec_lo, s4
.LBB44_33:
	s_wait_alu 0xfffe
	s_or_b32 exec_lo, exec_lo, s2
	s_delay_alu instid0(SALU_CYCLE_1)
	s_mov_b32 s4, exec_lo
	v_cmpx_lt_u64_e32 0xbf, v[13:14]
	s_cbranch_execz .LBB44_37
; %bb.34:
	v_lshlrev_b64_e32 v[13:14], 3, v[5:6]
	s_mov_b32 s5, 0
	s_delay_alu instid0(VALU_DEP_1) | instskip(SKIP_1) | instid1(VALU_DEP_2)
	v_add_co_u32 v11, vcc_lo, s8, v13
	s_wait_alu 0xfffd
	v_add_co_ci_u32_e64 v14, null, s9, v14, vcc_lo
	s_delay_alu instid0(VALU_DEP_2) | instskip(SKIP_1) | instid1(VALU_DEP_2)
	v_add_co_u32 v13, vcc_lo, 0x400, v11
	s_wait_alu 0xfffd
	v_add_co_ci_u32_e64 v14, null, 0, v14, vcc_lo
.LBB44_35:                              ; =>This Inner Loop Header: Depth=1
	s_clause 0x3
	global_load_b64 v[23:24], v[13:14], off offset:-1024
	global_load_b64 v[76:77], v[13:14], off offset:-512
	global_load_b64 v[79:80], v[13:14], off
	global_load_b64 v[87:88], v[13:14], off offset:512
	s_clause 0xd
	global_load_b128 v[15:18], v[9:10], off offset:48
	global_load_b128 v[19:22], v[9:10], off offset:32
	;; [unrolled: 1-line block ×3, first 2 shown]
	global_load_b128 v[32:35], v[9:10], off
	global_load_b128 v[36:39], v[9:10], off offset:4144
	global_load_b128 v[40:43], v[9:10], off offset:4128
	;; [unrolled: 1-line block ×10, first 2 shown]
	s_wait_loadcnt 0x11
	v_sub_co_u32 v23, vcc_lo, v23, v1
	s_wait_alu 0xfffd
	v_sub_co_ci_u32_e64 v24, null, v24, v2, vcc_lo
	s_wait_loadcnt 0x10
	v_sub_co_u32 v81, vcc_lo, v76, v1
	s_wait_alu 0xfffd
	v_sub_co_ci_u32_e64 v82, null, v77, v2, vcc_lo
	v_lshlrev_b64_e32 v[23:24], 4, v[23:24]
	s_wait_loadcnt 0xf
	v_sub_co_u32 v84, vcc_lo, v79, v1
	s_wait_alu 0xfffd
	v_sub_co_ci_u32_e64 v85, null, v80, v2, vcc_lo
	s_wait_kmcnt 0x0
	v_add_co_u32 v23, s2, s6, v23
	s_wait_alu 0xf1ff
	v_add_co_ci_u32_e64 v24, null, s7, v24, s2
	v_lshlrev_b64_e32 v[84:85], 4, v[84:85]
	global_load_b128 v[76:79], v[23:24], off
	v_lshlrev_b64_e32 v[23:24], 4, v[81:82]
	v_add_co_u32 v84, s2, s6, v84
	s_wait_alu 0xf1ff
	v_add_co_ci_u32_e64 v85, null, s7, v85, s2
	s_delay_alu instid0(VALU_DEP_3)
	v_add_co_u32 v23, vcc_lo, s6, v23
	s_wait_alu 0xfffd
	v_add_co_ci_u32_e64 v24, null, s7, v24, vcc_lo
	global_load_b128 v[80:83], v[23:24], off
	s_wait_loadcnt 0x10
	v_sub_co_u32 v23, vcc_lo, v87, v1
	global_load_b128 v[84:87], v[84:85], off
	s_wait_alu 0xfffd
	v_sub_co_ci_u32_e64 v24, null, v88, v2, vcc_lo
	s_delay_alu instid0(VALU_DEP_1) | instskip(NEXT) | instid1(VALU_DEP_1)
	v_lshlrev_b64_e32 v[23:24], 4, v[23:24]
	v_add_co_u32 v23, vcc_lo, s6, v23
	s_wait_alu 0xfffd
	s_delay_alu instid0(VALU_DEP_2)
	v_add_co_ci_u32_e64 v24, null, s7, v24, vcc_lo
	global_load_b128 v[88:91], v[23:24], off
	global_load_b128 v[92:95], v[9:10], off offset:12320
	s_wait_loadcnt 0x4
	v_fmac_f32_e32 v27, v33, v76
	v_fmac_f32_e32 v12, v32, v76
	;; [unrolled: 1-line block ×4, first 2 shown]
	global_load_b128 v[32:35], v[9:10], off offset:12336
	v_fmac_f32_e32 v27, v29, v77
	v_fmac_f32_e32 v12, v28, v77
	;; [unrolled: 1-line block ×4, first 2 shown]
	v_add_co_u32 v9, vcc_lo, 0x4000, v9
	v_fmac_f32_e32 v27, v20, v78
	v_fmac_f32_e32 v12, v19, v78
	;; [unrolled: 1-line block ×4, first 2 shown]
	s_wait_alu 0xfffd
	v_add_co_ci_u32_e64 v10, null, 0, v10, vcc_lo
	v_fmac_f32_e32 v27, v16, v79
	v_fmac_f32_e32 v12, v15, v79
	;; [unrolled: 1-line block ×4, first 2 shown]
	v_add_co_u32 v5, vcc_lo, 0x100, v5
	s_wait_loadcnt 0x4
	v_fmac_f32_e32 v27, v49, v80
	v_fmac_f32_e32 v12, v48, v80
	;; [unrolled: 1-line block ×4, first 2 shown]
	s_wait_alu 0xfffd
	v_add_co_ci_u32_e64 v6, null, 0, v6, vcc_lo
	v_fmac_f32_e32 v27, v45, v81
	v_fmac_f32_e32 v12, v44, v81
	;; [unrolled: 1-line block ×4, first 2 shown]
	v_add_co_u32 v13, vcc_lo, 0x800, v13
	v_fmac_f32_e32 v27, v41, v82
	v_fmac_f32_e32 v12, v40, v82
	;; [unrolled: 1-line block ×4, first 2 shown]
	s_wait_alu 0xfffd
	v_add_co_ci_u32_e64 v14, null, 0, v14, vcc_lo
	v_fmac_f32_e32 v27, v37, v83
	v_fmac_f32_e32 v12, v36, v83
	;; [unrolled: 1-line block ×4, first 2 shown]
	v_cmp_ge_i64_e32 vcc_lo, v[5:6], v[7:8]
	s_wait_loadcnt 0x3
	v_fmac_f32_e32 v27, v65, v84
	v_fmac_f32_e32 v12, v64, v84
	;; [unrolled: 1-line block ×3, first 2 shown]
	s_delay_alu instid0(VALU_DEP_3) | instskip(NEXT) | instid1(VALU_DEP_3)
	v_dual_fmac_f32 v26, v66, v84 :: v_dual_fmac_f32 v27, v61, v85
	v_fmac_f32_e32 v12, v60, v85
	s_delay_alu instid0(VALU_DEP_3) | instskip(NEXT) | instid1(VALU_DEP_3)
	v_fmac_f32_e32 v25, v63, v85
	v_fmac_f32_e32 v26, v62, v85
	s_wait_alu 0xfffe
	s_or_b32 s5, vcc_lo, s5
	v_fmac_f32_e32 v27, v57, v86
	v_fmac_f32_e32 v12, v56, v86
	;; [unrolled: 1-line block ×3, first 2 shown]
	s_delay_alu instid0(VALU_DEP_3) | instskip(NEXT) | instid1(VALU_DEP_3)
	v_dual_fmac_f32 v26, v58, v86 :: v_dual_fmac_f32 v27, v53, v87
	v_fmac_f32_e32 v12, v52, v87
	s_delay_alu instid0(VALU_DEP_3) | instskip(SKIP_1) | instid1(VALU_DEP_3)
	v_fmac_f32_e32 v25, v55, v87
	s_wait_loadcnt 0x2
	v_dual_fmac_f32 v26, v54, v87 :: v_dual_fmac_f32 v27, v73, v88
	s_delay_alu instid0(VALU_DEP_3) | instskip(NEXT) | instid1(VALU_DEP_3)
	v_fmac_f32_e32 v12, v72, v88
	v_fmac_f32_e32 v25, v75, v88
	s_delay_alu instid0(VALU_DEP_3) | instskip(NEXT) | instid1(VALU_DEP_3)
	v_dual_fmac_f32 v26, v74, v88 :: v_dual_fmac_f32 v27, v69, v89
	v_fmac_f32_e32 v12, v68, v89
	s_delay_alu instid0(VALU_DEP_3) | instskip(SKIP_1) | instid1(VALU_DEP_3)
	v_fmac_f32_e32 v25, v71, v89
	s_wait_loadcnt 0x1
	v_dual_fmac_f32 v26, v70, v89 :: v_dual_fmac_f32 v27, v93, v90
	s_delay_alu instid0(VALU_DEP_3) | instskip(NEXT) | instid1(VALU_DEP_3)
	v_fmac_f32_e32 v12, v92, v90
	v_fmac_f32_e32 v25, v95, v90
	s_wait_loadcnt 0x0
	s_delay_alu instid0(VALU_DEP_1) | instskip(SKIP_2) | instid1(VALU_DEP_3)
	v_dual_fmac_f32 v26, v94, v90 :: v_dual_fmac_f32 v25, v35, v91
	v_fmac_f32_e32 v27, v33, v91
	v_fmac_f32_e32 v12, v32, v91
	;; [unrolled: 1-line block ×3, first 2 shown]
	s_wait_alu 0xfffe
	s_and_not1_b32 exec_lo, exec_lo, s5
	s_cbranch_execnz .LBB44_35
; %bb.36:
	s_or_b32 exec_lo, exec_lo, s5
.LBB44_37:
	s_wait_alu 0xfffe
	s_or_b32 exec_lo, exec_lo, s4
.LBB44_38:
	s_wait_alu 0xfffe
	s_or_b32 exec_lo, exec_lo, s3
.LBB44_39:
	v_mbcnt_lo_u32_b32 v1, -1, 0
	s_mov_b32 s2, -1
	s_delay_alu instid0(VALU_DEP_1) | instskip(SKIP_1) | instid1(VALU_DEP_2)
	v_or_b32_e32 v2, 32, v1
	v_xor_b32_e32 v8, 16, v1
	v_cmp_gt_i32_e32 vcc_lo, 32, v2
	s_wait_alu 0xfffd
	v_cndmask_b32_e32 v2, v1, v2, vcc_lo
	s_delay_alu instid0(VALU_DEP_3) | instskip(NEXT) | instid1(VALU_DEP_2)
	v_cmp_gt_i32_e32 vcc_lo, 32, v8
	v_lshlrev_b32_e32 v2, 2, v2
	ds_bpermute_b32 v7, v2, v26
	s_wait_dscnt 0x0
	v_add_f32_e32 v7, v26, v7
	ds_bpermute_b32 v5, v2, v12
	s_wait_alu 0xfffd
	v_cndmask_b32_e32 v8, v1, v8, vcc_lo
	ds_bpermute_b32 v6, v2, v27
	ds_bpermute_b32 v2, v2, v25
	s_wait_dscnt 0x2
	v_dual_add_f32 v5, v12, v5 :: v_dual_lshlrev_b32 v8, 2, v8
	v_xor_b32_e32 v12, 8, v1
	s_wait_dscnt 0x0
	v_add_f32_e32 v2, v25, v2
	ds_bpermute_b32 v9, v8, v5
	v_cmp_gt_i32_e32 vcc_lo, 32, v12
	s_wait_dscnt 0x0
	v_add_f32_e32 v5, v5, v9
	ds_bpermute_b32 v11, v8, v7
	v_add_f32_e32 v6, v27, v6
	ds_bpermute_b32 v10, v8, v6
	ds_bpermute_b32 v8, v8, v2
	s_wait_dscnt 0x2
	s_wait_alu 0xfffd
	v_dual_add_f32 v7, v7, v11 :: v_dual_cndmask_b32 v12, v1, v12
	s_delay_alu instid0(VALU_DEP_1)
	v_lshlrev_b32_e32 v12, 2, v12
	s_wait_dscnt 0x0
	v_add_f32_e32 v2, v2, v8
	ds_bpermute_b32 v8, v12, v5
	ds_bpermute_b32 v11, v12, v2
	s_wait_dscnt 0x1
	v_dual_add_f32 v5, v5, v8 :: v_dual_add_f32 v6, v6, v10
	ds_bpermute_b32 v10, v12, v7
	s_wait_dscnt 0x1
	v_add_f32_e32 v2, v2, v11
	ds_bpermute_b32 v9, v12, v6
	v_xor_b32_e32 v12, 4, v1
	s_delay_alu instid0(VALU_DEP_1) | instskip(SKIP_3) | instid1(VALU_DEP_1)
	v_cmp_gt_i32_e32 vcc_lo, 32, v12
	s_wait_alu 0xfffd
	v_cndmask_b32_e32 v12, v1, v12, vcc_lo
	s_wait_dscnt 0x1
	v_dual_add_f32 v7, v7, v10 :: v_dual_lshlrev_b32 v12, 2, v12
	ds_bpermute_b32 v8, v12, v5
	ds_bpermute_b32 v10, v12, v7
	;; [unrolled: 1-line block ×3, first 2 shown]
	s_wait_dscnt 0x2
	v_dual_add_f32 v5, v5, v8 :: v_dual_add_f32 v6, v6, v9
	s_wait_dscnt 0x0
	v_dual_add_f32 v7, v7, v10 :: v_dual_add_f32 v8, v2, v11
	ds_bpermute_b32 v9, v12, v6
	v_xor_b32_e32 v12, 2, v1
	s_delay_alu instid0(VALU_DEP_1) | instskip(SKIP_2) | instid1(VALU_DEP_1)
	v_cmp_gt_i32_e32 vcc_lo, 32, v12
	s_wait_alu 0xfffd
	v_cndmask_b32_e32 v12, v1, v12, vcc_lo
	v_lshlrev_b32_e32 v12, 2, v12
	s_wait_dscnt 0x0
	v_add_f32_e32 v6, v6, v9
	ds_bpermute_b32 v2, v12, v5
	ds_bpermute_b32 v10, v12, v7
	;; [unrolled: 1-line block ×4, first 2 shown]
	v_xor_b32_e32 v12, 1, v1
	s_delay_alu instid0(VALU_DEP_1) | instskip(SKIP_4) | instid1(VALU_DEP_2)
	v_cmp_gt_i32_e32 vcc_lo, 32, v12
	s_wait_alu 0xfffd
	v_cndmask_b32_e32 v1, v1, v12, vcc_lo
	v_cmp_eq_u32_e32 vcc_lo, 63, v0
	s_wait_dscnt 0x3
	v_dual_add_f32 v1, v5, v2 :: v_dual_lshlrev_b32 v12, 2, v1
	s_wait_dscnt 0x0
	v_dual_add_f32 v5, v7, v10 :: v_dual_add_f32 v2, v6, v9
	v_add_f32_e32 v6, v8, v11
	ds_bpermute_b32 v7, v12, v1
	ds_bpermute_b32 v9, v12, v5
	;; [unrolled: 1-line block ×4, first 2 shown]
	s_and_b32 exec_lo, exec_lo, vcc_lo
	s_cbranch_execz .LBB44_10
; %bb.40:
	s_load_b64 s[0:1], s[0:1], 0x58
	s_wait_dscnt 0x1
	v_dual_add_f32 v0, v1, v7 :: v_dual_add_f32 v1, v2, v8
	s_wait_dscnt 0x0
	v_add_f32_e32 v6, v6, v10
	s_cmp_eq_f32 s16, 0
	s_delay_alu instid0(VALU_DEP_2) | instskip(SKIP_3) | instid1(VALU_DEP_3)
	v_dual_mul_f32 v0, s12, v0 :: v_dual_mul_f32 v1, s12, v1
	v_add_f32_e32 v2, v5, v9
	v_lshlrev_b64_e32 v[4:5], 4, v[3:4]
	v_mul_f32_e32 v3, s12, v6
	v_mul_f32_e32 v2, s12, v2
	s_cbranch_scc0 .LBB44_42
; %bb.41:
	s_wait_kmcnt 0x0
	s_delay_alu instid0(VALU_DEP_3)
	v_add_co_u32 v6, vcc_lo, s0, v4
	s_wait_alu 0xfffd
	v_add_co_ci_u32_e64 v7, null, s1, v5, vcc_lo
	s_mov_b32 s2, 0
	global_store_b128 v[6:7], v[0:3], off
.LBB44_42:
	s_wait_alu 0xfffe
	s_and_not1_b32 vcc_lo, exec_lo, s2
	s_wait_alu 0xfffe
	s_cbranch_vccnz .LBB44_10
; %bb.43:
	s_wait_kmcnt 0x0
	v_add_co_u32 v8, vcc_lo, s0, v4
	s_wait_alu 0xfffd
	v_add_co_ci_u32_e64 v9, null, s1, v5, vcc_lo
	global_load_b128 v[4:7], v[8:9], off
	s_wait_loadcnt 0x0
	v_dual_fmac_f32 v0, s16, v4 :: v_dual_fmac_f32 v1, s16, v5
	v_dual_fmac_f32 v2, s16, v6 :: v_dual_fmac_f32 v3, s16, v7
	global_store_b128 v[8:9], v[0:3], off
	s_nop 0
	s_sendmsg sendmsg(MSG_DEALLOC_VGPRS)
	s_endpgm
	.section	.rodata,"a",@progbits
	.p2align	6, 0x0
	.amdhsa_kernel _ZN9rocsparseL18bsrxmvn_4x4_kernelILj128ELj64EfllfffEEvT3_20rocsparse_direction_NS_24const_host_device_scalarIT1_EES1_PKS1_PKT2_SA_S7_PKT4_PKT5_S5_PT6_21rocsparse_index_base_b
		.amdhsa_group_segment_fixed_size 0
		.amdhsa_private_segment_fixed_size 0
		.amdhsa_kernarg_size 104
		.amdhsa_user_sgpr_count 2
		.amdhsa_user_sgpr_dispatch_ptr 0
		.amdhsa_user_sgpr_queue_ptr 0
		.amdhsa_user_sgpr_kernarg_segment_ptr 1
		.amdhsa_user_sgpr_dispatch_id 0
		.amdhsa_user_sgpr_private_segment_size 0
		.amdhsa_wavefront_size32 1
		.amdhsa_uses_dynamic_stack 0
		.amdhsa_enable_private_segment 0
		.amdhsa_system_sgpr_workgroup_id_x 1
		.amdhsa_system_sgpr_workgroup_id_y 0
		.amdhsa_system_sgpr_workgroup_id_z 0
		.amdhsa_system_sgpr_workgroup_info 0
		.amdhsa_system_vgpr_workitem_id 0
		.amdhsa_next_free_vgpr 100
		.amdhsa_next_free_sgpr 18
		.amdhsa_reserve_vcc 1
		.amdhsa_float_round_mode_32 0
		.amdhsa_float_round_mode_16_64 0
		.amdhsa_float_denorm_mode_32 3
		.amdhsa_float_denorm_mode_16_64 3
		.amdhsa_fp16_overflow 0
		.amdhsa_workgroup_processor_mode 1
		.amdhsa_memory_ordered 1
		.amdhsa_forward_progress 1
		.amdhsa_inst_pref_size 37
		.amdhsa_round_robin_scheduling 0
		.amdhsa_exception_fp_ieee_invalid_op 0
		.amdhsa_exception_fp_denorm_src 0
		.amdhsa_exception_fp_ieee_div_zero 0
		.amdhsa_exception_fp_ieee_overflow 0
		.amdhsa_exception_fp_ieee_underflow 0
		.amdhsa_exception_fp_ieee_inexact 0
		.amdhsa_exception_int_div_zero 0
	.end_amdhsa_kernel
	.section	.text._ZN9rocsparseL18bsrxmvn_4x4_kernelILj128ELj64EfllfffEEvT3_20rocsparse_direction_NS_24const_host_device_scalarIT1_EES1_PKS1_PKT2_SA_S7_PKT4_PKT5_S5_PT6_21rocsparse_index_base_b,"axG",@progbits,_ZN9rocsparseL18bsrxmvn_4x4_kernelILj128ELj64EfllfffEEvT3_20rocsparse_direction_NS_24const_host_device_scalarIT1_EES1_PKS1_PKT2_SA_S7_PKT4_PKT5_S5_PT6_21rocsparse_index_base_b,comdat
.Lfunc_end44:
	.size	_ZN9rocsparseL18bsrxmvn_4x4_kernelILj128ELj64EfllfffEEvT3_20rocsparse_direction_NS_24const_host_device_scalarIT1_EES1_PKS1_PKT2_SA_S7_PKT4_PKT5_S5_PT6_21rocsparse_index_base_b, .Lfunc_end44-_ZN9rocsparseL18bsrxmvn_4x4_kernelILj128ELj64EfllfffEEvT3_20rocsparse_direction_NS_24const_host_device_scalarIT1_EES1_PKS1_PKT2_SA_S7_PKT4_PKT5_S5_PT6_21rocsparse_index_base_b
                                        ; -- End function
	.set _ZN9rocsparseL18bsrxmvn_4x4_kernelILj128ELj64EfllfffEEvT3_20rocsparse_direction_NS_24const_host_device_scalarIT1_EES1_PKS1_PKT2_SA_S7_PKT4_PKT5_S5_PT6_21rocsparse_index_base_b.num_vgpr, 100
	.set _ZN9rocsparseL18bsrxmvn_4x4_kernelILj128ELj64EfllfffEEvT3_20rocsparse_direction_NS_24const_host_device_scalarIT1_EES1_PKS1_PKT2_SA_S7_PKT4_PKT5_S5_PT6_21rocsparse_index_base_b.num_agpr, 0
	.set _ZN9rocsparseL18bsrxmvn_4x4_kernelILj128ELj64EfllfffEEvT3_20rocsparse_direction_NS_24const_host_device_scalarIT1_EES1_PKS1_PKT2_SA_S7_PKT4_PKT5_S5_PT6_21rocsparse_index_base_b.numbered_sgpr, 18
	.set _ZN9rocsparseL18bsrxmvn_4x4_kernelILj128ELj64EfllfffEEvT3_20rocsparse_direction_NS_24const_host_device_scalarIT1_EES1_PKS1_PKT2_SA_S7_PKT4_PKT5_S5_PT6_21rocsparse_index_base_b.num_named_barrier, 0
	.set _ZN9rocsparseL18bsrxmvn_4x4_kernelILj128ELj64EfllfffEEvT3_20rocsparse_direction_NS_24const_host_device_scalarIT1_EES1_PKS1_PKT2_SA_S7_PKT4_PKT5_S5_PT6_21rocsparse_index_base_b.private_seg_size, 0
	.set _ZN9rocsparseL18bsrxmvn_4x4_kernelILj128ELj64EfllfffEEvT3_20rocsparse_direction_NS_24const_host_device_scalarIT1_EES1_PKS1_PKT2_SA_S7_PKT4_PKT5_S5_PT6_21rocsparse_index_base_b.uses_vcc, 1
	.set _ZN9rocsparseL18bsrxmvn_4x4_kernelILj128ELj64EfllfffEEvT3_20rocsparse_direction_NS_24const_host_device_scalarIT1_EES1_PKS1_PKT2_SA_S7_PKT4_PKT5_S5_PT6_21rocsparse_index_base_b.uses_flat_scratch, 0
	.set _ZN9rocsparseL18bsrxmvn_4x4_kernelILj128ELj64EfllfffEEvT3_20rocsparse_direction_NS_24const_host_device_scalarIT1_EES1_PKS1_PKT2_SA_S7_PKT4_PKT5_S5_PT6_21rocsparse_index_base_b.has_dyn_sized_stack, 0
	.set _ZN9rocsparseL18bsrxmvn_4x4_kernelILj128ELj64EfllfffEEvT3_20rocsparse_direction_NS_24const_host_device_scalarIT1_EES1_PKS1_PKT2_SA_S7_PKT4_PKT5_S5_PT6_21rocsparse_index_base_b.has_recursion, 0
	.set _ZN9rocsparseL18bsrxmvn_4x4_kernelILj128ELj64EfllfffEEvT3_20rocsparse_direction_NS_24const_host_device_scalarIT1_EES1_PKS1_PKT2_SA_S7_PKT4_PKT5_S5_PT6_21rocsparse_index_base_b.has_indirect_call, 0
	.section	.AMDGPU.csdata,"",@progbits
; Kernel info:
; codeLenInByte = 4728
; TotalNumSgprs: 20
; NumVgprs: 100
; ScratchSize: 0
; MemoryBound: 0
; FloatMode: 240
; IeeeMode: 1
; LDSByteSize: 0 bytes/workgroup (compile time only)
; SGPRBlocks: 0
; VGPRBlocks: 12
; NumSGPRsForWavesPerEU: 20
; NumVGPRsForWavesPerEU: 100
; Occupancy: 12
; WaveLimiterHint : 1
; COMPUTE_PGM_RSRC2:SCRATCH_EN: 0
; COMPUTE_PGM_RSRC2:USER_SGPR: 2
; COMPUTE_PGM_RSRC2:TRAP_HANDLER: 0
; COMPUTE_PGM_RSRC2:TGID_X_EN: 1
; COMPUTE_PGM_RSRC2:TGID_Y_EN: 0
; COMPUTE_PGM_RSRC2:TGID_Z_EN: 0
; COMPUTE_PGM_RSRC2:TIDIG_COMP_CNT: 0
	.section	.text._ZN9rocsparseL18bsrxmvn_4x4_kernelILj128ELj4EdlldddEEvT3_20rocsparse_direction_NS_24const_host_device_scalarIT1_EES1_PKS1_PKT2_SA_S7_PKT4_PKT5_S5_PT6_21rocsparse_index_base_b,"axG",@progbits,_ZN9rocsparseL18bsrxmvn_4x4_kernelILj128ELj4EdlldddEEvT3_20rocsparse_direction_NS_24const_host_device_scalarIT1_EES1_PKS1_PKT2_SA_S7_PKT4_PKT5_S5_PT6_21rocsparse_index_base_b,comdat
	.globl	_ZN9rocsparseL18bsrxmvn_4x4_kernelILj128ELj4EdlldddEEvT3_20rocsparse_direction_NS_24const_host_device_scalarIT1_EES1_PKS1_PKT2_SA_S7_PKT4_PKT5_S5_PT6_21rocsparse_index_base_b ; -- Begin function _ZN9rocsparseL18bsrxmvn_4x4_kernelILj128ELj4EdlldddEEvT3_20rocsparse_direction_NS_24const_host_device_scalarIT1_EES1_PKS1_PKT2_SA_S7_PKT4_PKT5_S5_PT6_21rocsparse_index_base_b
	.p2align	8
	.type	_ZN9rocsparseL18bsrxmvn_4x4_kernelILj128ELj4EdlldddEEvT3_20rocsparse_direction_NS_24const_host_device_scalarIT1_EES1_PKS1_PKT2_SA_S7_PKT4_PKT5_S5_PT6_21rocsparse_index_base_b,@function
_ZN9rocsparseL18bsrxmvn_4x4_kernelILj128ELj4EdlldddEEvT3_20rocsparse_direction_NS_24const_host_device_scalarIT1_EES1_PKS1_PKT2_SA_S7_PKT4_PKT5_S5_PT6_21rocsparse_index_base_b: ; @_ZN9rocsparseL18bsrxmvn_4x4_kernelILj128ELj4EdlldddEEvT3_20rocsparse_direction_NS_24const_host_device_scalarIT1_EES1_PKS1_PKT2_SA_S7_PKT4_PKT5_S5_PT6_21rocsparse_index_base_b
; %bb.0:
	s_clause 0x2
	s_load_b64 s[8:9], s[0:1], 0x60
	s_load_b128 s[4:7], s[0:1], 0x10
	s_load_b64 s[2:3], s[0:1], 0x50
	s_wait_kmcnt 0x0
	s_bitcmp1_b32 s9, 0
	v_dual_mov_b32 v2, s4 :: v_dual_mov_b32 v3, s5
	s_cselect_b32 s9, -1, 0
	s_delay_alu instid0(SALU_CYCLE_1)
	s_and_b32 vcc_lo, exec_lo, s9
	s_xor_b32 s9, s9, -1
	s_cbranch_vccnz .LBB45_2
; %bb.1:
	v_dual_mov_b32 v1, s4 :: v_dual_mov_b32 v2, s5
	flat_load_b64 v[2:3], v[1:2]
.LBB45_2:
	v_dual_mov_b32 v9, s3 :: v_dual_mov_b32 v8, s2
	s_and_not1_b32 vcc_lo, exec_lo, s9
	s_cbranch_vccnz .LBB45_4
; %bb.3:
	v_dual_mov_b32 v5, s3 :: v_dual_mov_b32 v4, s2
	flat_load_b64 v[8:9], v[4:5]
.LBB45_4:
	s_wait_loadcnt_dscnt 0x0
	v_cmp_neq_f64_e32 vcc_lo, 0, v[2:3]
	v_cmp_neq_f64_e64 s2, 1.0, v[8:9]
	s_or_b32 s2, vcc_lo, s2
	s_wait_alu 0xfffe
	s_and_saveexec_b32 s3, s2
	s_cbranch_execz .LBB45_10
; %bb.5:
	s_load_b64 s[2:3], s[0:1], 0x20
	v_lshrrev_b32_e32 v1, 2, v0
	v_mov_b32_e32 v7, 0
	s_delay_alu instid0(VALU_DEP_2)
	v_lshl_or_b32 v6, ttmp9, 5, v1
	s_wait_kmcnt 0x0
	s_cmp_lg_u64 s[2:3], 0
	s_cbranch_scc0 .LBB45_11
; %bb.6:
	s_delay_alu instid0(VALU_DEP_1)
	v_cmp_gt_i64_e32 vcc_lo, s[6:7], v[6:7]
	s_mov_b32 s5, 0
	s_mov_b32 s4, 0
                                        ; implicit-def: $vgpr10_vgpr11
                                        ; implicit-def: $vgpr4_vgpr5
	s_and_saveexec_b32 s6, vcc_lo
	s_wait_alu 0xfffe
	s_xor_b32 s6, exec_lo, s6
	s_cbranch_execz .LBB45_8
; %bb.7:
	v_lshlrev_b64_e32 v[4:5], 3, v[6:7]
	s_mov_b32 s9, 0
	s_mov_b32 s4, exec_lo
	s_delay_alu instid0(VALU_DEP_1) | instskip(NEXT) | instid1(VALU_DEP_1)
	v_add_co_u32 v4, vcc_lo, s2, v4
	v_add_co_ci_u32_e64 v5, null, s3, v5, vcc_lo
	global_load_b64 v[4:5], v[4:5], off
	s_wait_loadcnt 0x0
	v_sub_co_u32 v10, vcc_lo, v4, s8
	s_wait_alu 0xfffd
	v_subrev_co_ci_u32_e64 v11, null, 0, v5, vcc_lo
	v_dual_mov_b32 v4, s8 :: v_dual_mov_b32 v5, s9
.LBB45_8:
	s_wait_alu 0xfffe
	s_or_b32 exec_lo, exec_lo, s6
	s_delay_alu instid0(SALU_CYCLE_1)
	s_and_b32 vcc_lo, exec_lo, s5
	s_wait_alu 0xfffe
	s_cbranch_vccnz .LBB45_12
.LBB45_9:
	s_wait_alu 0xfffe
	s_and_b32 exec_lo, exec_lo, s4
	s_cbranch_execnz .LBB45_15
.LBB45_10:
	s_nop 0
	s_sendmsg sendmsg(MSG_DEALLOC_VGPRS)
	s_endpgm
.LBB45_11:
	s_mov_b32 s4, 0
                                        ; implicit-def: $vgpr10_vgpr11
                                        ; implicit-def: $vgpr4_vgpr5
	s_cbranch_execz .LBB45_9
.LBB45_12:
	s_load_b64 s[2:3], s[0:1], 0x0
	s_wait_kmcnt 0x0
	v_cmp_gt_i64_e32 vcc_lo, s[2:3], v[6:7]
	s_and_saveexec_b32 s2, vcc_lo
; %bb.13:
	s_mov_b32 s9, 0
	s_or_b32 s4, s4, exec_lo
; %bb.14:
	s_wait_alu 0xfffe
	s_or_b32 exec_lo, exec_lo, s2
	v_dual_mov_b32 v4, s8 :: v_dual_mov_b32 v5, s9
	v_dual_mov_b32 v11, v7 :: v_dual_mov_b32 v10, v6
	s_and_b32 exec_lo, exec_lo, s4
	s_cbranch_execz .LBB45_10
.LBB45_15:
	s_load_b256 s[4:11], s[0:1], 0x28
	s_delay_alu instid0(VALU_DEP_1) | instskip(SKIP_3) | instid1(VALU_DEP_2)
	v_lshlrev_b64_e32 v[6:7], 3, v[10:11]
	v_and_b32_e32 v34, 3, v0
	s_load_b32 s3, s[0:1], 0x8
	s_wait_kmcnt 0x0
	v_add_co_u32 v12, vcc_lo, s4, v6
	s_wait_alu 0xfffd
	v_add_co_ci_u32_e64 v13, null, s5, v7, vcc_lo
	v_add_co_u32 v1, vcc_lo, s6, v6
	s_wait_alu 0xfffd
	v_add_co_ci_u32_e64 v6, null, s7, v7, vcc_lo
	v_add_co_u32 v14, vcc_lo, v12, 8
	global_load_b64 v[22:23], v[12:13], off
	s_wait_alu 0xfffd
	v_add_co_ci_u32_e64 v7, null, 0, v13, vcc_lo
	s_cmp_eq_u64 s[6:7], 0
	s_load_b64 s[4:5], s[0:1], 0x48
	s_cselect_b32 vcc_lo, -1, 0
	s_cmp_eq_u32 s3, 1
	s_wait_alu 0xfffe
	v_dual_cndmask_b32 v7, v6, v7 :: v_dual_cndmask_b32 v6, v1, v14
	global_load_b64 v[6:7], v[6:7], off
	s_wait_loadcnt 0x1
	v_sub_co_u32 v0, vcc_lo, v22, v4
	s_wait_alu 0xfffd
	v_sub_co_ci_u32_e64 v1, null, v23, v5, vcc_lo
	s_delay_alu instid0(VALU_DEP_2) | instskip(SKIP_1) | instid1(VALU_DEP_2)
	v_add_co_u32 v0, vcc_lo, v0, v34
	s_wait_alu 0xfffd
	v_add_co_ci_u32_e64 v1, null, 0, v1, vcc_lo
	s_delay_alu instid0(VALU_DEP_1) | instskip(SKIP_4) | instid1(VALU_DEP_3)
	v_lshlrev_b64_e32 v[12:13], 7, v[0:1]
	s_wait_loadcnt 0x0
	v_sub_co_u32 v6, vcc_lo, v6, v4
	s_wait_alu 0xfffd
	v_sub_co_ci_u32_e64 v7, null, v7, v5, vcc_lo
	v_add_co_u32 v12, vcc_lo, s10, v12
	s_delay_alu instid0(VALU_DEP_2)
	v_cmp_lt_i64_e64 s2, v[0:1], v[6:7]
	s_wait_alu 0xfffd
	v_add_co_ci_u32_e64 v13, null, s11, v13, vcc_lo
	s_cbranch_scc1 .LBB45_27
; %bb.16:
	v_mov_b32_e32 v14, 0
	v_dual_mov_b32 v20, 0 :: v_dual_mov_b32 v15, 0
	v_dual_mov_b32 v16, 0 :: v_dual_mov_b32 v21, 0
	;; [unrolled: 1-line block ×3, first 2 shown]
	v_mov_b32_e32 v19, 0
	s_and_saveexec_b32 s6, s2
	s_cbranch_execz .LBB45_26
; %bb.17:
	v_or_b32_e32 v14, 4, v34
	v_not_b32_e32 v17, v22
	v_sub_co_u32 v18, s3, v4, v34
	v_not_b32_e32 v16, v23
	s_delay_alu instid0(VALU_DEP_4)
	v_sub_co_u32 v14, vcc_lo, v14, v4
	s_wait_alu 0xfffd
	v_sub_co_ci_u32_e64 v15, null, 0, v5, vcc_lo
	s_wait_alu 0xf1ff
	v_subrev_co_ci_u32_e64 v19, null, 0, v5, s3
	v_add_co_u32 v14, vcc_lo, v14, v22
	s_wait_alu 0xfffd
	v_add_co_ci_u32_e64 v15, null, v15, v23, vcc_lo
	v_dual_mov_b32 v27, v1 :: v_dual_mov_b32 v26, v0
	v_mov_b32_e32 v20, 0
	s_delay_alu instid0(VALU_DEP_3)
	v_cmp_gt_i64_e32 vcc_lo, v[14:15], v[6:7]
	v_mov_b32_e32 v21, 0
	s_wait_alu 0xfffd
	v_dual_cndmask_b32 v15, v7, v15 :: v_dual_cndmask_b32 v14, v6, v14
	v_add_co_u32 v17, vcc_lo, v18, v17
	s_wait_alu 0xfffd
	v_add_co_ci_u32_e64 v16, null, v19, v16, vcc_lo
	v_mov_b32_e32 v18, 0
	s_delay_alu instid0(VALU_DEP_3) | instskip(SKIP_3) | instid1(VALU_DEP_3)
	v_add_co_u32 v28, vcc_lo, v17, v14
	v_mov_b32_e32 v25, 0
	s_wait_alu 0xfffd
	v_add_co_ci_u32_e64 v29, null, v16, v15, vcc_lo
	v_and_b32_e32 v24, 12, v28
	v_dual_mov_b32 v16, 0 :: v_dual_mov_b32 v19, 0
	v_dual_mov_b32 v17, 0 :: v_dual_mov_b32 v14, 0
	s_delay_alu instid0(VALU_DEP_3)
	v_cmp_ne_u64_e32 vcc_lo, 12, v[24:25]
	v_mov_b32_e32 v15, 0
	v_dual_mov_b32 v25, v13 :: v_dual_mov_b32 v24, v12
	s_and_saveexec_b32 s7, vcc_lo
	s_cbranch_execz .LBB45_21
; %bb.18:
	v_lshrrev_b32_e32 v14, 2, v28
	v_lshlrev_b64_e32 v[18:19], 3, v[0:1]
	v_mov_b32_e32 v16, 0
	v_mov_b32_e32 v20, 0
	s_delay_alu instid0(VALU_DEP_4) | instskip(SKIP_3) | instid1(VALU_DEP_4)
	v_dual_mov_b32 v21, 0 :: v_dual_add_nc_u32 v26, 1, v14
	v_dual_mov_b32 v14, 0 :: v_dual_mov_b32 v25, v13
	v_mov_b32_e32 v15, 0
	v_add_co_u32 v30, vcc_lo, s8, v18
	v_and_b32_e32 v26, 3, v26
	s_wait_alu 0xfffd
	v_add_co_ci_u32_e64 v31, null, s9, v19, vcc_lo
	v_mov_b32_e32 v18, 0
	v_dual_mov_b32 v24, v12 :: v_dual_mov_b32 v17, 0
	v_sub_co_u32 v32, s3, 0, v26
	v_mov_b32_e32 v27, v1
	s_wait_alu 0xf1ff
	v_sub_co_ci_u32_e64 v33, null, 0, 0, s3
	v_dual_mov_b32 v19, 0 :: v_dual_mov_b32 v26, v0
	s_mov_b32 s10, 0
.LBB45_19:                              ; =>This Inner Loop Header: Depth=1
	global_load_b64 v[63:64], v[30:31], off
	s_clause 0x6
	global_load_b128 v[35:38], v[24:25], off offset:48
	global_load_b128 v[39:42], v[24:25], off offset:32
	;; [unrolled: 1-line block ×3, first 2 shown]
	global_load_b128 v[47:50], v[24:25], off
	global_load_b128 v[51:54], v[24:25], off offset:112
	global_load_b128 v[55:58], v[24:25], off offset:96
	;; [unrolled: 1-line block ×3, first 2 shown]
	v_add_co_u32 v30, s3, v30, 32
	s_wait_alu 0xf1ff
	v_add_co_ci_u32_e64 v31, null, 0, v31, s3
	s_wait_loadcnt 0x7
	v_sub_co_u32 v63, vcc_lo, v63, v4
	s_wait_alu 0xfffd
	v_sub_co_ci_u32_e64 v64, null, v64, v5, vcc_lo
	s_delay_alu instid0(VALU_DEP_1) | instskip(SKIP_1) | instid1(VALU_DEP_1)
	v_lshlrev_b64_e32 v[63:64], 5, v[63:64]
	s_wait_kmcnt 0x0
	v_add_co_u32 v71, vcc_lo, s4, v63
	s_wait_alu 0xfffd
	s_delay_alu instid0(VALU_DEP_2)
	v_add_co_ci_u32_e64 v72, null, s5, v64, vcc_lo
	global_load_b128 v[63:66], v[24:25], off offset:64
	s_clause 0x1
	global_load_b128 v[67:70], v[71:72], off
	global_load_b128 v[71:74], v[71:72], off offset:16
	v_add_co_u32 v24, vcc_lo, 0x200, v24
	s_wait_alu 0xfffd
	v_add_co_ci_u32_e64 v25, null, 0, v25, vcc_lo
	v_add_co_u32 v32, vcc_lo, v32, 1
	s_wait_alu 0xfffd
	v_add_co_ci_u32_e64 v33, null, 0, v33, vcc_lo
	;; [unrolled: 3-line block ×3, first 2 shown]
	s_delay_alu instid0(VALU_DEP_3)
	v_cmp_eq_u64_e32 vcc_lo, 0, v[32:33]
	s_wait_alu 0xfffe
	s_or_b32 s10, vcc_lo, s10
	s_wait_loadcnt 0x1
	v_fma_f64 v[18:19], v[47:48], v[67:68], v[18:19]
	v_fma_f64 v[20:21], v[39:40], v[67:68], v[20:21]
	;; [unrolled: 1-line block ×4, first 2 shown]
	s_delay_alu instid0(VALU_DEP_4) | instskip(NEXT) | instid1(VALU_DEP_4)
	v_fma_f64 v[18:19], v[49:50], v[69:70], v[18:19]
	v_fma_f64 v[20:21], v[41:42], v[69:70], v[20:21]
	s_delay_alu instid0(VALU_DEP_4) | instskip(NEXT) | instid1(VALU_DEP_4)
	v_fma_f64 v[16:17], v[65:66], v[69:70], v[16:17]
	v_fma_f64 v[14:15], v[57:58], v[69:70], v[14:15]
	s_wait_loadcnt 0x0
	s_delay_alu instid0(VALU_DEP_4) | instskip(NEXT) | instid1(VALU_DEP_4)
	v_fma_f64 v[18:19], v[43:44], v[71:72], v[18:19]
	v_fma_f64 v[20:21], v[35:36], v[71:72], v[20:21]
	s_delay_alu instid0(VALU_DEP_4) | instskip(NEXT) | instid1(VALU_DEP_4)
	v_fma_f64 v[16:17], v[59:60], v[71:72], v[16:17]
	v_fma_f64 v[14:15], v[51:52], v[71:72], v[14:15]
	;; [unrolled: 3-line block ×4, first 2 shown]
	s_wait_alu 0xfffe
	s_and_not1_b32 exec_lo, exec_lo, s10
	s_cbranch_execnz .LBB45_19
; %bb.20:
	s_or_b32 exec_lo, exec_lo, s10
.LBB45_21:
	s_wait_alu 0xfffe
	s_or_b32 exec_lo, exec_lo, s7
	s_delay_alu instid0(SALU_CYCLE_1)
	s_mov_b32 s7, exec_lo
	v_cmpx_lt_u64_e32 11, v[28:29]
	s_cbranch_execz .LBB45_25
; %bb.22:
	v_lshlrev_b64_e32 v[28:29], 3, v[26:27]
	s_mov_b32 s10, 0
	s_delay_alu instid0(VALU_DEP_1) | instskip(SKIP_1) | instid1(VALU_DEP_2)
	v_add_co_u32 v28, vcc_lo, s8, v28
	s_wait_alu 0xfffd
	v_add_co_ci_u32_e64 v29, null, s9, v29, vcc_lo
	s_delay_alu instid0(VALU_DEP_2) | instskip(SKIP_1) | instid1(VALU_DEP_2)
	v_add_co_u32 v28, vcc_lo, v28, 64
	s_wait_alu 0xfffd
	v_add_co_ci_u32_e64 v29, null, 0, v29, vcc_lo
.LBB45_23:                              ; =>This Inner Loop Header: Depth=1
	s_clause 0x2
	global_load_b64 v[63:64], v[28:29], off offset:-64
	global_load_b64 v[99:100], v[28:29], off offset:-32
	global_load_b64 v[139:140], v[28:29], off
	s_clause 0x7
	global_load_b128 v[30:33], v[24:25], off offset:48
	global_load_b128 v[35:38], v[24:25], off offset:32
	;; [unrolled: 1-line block ×3, first 2 shown]
	global_load_b128 v[43:46], v[24:25], off
	global_load_b128 v[47:50], v[24:25], off offset:112
	global_load_b128 v[51:54], v[24:25], off offset:96
	;; [unrolled: 1-line block ×4, first 2 shown]
	global_load_b64 v[147:148], v[28:29], off offset:32
	v_add_co_u32 v28, s3, 0x80, v28
	s_wait_alu 0xf1ff
	v_add_co_ci_u32_e64 v29, null, 0, v29, s3
	s_wait_loadcnt 0xb
	v_sub_co_u32 v63, vcc_lo, v63, v4
	s_wait_alu 0xfffd
	v_sub_co_ci_u32_e64 v64, null, v64, v5, vcc_lo
	s_delay_alu instid0(VALU_DEP_1) | instskip(SKIP_1) | instid1(VALU_DEP_1)
	v_lshlrev_b64_e32 v[63:64], 5, v[63:64]
	s_wait_kmcnt 0x0
	v_add_co_u32 v67, vcc_lo, s4, v63
	s_wait_alu 0xfffd
	s_delay_alu instid0(VALU_DEP_2)
	v_add_co_ci_u32_e64 v68, null, s5, v64, vcc_lo
	s_wait_loadcnt 0xa
	v_sub_co_u32 v99, vcc_lo, v99, v4
	s_wait_alu 0xfffd
	v_sub_co_ci_u32_e64 v100, null, v100, v5, vcc_lo
	s_clause 0x1
	global_load_b128 v[63:66], v[67:68], off
	global_load_b128 v[67:70], v[67:68], off offset:16
	s_clause 0x6
	global_load_b128 v[71:74], v[24:25], off offset:560
	global_load_b128 v[75:78], v[24:25], off offset:544
	;; [unrolled: 1-line block ×7, first 2 shown]
	v_lshlrev_b64_e32 v[99:100], 5, v[99:100]
	s_delay_alu instid0(VALU_DEP_1) | instskip(SKIP_1) | instid1(VALU_DEP_2)
	v_add_co_u32 v107, vcc_lo, s4, v99
	s_wait_alu 0xfffd
	v_add_co_ci_u32_e64 v108, null, s5, v100, vcc_lo
	global_load_b128 v[99:102], v[24:25], off offset:576
	s_clause 0x1
	global_load_b128 v[103:106], v[107:108], off
	global_load_b128 v[107:110], v[107:108], off offset:16
	s_clause 0x6
	global_load_b128 v[111:114], v[24:25], off offset:1072
	global_load_b128 v[115:118], v[24:25], off offset:1056
	;; [unrolled: 1-line block ×7, first 2 shown]
	s_wait_loadcnt 0x1c
	v_sub_co_u32 v139, vcc_lo, v139, v4
	s_wait_alu 0xfffd
	v_sub_co_ci_u32_e64 v140, null, v140, v5, vcc_lo
	s_delay_alu instid0(VALU_DEP_1) | instskip(NEXT) | instid1(VALU_DEP_1)
	v_lshlrev_b64_e32 v[139:140], 5, v[139:140]
	v_add_co_u32 v149, vcc_lo, s4, v139
	s_wait_alu 0xfffd
	s_delay_alu instid0(VALU_DEP_2)
	v_add_co_ci_u32_e64 v150, null, s5, v140, vcc_lo
	global_load_b128 v[139:142], v[24:25], off offset:1088
	global_load_b128 v[143:146], v[149:150], off
	s_wait_loadcnt 0x14
	v_fma_f64 v[18:19], v[43:44], v[63:64], v[18:19]
	v_fma_f64 v[20:21], v[35:36], v[63:64], v[20:21]
	;; [unrolled: 1-line block ×4, first 2 shown]
	s_delay_alu instid0(VALU_DEP_4) | instskip(NEXT) | instid1(VALU_DEP_4)
	v_fma_f64 v[18:19], v[45:46], v[65:66], v[18:19]
	v_fma_f64 v[20:21], v[37:38], v[65:66], v[20:21]
	s_delay_alu instid0(VALU_DEP_4) | instskip(NEXT) | instid1(VALU_DEP_4)
	v_fma_f64 v[35:36], v[61:62], v[65:66], v[16:17]
	v_fma_f64 v[37:38], v[53:54], v[65:66], v[14:15]
	global_load_b128 v[14:17], v[149:150], off offset:16
	s_wait_loadcnt 0x14
	v_fma_f64 v[39:40], v[39:40], v[67:68], v[18:19]
	v_fma_f64 v[30:31], v[30:31], v[67:68], v[20:21]
	;; [unrolled: 1-line block ×4, first 2 shown]
	s_clause 0x4
	global_load_b128 v[18:21], v[24:25], off offset:1584
	global_load_b128 v[35:38], v[24:25], off offset:1568
	;; [unrolled: 1-line block ×5, first 2 shown]
	v_fma_f64 v[63:64], v[41:42], v[69:70], v[39:40]
	v_fma_f64 v[65:66], v[32:33], v[69:70], v[30:31]
	;; [unrolled: 1-line block ×4, first 2 shown]
	v_sub_co_u32 v30, vcc_lo, v147, v4
	s_wait_alu 0xfffd
	v_sub_co_ci_u32_e64 v31, null, v148, v5, vcc_lo
	global_load_b128 v[39:42], v[24:25], off offset:1632
	v_lshlrev_b64_e32 v[30:31], 5, v[30:31]
	s_delay_alu instid0(VALU_DEP_1) | instskip(SKIP_1) | instid1(VALU_DEP_2)
	v_add_co_u32 v67, vcc_lo, s4, v30
	s_wait_alu 0xfffd
	v_add_co_ci_u32_e64 v68, null, s5, v31, vcc_lo
	global_load_b128 v[30:33], v[24:25], off offset:1600
	global_load_b128 v[47:50], v[67:68], off
	v_add_co_u32 v26, vcc_lo, v26, 16
	s_wait_alu 0xfffd
	v_add_co_ci_u32_e64 v27, null, 0, v27, vcc_lo
	s_wait_loadcnt 0x13
	v_fma_f64 v[63:64], v[83:84], v[103:104], v[63:64]
	v_fma_f64 v[65:66], v[75:76], v[103:104], v[65:66]
	;; [unrolled: 1-line block ×4, first 2 shown]
	s_delay_alu instid0(VALU_DEP_4) | instskip(NEXT) | instid1(VALU_DEP_4)
	v_fma_f64 v[69:70], v[85:86], v[105:106], v[63:64]
	v_fma_f64 v[75:76], v[77:78], v[105:106], v[65:66]
	s_delay_alu instid0(VALU_DEP_4) | instskip(NEXT) | instid1(VALU_DEP_4)
	v_fma_f64 v[77:78], v[101:102], v[105:106], v[55:56]
	v_fma_f64 v[83:84], v[93:94], v[105:106], v[57:58]
	global_load_b128 v[55:58], v[24:25], off offset:1616
	global_load_b128 v[63:66], v[67:68], off offset:16
	v_add_co_u32 v24, vcc_lo, 0x800, v24
	s_wait_alu 0xfffd
	v_add_co_ci_u32_e64 v25, null, 0, v25, vcc_lo
	v_cmp_ge_i64_e32 vcc_lo, v[26:27], v[6:7]
	s_wait_alu 0xfffe
	s_or_b32 s10, vcc_lo, s10
	s_wait_loadcnt 0x14
	v_fma_f64 v[67:68], v[79:80], v[107:108], v[69:70]
	v_fma_f64 v[69:70], v[71:72], v[107:108], v[75:76]
	;; [unrolled: 1-line block ×4, first 2 shown]
	s_delay_alu instid0(VALU_DEP_4) | instskip(NEXT) | instid1(VALU_DEP_4)
	v_fma_f64 v[67:68], v[81:82], v[109:110], v[67:68]
	v_fma_f64 v[69:70], v[73:74], v[109:110], v[69:70]
	s_delay_alu instid0(VALU_DEP_4) | instskip(NEXT) | instid1(VALU_DEP_4)
	v_fma_f64 v[71:72], v[97:98], v[109:110], v[71:72]
	v_fma_f64 v[73:74], v[89:90], v[109:110], v[75:76]
	s_wait_loadcnt 0xb
	s_delay_alu instid0(VALU_DEP_4) | instskip(NEXT) | instid1(VALU_DEP_4)
	v_fma_f64 v[67:68], v[123:124], v[143:144], v[67:68]
	v_fma_f64 v[69:70], v[115:116], v[143:144], v[69:70]
	s_delay_alu instid0(VALU_DEP_4) | instskip(NEXT) | instid1(VALU_DEP_4)
	v_fma_f64 v[71:72], v[139:140], v[143:144], v[71:72]
	v_fma_f64 v[73:74], v[131:132], v[143:144], v[73:74]
	s_delay_alu instid0(VALU_DEP_4) | instskip(NEXT) | instid1(VALU_DEP_4)
	v_fma_f64 v[67:68], v[125:126], v[145:146], v[67:68]
	v_fma_f64 v[69:70], v[117:118], v[145:146], v[69:70]
	s_delay_alu instid0(VALU_DEP_4) | instskip(NEXT) | instid1(VALU_DEP_4)
	v_fma_f64 v[71:72], v[141:142], v[145:146], v[71:72]
	v_fma_f64 v[73:74], v[133:134], v[145:146], v[73:74]
	s_wait_loadcnt 0xa
	s_delay_alu instid0(VALU_DEP_4) | instskip(NEXT) | instid1(VALU_DEP_4)
	v_fma_f64 v[67:68], v[119:120], v[14:15], v[67:68]
	v_fma_f64 v[69:70], v[111:112], v[14:15], v[69:70]
	s_delay_alu instid0(VALU_DEP_4) | instskip(NEXT) | instid1(VALU_DEP_4)
	v_fma_f64 v[71:72], v[135:136], v[14:15], v[71:72]
	v_fma_f64 v[14:15], v[127:128], v[14:15], v[73:74]
	s_delay_alu instid0(VALU_DEP_4) | instskip(NEXT) | instid1(VALU_DEP_4)
	v_fma_f64 v[67:68], v[121:122], v[16:17], v[67:68]
	v_fma_f64 v[69:70], v[113:114], v[16:17], v[69:70]
	s_delay_alu instid0(VALU_DEP_4) | instskip(NEXT) | instid1(VALU_DEP_4)
	v_fma_f64 v[71:72], v[137:138], v[16:17], v[71:72]
	v_fma_f64 v[14:15], v[129:130], v[16:17], v[14:15]
	s_wait_loadcnt 0x2
	s_delay_alu instid0(VALU_DEP_4) | instskip(NEXT) | instid1(VALU_DEP_4)
	v_fma_f64 v[16:17], v[51:52], v[47:48], v[67:68]
	v_fma_f64 v[35:36], v[35:36], v[47:48], v[69:70]
	s_delay_alu instid0(VALU_DEP_4) | instskip(NEXT) | instid1(VALU_DEP_4)
	v_fma_f64 v[30:31], v[30:31], v[47:48], v[71:72]
	v_fma_f64 v[14:15], v[39:40], v[47:48], v[14:15]
	s_delay_alu instid0(VALU_DEP_4) | instskip(NEXT) | instid1(VALU_DEP_4)
	v_fma_f64 v[16:17], v[53:54], v[49:50], v[16:17]
	v_fma_f64 v[35:36], v[37:38], v[49:50], v[35:36]
	s_delay_alu instid0(VALU_DEP_4) | instskip(NEXT) | instid1(VALU_DEP_4)
	v_fma_f64 v[30:31], v[32:33], v[49:50], v[30:31]
	v_fma_f64 v[14:15], v[41:42], v[49:50], v[14:15]
	s_wait_loadcnt 0x0
	s_delay_alu instid0(VALU_DEP_4) | instskip(NEXT) | instid1(VALU_DEP_4)
	v_fma_f64 v[16:17], v[43:44], v[63:64], v[16:17]
	v_fma_f64 v[32:33], v[18:19], v[63:64], v[35:36]
	s_delay_alu instid0(VALU_DEP_4) | instskip(NEXT) | instid1(VALU_DEP_4)
	v_fma_f64 v[30:31], v[55:56], v[63:64], v[30:31]
	v_fma_f64 v[14:15], v[59:60], v[63:64], v[14:15]
	s_delay_alu instid0(VALU_DEP_4) | instskip(NEXT) | instid1(VALU_DEP_4)
	v_fma_f64 v[18:19], v[45:46], v[65:66], v[16:17]
	v_fma_f64 v[20:21], v[20:21], v[65:66], v[32:33]
	s_delay_alu instid0(VALU_DEP_4) | instskip(NEXT) | instid1(VALU_DEP_4)
	v_fma_f64 v[16:17], v[57:58], v[65:66], v[30:31]
	v_fma_f64 v[14:15], v[61:62], v[65:66], v[14:15]
	s_wait_alu 0xfffe
	s_and_not1_b32 exec_lo, exec_lo, s10
	s_cbranch_execnz .LBB45_23
; %bb.24:
	s_or_b32 exec_lo, exec_lo, s10
.LBB45_25:
	s_wait_alu 0xfffe
	s_or_b32 exec_lo, exec_lo, s7
.LBB45_26:
	s_wait_alu 0xfffe
	s_or_b32 exec_lo, exec_lo, s6
	s_cbranch_execz .LBB45_28
	s_branch .LBB45_39
.LBB45_27:
                                        ; implicit-def: $vgpr14_vgpr15
                                        ; implicit-def: $vgpr16_vgpr17
                                        ; implicit-def: $vgpr20_vgpr21
                                        ; implicit-def: $vgpr18_vgpr19
.LBB45_28:
	v_mov_b32_e32 v14, 0
	v_dual_mov_b32 v20, 0 :: v_dual_mov_b32 v15, 0
	v_dual_mov_b32 v16, 0 :: v_dual_mov_b32 v21, 0
	;; [unrolled: 1-line block ×3, first 2 shown]
	v_mov_b32_e32 v19, 0
	s_and_saveexec_b32 s3, s2
	s_cbranch_execz .LBB45_38
; %bb.29:
	v_or_b32_e32 v14, 4, v34
	v_not_b32_e32 v17, v22
	v_sub_co_u32 v18, s2, v4, v34
	v_not_b32_e32 v16, v23
	s_delay_alu instid0(VALU_DEP_4)
	v_sub_co_u32 v14, vcc_lo, v14, v4
	s_wait_alu 0xfffd
	v_sub_co_ci_u32_e64 v15, null, 0, v5, vcc_lo
	s_wait_alu 0xf1ff
	v_subrev_co_ci_u32_e64 v19, null, 0, v5, s2
	v_add_co_u32 v14, vcc_lo, v14, v22
	s_wait_alu 0xfffd
	v_add_co_ci_u32_e64 v15, null, v15, v23, vcc_lo
	s_delay_alu instid0(VALU_DEP_1)
	v_cmp_gt_i64_e32 vcc_lo, v[14:15], v[6:7]
	s_wait_alu 0xfffd
	v_cndmask_b32_e32 v20, v7, v15, vcc_lo
	v_cndmask_b32_e32 v14, v6, v14, vcc_lo
	v_add_co_u32 v15, vcc_lo, v18, v17
	s_wait_alu 0xfffd
	v_add_co_ci_u32_e64 v16, null, v19, v16, vcc_lo
	v_mov_b32_e32 v18, 0
	v_mov_b32_e32 v19, 0
	v_add_co_u32 v22, vcc_lo, v15, v14
	v_mov_b32_e32 v15, 0
	s_wait_alu 0xfffd
	v_add_co_ci_u32_e64 v23, null, v16, v20, vcc_lo
	s_delay_alu instid0(VALU_DEP_3) | instskip(SKIP_3) | instid1(VALU_DEP_4)
	v_and_b32_e32 v14, 12, v22
	v_mov_b32_e32 v20, 0
	v_dual_mov_b32 v21, 0 :: v_dual_mov_b32 v16, 0
	v_mov_b32_e32 v17, 0
	v_cmp_ne_u64_e32 vcc_lo, 12, v[14:15]
	v_mov_b32_e32 v14, 0
	v_mov_b32_e32 v15, 0
	s_and_saveexec_b32 s6, vcc_lo
	s_cbranch_execz .LBB45_33
; %bb.30:
	v_lshrrev_b32_e32 v14, 2, v22
	v_lshlrev_b64_e32 v[24:25], 3, v[0:1]
	v_mov_b32_e32 v16, 0
	v_mov_b32_e32 v20, 0
	;; [unrolled: 1-line block ×3, first 2 shown]
	v_add_nc_u32_e32 v26, 1, v14
	v_dual_mov_b32 v14, 0 :: v_dual_mov_b32 v17, 0
	v_mov_b32_e32 v15, 0
	v_add_co_u32 v24, vcc_lo, s8, v24
	s_delay_alu instid0(VALU_DEP_4) | instskip(SKIP_3) | instid1(VALU_DEP_3)
	v_dual_mov_b32 v21, 0 :: v_dual_and_b32 v26, 3, v26
	v_mov_b32_e32 v19, 0
	s_wait_alu 0xfffd
	v_add_co_ci_u32_e64 v25, null, s9, v25, vcc_lo
	v_sub_co_u32 v26, s2, 0, v26
	s_wait_alu 0xf1ff
	v_sub_co_ci_u32_e64 v27, null, 0, 0, s2
	s_mov_b32 s7, 0
.LBB45_31:                              ; =>This Inner Loop Header: Depth=1
	global_load_b64 v[32:33], v[24:25], off
	global_load_b128 v[28:31], v[12:13], off offset:16
	v_add_co_u32 v24, s2, v24, 32
	s_wait_alu 0xf1ff
	v_add_co_ci_u32_e64 v25, null, 0, v25, s2
	s_wait_loadcnt 0x1
	v_sub_co_u32 v32, vcc_lo, v32, v4
	s_wait_alu 0xfffd
	v_sub_co_ci_u32_e64 v33, null, v33, v5, vcc_lo
	s_delay_alu instid0(VALU_DEP_1) | instskip(SKIP_1) | instid1(VALU_DEP_1)
	v_lshlrev_b64_e32 v[32:33], 5, v[32:33]
	s_wait_kmcnt 0x0
	v_add_co_u32 v32, vcc_lo, s4, v32
	s_wait_alu 0xfffd
	s_delay_alu instid0(VALU_DEP_2)
	v_add_co_ci_u32_e64 v33, null, s5, v33, vcc_lo
	global_load_b128 v[35:38], v[12:13], off
	s_clause 0x1
	global_load_b128 v[39:42], v[32:33], off
	global_load_b128 v[43:46], v[32:33], off offset:16
	s_clause 0x5
	global_load_b128 v[47:50], v[12:13], off offset:32
	global_load_b128 v[51:54], v[12:13], off offset:48
	;; [unrolled: 1-line block ×6, first 2 shown]
	v_add_co_u32 v12, vcc_lo, 0x200, v12
	s_wait_alu 0xfffd
	v_add_co_ci_u32_e64 v13, null, 0, v13, vcc_lo
	v_add_co_u32 v26, vcc_lo, v26, 1
	s_wait_alu 0xfffd
	v_add_co_ci_u32_e64 v27, null, 0, v27, vcc_lo
	;; [unrolled: 3-line block ×3, first 2 shown]
	s_delay_alu instid0(VALU_DEP_3)
	v_cmp_eq_u64_e32 vcc_lo, 0, v[26:27]
	s_wait_alu 0xfffe
	s_or_b32 s7, vcc_lo, s7
	s_wait_loadcnt 0x7
	v_fma_f64 v[18:19], v[35:36], v[39:40], v[18:19]
	v_fma_f64 v[20:21], v[37:38], v[39:40], v[20:21]
	;; [unrolled: 1-line block ×4, first 2 shown]
	s_wait_loadcnt 0x5
	s_delay_alu instid0(VALU_DEP_4) | instskip(NEXT) | instid1(VALU_DEP_4)
	v_fma_f64 v[18:19], v[47:48], v[41:42], v[18:19]
	v_fma_f64 v[20:21], v[49:50], v[41:42], v[20:21]
	s_wait_loadcnt 0x4
	s_delay_alu instid0(VALU_DEP_4) | instskip(NEXT) | instid1(VALU_DEP_4)
	v_fma_f64 v[16:17], v[51:52], v[41:42], v[16:17]
	v_fma_f64 v[14:15], v[53:54], v[41:42], v[14:15]
	;; [unrolled: 4-line block ×6, first 2 shown]
	s_wait_alu 0xfffe
	s_and_not1_b32 exec_lo, exec_lo, s7
	s_cbranch_execnz .LBB45_31
; %bb.32:
	s_or_b32 exec_lo, exec_lo, s7
.LBB45_33:
	s_wait_alu 0xfffe
	s_or_b32 exec_lo, exec_lo, s6
	s_delay_alu instid0(SALU_CYCLE_1)
	s_mov_b32 s6, exec_lo
	v_cmpx_lt_u64_e32 11, v[22:23]
	s_cbranch_execz .LBB45_37
; %bb.34:
	v_lshlrev_b64_e32 v[22:23], 3, v[0:1]
	s_mov_b32 s7, 0
	s_delay_alu instid0(VALU_DEP_1) | instskip(SKIP_1) | instid1(VALU_DEP_2)
	v_add_co_u32 v22, vcc_lo, s8, v22
	s_wait_alu 0xfffd
	v_add_co_ci_u32_e64 v23, null, s9, v23, vcc_lo
	s_delay_alu instid0(VALU_DEP_2) | instskip(SKIP_1) | instid1(VALU_DEP_2)
	v_add_co_u32 v22, vcc_lo, v22, 64
	s_wait_alu 0xfffd
	v_add_co_ci_u32_e64 v23, null, 0, v23, vcc_lo
.LBB45_35:                              ; =>This Inner Loop Header: Depth=1
	s_clause 0x2
	global_load_b64 v[32:33], v[22:23], off offset:-64
	global_load_b64 v[71:72], v[22:23], off offset:-32
	global_load_b64 v[111:112], v[22:23], off
	s_clause 0x1
	global_load_b128 v[24:27], v[12:13], off offset:16
	global_load_b128 v[28:31], v[12:13], off
	global_load_b64 v[119:120], v[22:23], off offset:32
	v_add_co_u32 v22, s2, 0x80, v22
	s_wait_alu 0xf1ff
	v_add_co_ci_u32_e64 v23, null, 0, v23, s2
	s_wait_loadcnt 0x5
	v_sub_co_u32 v32, vcc_lo, v32, v4
	s_wait_alu 0xfffd
	v_sub_co_ci_u32_e64 v33, null, v33, v5, vcc_lo
	s_delay_alu instid0(VALU_DEP_1) | instskip(SKIP_1) | instid1(VALU_DEP_1)
	v_lshlrev_b64_e32 v[32:33], 5, v[32:33]
	s_wait_kmcnt 0x0
	v_add_co_u32 v32, vcc_lo, s4, v32
	s_wait_alu 0xfffd
	s_delay_alu instid0(VALU_DEP_2)
	v_add_co_ci_u32_e64 v33, null, s5, v33, vcc_lo
	global_load_b128 v[35:38], v[32:33], off
	s_clause 0x3
	global_load_b128 v[39:42], v[12:13], off offset:32
	global_load_b128 v[43:46], v[12:13], off offset:48
	;; [unrolled: 1-line block ×5, first 2 shown]
	s_clause 0x2
	global_load_b128 v[59:62], v[12:13], off offset:96
	global_load_b128 v[63:66], v[12:13], off offset:112
	;; [unrolled: 1-line block ×3, first 2 shown]
	s_wait_loadcnt 0xd
	v_sub_co_u32 v32, vcc_lo, v71, v4
	s_wait_alu 0xfffd
	v_sub_co_ci_u32_e64 v33, null, v72, v5, vcc_lo
	s_delay_alu instid0(VALU_DEP_1) | instskip(NEXT) | instid1(VALU_DEP_1)
	v_lshlrev_b64_e32 v[32:33], 5, v[32:33]
	v_add_co_u32 v32, vcc_lo, s4, v32
	s_wait_alu 0xfffd
	s_delay_alu instid0(VALU_DEP_2)
	v_add_co_ci_u32_e64 v33, null, s5, v33, vcc_lo
	global_load_b128 v[71:74], v[12:13], off offset:512
	global_load_b128 v[75:78], v[32:33], off
	s_clause 0x3
	global_load_b128 v[79:82], v[12:13], off offset:544
	global_load_b128 v[83:86], v[12:13], off offset:560
	;; [unrolled: 1-line block ×5, first 2 shown]
	s_clause 0x2
	global_load_b128 v[99:102], v[12:13], off offset:608
	global_load_b128 v[103:106], v[12:13], off offset:624
	;; [unrolled: 1-line block ×3, first 2 shown]
	s_wait_loadcnt 0x16
	v_sub_co_u32 v32, vcc_lo, v111, v4
	s_wait_alu 0xfffd
	v_sub_co_ci_u32_e64 v33, null, v112, v5, vcc_lo
	s_delay_alu instid0(VALU_DEP_1) | instskip(NEXT) | instid1(VALU_DEP_1)
	v_lshlrev_b64_e32 v[32:33], 5, v[32:33]
	v_add_co_u32 v32, vcc_lo, s4, v32
	s_wait_alu 0xfffd
	s_delay_alu instid0(VALU_DEP_2)
	v_add_co_ci_u32_e64 v33, null, s5, v33, vcc_lo
	global_load_b128 v[111:114], v[12:13], off offset:1024
	global_load_b128 v[115:118], v[32:33], off
	s_wait_loadcnt 0x14
	v_fma_f64 v[28:29], v[28:29], v[35:36], v[18:19]
	v_fma_f64 v[30:31], v[30:31], v[35:36], v[20:21]
	v_fma_f64 v[24:25], v[24:25], v[35:36], v[16:17]
	v_fma_f64 v[26:27], v[26:27], v[35:36], v[14:15]
	s_clause 0x1
	global_load_b128 v[14:17], v[12:13], off offset:1056
	global_load_b128 v[18:21], v[12:13], off offset:1072
	s_wait_loadcnt 0x15
	v_fma_f64 v[39:40], v[39:40], v[37:38], v[28:29]
	v_fma_f64 v[41:42], v[41:42], v[37:38], v[30:31]
	s_wait_loadcnt 0x14
	v_fma_f64 v[43:44], v[43:44], v[37:38], v[24:25]
	v_fma_f64 v[45:46], v[45:46], v[37:38], v[26:27]
	s_clause 0x1
	global_load_b128 v[24:27], v[12:13], off offset:1104
	global_load_b128 v[28:31], v[12:13], off offset:1088
	;; [unrolled: 1-line block ×3, first 2 shown]
	s_wait_loadcnt 0x14
	v_fma_f64 v[32:33], v[47:48], v[55:56], v[39:40]
	v_fma_f64 v[121:122], v[49:50], v[55:56], v[41:42]
	;; [unrolled: 1-line block ×4, first 2 shown]
	s_clause 0x2
	global_load_b128 v[39:42], v[12:13], off offset:1120
	global_load_b128 v[43:46], v[12:13], off offset:1136
	;; [unrolled: 1-line block ×3, first 2 shown]
	v_sub_co_u32 v55, vcc_lo, v119, v4
	s_wait_alu 0xfffd
	v_sub_co_ci_u32_e64 v56, null, v120, v5, vcc_lo
	s_wait_loadcnt 0x16
	v_fma_f64 v[32:33], v[59:60], v[57:58], v[32:33]
	v_fma_f64 v[59:60], v[61:62], v[57:58], v[121:122]
	s_wait_loadcnt 0x15
	v_fma_f64 v[61:62], v[63:64], v[57:58], v[51:52]
	v_fma_f64 v[63:64], v[65:66], v[57:58], v[53:54]
	v_lshlrev_b64_e32 v[51:52], 5, v[55:56]
	s_delay_alu instid0(VALU_DEP_1) | instskip(SKIP_1) | instid1(VALU_DEP_2)
	v_add_co_u32 v119, vcc_lo, s4, v51
	s_wait_alu 0xfffd
	v_add_co_ci_u32_e64 v120, null, s5, v52, vcc_lo
	global_load_b128 v[51:54], v[12:13], off offset:1536
	global_load_b128 v[55:58], v[119:120], off
	v_add_co_u32 v0, vcc_lo, v0, 16
	s_wait_alu 0xfffd
	v_add_co_ci_u32_e64 v1, null, 0, v1, vcc_lo
	s_wait_loadcnt 0x14
	v_fma_f64 v[32:33], v[71:72], v[75:76], v[32:33]
	v_fma_f64 v[71:72], v[73:74], v[75:76], v[59:60]
	;; [unrolled: 1-line block ×4, first 2 shown]
	s_clause 0x1
	global_load_b128 v[59:62], v[12:13], off offset:1568
	global_load_b128 v[63:66], v[12:13], off offset:1584
	s_wait_loadcnt 0x15
	v_fma_f64 v[32:33], v[79:80], v[77:78], v[32:33]
	v_fma_f64 v[79:80], v[81:82], v[77:78], v[71:72]
	s_wait_loadcnt 0x14
	v_fma_f64 v[81:82], v[83:84], v[77:78], v[67:68]
	v_fma_f64 v[83:84], v[85:86], v[77:78], v[69:70]
	s_clause 0x1
	global_load_b128 v[67:70], v[12:13], off offset:1600
	global_load_b128 v[71:74], v[12:13], off offset:1616
	;; [unrolled: 1-line block ×3, first 2 shown]
	s_wait_loadcnt 0x14
	v_fma_f64 v[32:33], v[87:88], v[95:96], v[32:33]
	v_fma_f64 v[87:88], v[89:90], v[95:96], v[79:80]
	;; [unrolled: 1-line block ×4, first 2 shown]
	s_clause 0x1
	global_load_b128 v[79:82], v[12:13], off offset:1632
	global_load_b128 v[83:86], v[12:13], off offset:1648
	v_add_co_u32 v12, vcc_lo, 0x800, v12
	s_wait_alu 0xfffd
	v_add_co_ci_u32_e64 v13, null, 0, v13, vcc_lo
	v_cmp_ge_i64_e32 vcc_lo, v[0:1], v[6:7]
	s_wait_alu 0xfffe
	s_or_b32 s7, vcc_lo, s7
	s_wait_loadcnt 0x15
	v_fma_f64 v[32:33], v[99:100], v[97:98], v[32:33]
	v_fma_f64 v[87:88], v[101:102], v[97:98], v[87:88]
	s_wait_loadcnt 0x14
	v_fma_f64 v[89:90], v[103:104], v[97:98], v[89:90]
	v_fma_f64 v[91:92], v[105:106], v[97:98], v[91:92]
	s_wait_loadcnt 0x11
	s_delay_alu instid0(VALU_DEP_4) | instskip(NEXT) | instid1(VALU_DEP_4)
	v_fma_f64 v[32:33], v[111:112], v[115:116], v[32:33]
	v_fma_f64 v[87:88], v[113:114], v[115:116], v[87:88]
	s_delay_alu instid0(VALU_DEP_4) | instskip(NEXT) | instid1(VALU_DEP_4)
	v_fma_f64 v[89:90], v[107:108], v[115:116], v[89:90]
	v_fma_f64 v[91:92], v[109:110], v[115:116], v[91:92]
	s_wait_loadcnt 0x10
	s_delay_alu instid0(VALU_DEP_4) | instskip(NEXT) | instid1(VALU_DEP_4)
	v_fma_f64 v[14:15], v[14:15], v[117:118], v[32:33]
	v_fma_f64 v[16:17], v[16:17], v[117:118], v[87:88]
	s_wait_loadcnt 0xf
	s_delay_alu instid0(VALU_DEP_4) | instskip(NEXT) | instid1(VALU_DEP_4)
	v_fma_f64 v[18:19], v[18:19], v[117:118], v[89:90]
	v_fma_f64 v[20:21], v[20:21], v[117:118], v[91:92]
	s_wait_loadcnt 0xc
	s_delay_alu instid0(VALU_DEP_4) | instskip(NEXT) | instid1(VALU_DEP_4)
	v_fma_f64 v[14:15], v[28:29], v[35:36], v[14:15]
	v_fma_f64 v[16:17], v[30:31], v[35:36], v[16:17]
	s_delay_alu instid0(VALU_DEP_4) | instskip(NEXT) | instid1(VALU_DEP_4)
	v_fma_f64 v[18:19], v[24:25], v[35:36], v[18:19]
	v_fma_f64 v[20:21], v[26:27], v[35:36], v[20:21]
	s_wait_loadcnt 0xb
	s_delay_alu instid0(VALU_DEP_4) | instskip(NEXT) | instid1(VALU_DEP_4)
	v_fma_f64 v[14:15], v[39:40], v[37:38], v[14:15]
	v_fma_f64 v[16:17], v[41:42], v[37:38], v[16:17]
	s_wait_loadcnt 0xa
	s_delay_alu instid0(VALU_DEP_4) | instskip(NEXT) | instid1(VALU_DEP_4)
	;; [unrolled: 15-line block ×4, first 2 shown]
	v_fma_f64 v[16:17], v[83:84], v[77:78], v[24:25]
	v_fma_f64 v[14:15], v[85:86], v[77:78], v[26:27]
	s_wait_alu 0xfffe
	s_and_not1_b32 exec_lo, exec_lo, s7
	s_cbranch_execnz .LBB45_35
; %bb.36:
	s_or_b32 exec_lo, exec_lo, s7
.LBB45_37:
	s_wait_alu 0xfffe
	s_or_b32 exec_lo, exec_lo, s6
.LBB45_38:
	s_wait_alu 0xfffe
	s_or_b32 exec_lo, exec_lo, s3
.LBB45_39:
	v_mbcnt_lo_u32_b32 v26, -1, 0
	s_delay_alu instid0(VALU_DEP_1) | instskip(NEXT) | instid1(VALU_DEP_1)
	v_xor_b32_e32 v0, 2, v26
	v_cmp_gt_i32_e32 vcc_lo, 32, v0
	s_wait_alu 0xfffd
	v_cndmask_b32_e32 v0, v26, v0, vcc_lo
	s_delay_alu instid0(VALU_DEP_1)
	v_lshlrev_b32_e32 v6, 2, v0
	ds_bpermute_b32 v0, v6, v18
	ds_bpermute_b32 v1, v6, v19
	;; [unrolled: 1-line block ×8, first 2 shown]
	s_wait_dscnt 0x6
	v_add_f64_e32 v[12:13], v[18:19], v[0:1]
	s_wait_dscnt 0x4
	v_add_f64_e32 v[6:7], v[20:21], v[4:5]
	;; [unrolled: 2-line block ×4, first 2 shown]
	v_xor_b32_e32 v14, 1, v26
	s_delay_alu instid0(VALU_DEP_1) | instskip(SKIP_3) | instid1(VALU_DEP_2)
	v_cmp_gt_i32_e32 vcc_lo, 32, v14
	s_wait_alu 0xfffd
	v_cndmask_b32_e32 v14, v26, v14, vcc_lo
	v_cmp_eq_u32_e32 vcc_lo, 3, v34
	v_lshlrev_b32_e32 v15, 2, v14
	ds_bpermute_b32 v20, v15, v12
	ds_bpermute_b32 v21, v15, v13
	;; [unrolled: 1-line block ×8, first 2 shown]
	s_and_b32 exec_lo, exec_lo, vcc_lo
	s_cbranch_execz .LBB45_10
; %bb.40:
	s_wait_dscnt 0x6
	v_add_f64_e32 v[12:13], v[12:13], v[20:21]
	s_wait_dscnt 0x4
	v_add_f64_e32 v[6:7], v[6:7], v[18:19]
	;; [unrolled: 2-line block ×4, first 2 shown]
	s_load_b64 s[0:1], s[0:1], 0x58
	v_lshlrev_b64_e32 v[10:11], 5, v[10:11]
	s_mov_b32 s2, exec_lo
	v_mul_f64_e32 v[4:5], v[2:3], v[12:13]
	v_mul_f64_e32 v[6:7], v[2:3], v[6:7]
	;; [unrolled: 1-line block ×4, first 2 shown]
	v_cmpx_eq_f64_e32 0, v[8:9]
	s_wait_alu 0xfffe
	s_xor_b32 s2, exec_lo, s2
	s_cbranch_execz .LBB45_42
; %bb.41:
	s_wait_kmcnt 0x0
	v_add_co_u32 v8, vcc_lo, s0, v10
	s_wait_alu 0xfffd
	v_add_co_ci_u32_e64 v9, null, s1, v11, vcc_lo
                                        ; implicit-def: $vgpr10_vgpr11
	s_clause 0x1
	global_store_b128 v[8:9], v[4:7], off
	global_store_b128 v[8:9], v[0:3], off offset:16
                                        ; implicit-def: $vgpr8_vgpr9
                                        ; implicit-def: $vgpr4_vgpr5
                                        ; implicit-def: $vgpr0_vgpr1
.LBB45_42:
	s_wait_alu 0xfffe
	s_and_not1_saveexec_b32 s2, s2
	s_cbranch_execz .LBB45_10
; %bb.43:
	s_wait_kmcnt 0x0
	v_add_co_u32 v18, vcc_lo, s0, v10
	s_wait_alu 0xfffd
	v_add_co_ci_u32_e64 v19, null, s1, v11, vcc_lo
	s_clause 0x1
	global_load_b128 v[10:13], v[18:19], off
	global_load_b128 v[14:17], v[18:19], off offset:16
	s_wait_loadcnt 0x1
	v_fma_f64 v[4:5], v[8:9], v[10:11], v[4:5]
	v_fma_f64 v[6:7], v[8:9], v[12:13], v[6:7]
	s_wait_loadcnt 0x0
	v_fma_f64 v[0:1], v[8:9], v[14:15], v[0:1]
	v_fma_f64 v[2:3], v[8:9], v[16:17], v[2:3]
	s_clause 0x1
	global_store_b128 v[18:19], v[4:7], off
	global_store_b128 v[18:19], v[0:3], off offset:16
	s_nop 0
	s_sendmsg sendmsg(MSG_DEALLOC_VGPRS)
	s_endpgm
	.section	.rodata,"a",@progbits
	.p2align	6, 0x0
	.amdhsa_kernel _ZN9rocsparseL18bsrxmvn_4x4_kernelILj128ELj4EdlldddEEvT3_20rocsparse_direction_NS_24const_host_device_scalarIT1_EES1_PKS1_PKT2_SA_S7_PKT4_PKT5_S5_PT6_21rocsparse_index_base_b
		.amdhsa_group_segment_fixed_size 0
		.amdhsa_private_segment_fixed_size 0
		.amdhsa_kernarg_size 104
		.amdhsa_user_sgpr_count 2
		.amdhsa_user_sgpr_dispatch_ptr 0
		.amdhsa_user_sgpr_queue_ptr 0
		.amdhsa_user_sgpr_kernarg_segment_ptr 1
		.amdhsa_user_sgpr_dispatch_id 0
		.amdhsa_user_sgpr_private_segment_size 0
		.amdhsa_wavefront_size32 1
		.amdhsa_uses_dynamic_stack 0
		.amdhsa_enable_private_segment 0
		.amdhsa_system_sgpr_workgroup_id_x 1
		.amdhsa_system_sgpr_workgroup_id_y 0
		.amdhsa_system_sgpr_workgroup_id_z 0
		.amdhsa_system_sgpr_workgroup_info 0
		.amdhsa_system_vgpr_workitem_id 0
		.amdhsa_next_free_vgpr 151
		.amdhsa_next_free_sgpr 12
		.amdhsa_reserve_vcc 1
		.amdhsa_float_round_mode_32 0
		.amdhsa_float_round_mode_16_64 0
		.amdhsa_float_denorm_mode_32 3
		.amdhsa_float_denorm_mode_16_64 3
		.amdhsa_fp16_overflow 0
		.amdhsa_workgroup_processor_mode 1
		.amdhsa_memory_ordered 1
		.amdhsa_forward_progress 1
		.amdhsa_inst_pref_size 48
		.amdhsa_round_robin_scheduling 0
		.amdhsa_exception_fp_ieee_invalid_op 0
		.amdhsa_exception_fp_denorm_src 0
		.amdhsa_exception_fp_ieee_div_zero 0
		.amdhsa_exception_fp_ieee_overflow 0
		.amdhsa_exception_fp_ieee_underflow 0
		.amdhsa_exception_fp_ieee_inexact 0
		.amdhsa_exception_int_div_zero 0
	.end_amdhsa_kernel
	.section	.text._ZN9rocsparseL18bsrxmvn_4x4_kernelILj128ELj4EdlldddEEvT3_20rocsparse_direction_NS_24const_host_device_scalarIT1_EES1_PKS1_PKT2_SA_S7_PKT4_PKT5_S5_PT6_21rocsparse_index_base_b,"axG",@progbits,_ZN9rocsparseL18bsrxmvn_4x4_kernelILj128ELj4EdlldddEEvT3_20rocsparse_direction_NS_24const_host_device_scalarIT1_EES1_PKS1_PKT2_SA_S7_PKT4_PKT5_S5_PT6_21rocsparse_index_base_b,comdat
.Lfunc_end45:
	.size	_ZN9rocsparseL18bsrxmvn_4x4_kernelILj128ELj4EdlldddEEvT3_20rocsparse_direction_NS_24const_host_device_scalarIT1_EES1_PKS1_PKT2_SA_S7_PKT4_PKT5_S5_PT6_21rocsparse_index_base_b, .Lfunc_end45-_ZN9rocsparseL18bsrxmvn_4x4_kernelILj128ELj4EdlldddEEvT3_20rocsparse_direction_NS_24const_host_device_scalarIT1_EES1_PKS1_PKT2_SA_S7_PKT4_PKT5_S5_PT6_21rocsparse_index_base_b
                                        ; -- End function
	.set _ZN9rocsparseL18bsrxmvn_4x4_kernelILj128ELj4EdlldddEEvT3_20rocsparse_direction_NS_24const_host_device_scalarIT1_EES1_PKS1_PKT2_SA_S7_PKT4_PKT5_S5_PT6_21rocsparse_index_base_b.num_vgpr, 151
	.set _ZN9rocsparseL18bsrxmvn_4x4_kernelILj128ELj4EdlldddEEvT3_20rocsparse_direction_NS_24const_host_device_scalarIT1_EES1_PKS1_PKT2_SA_S7_PKT4_PKT5_S5_PT6_21rocsparse_index_base_b.num_agpr, 0
	.set _ZN9rocsparseL18bsrxmvn_4x4_kernelILj128ELj4EdlldddEEvT3_20rocsparse_direction_NS_24const_host_device_scalarIT1_EES1_PKS1_PKT2_SA_S7_PKT4_PKT5_S5_PT6_21rocsparse_index_base_b.numbered_sgpr, 12
	.set _ZN9rocsparseL18bsrxmvn_4x4_kernelILj128ELj4EdlldddEEvT3_20rocsparse_direction_NS_24const_host_device_scalarIT1_EES1_PKS1_PKT2_SA_S7_PKT4_PKT5_S5_PT6_21rocsparse_index_base_b.num_named_barrier, 0
	.set _ZN9rocsparseL18bsrxmvn_4x4_kernelILj128ELj4EdlldddEEvT3_20rocsparse_direction_NS_24const_host_device_scalarIT1_EES1_PKS1_PKT2_SA_S7_PKT4_PKT5_S5_PT6_21rocsparse_index_base_b.private_seg_size, 0
	.set _ZN9rocsparseL18bsrxmvn_4x4_kernelILj128ELj4EdlldddEEvT3_20rocsparse_direction_NS_24const_host_device_scalarIT1_EES1_PKS1_PKT2_SA_S7_PKT4_PKT5_S5_PT6_21rocsparse_index_base_b.uses_vcc, 1
	.set _ZN9rocsparseL18bsrxmvn_4x4_kernelILj128ELj4EdlldddEEvT3_20rocsparse_direction_NS_24const_host_device_scalarIT1_EES1_PKS1_PKT2_SA_S7_PKT4_PKT5_S5_PT6_21rocsparse_index_base_b.uses_flat_scratch, 0
	.set _ZN9rocsparseL18bsrxmvn_4x4_kernelILj128ELj4EdlldddEEvT3_20rocsparse_direction_NS_24const_host_device_scalarIT1_EES1_PKS1_PKT2_SA_S7_PKT4_PKT5_S5_PT6_21rocsparse_index_base_b.has_dyn_sized_stack, 0
	.set _ZN9rocsparseL18bsrxmvn_4x4_kernelILj128ELj4EdlldddEEvT3_20rocsparse_direction_NS_24const_host_device_scalarIT1_EES1_PKS1_PKT2_SA_S7_PKT4_PKT5_S5_PT6_21rocsparse_index_base_b.has_recursion, 0
	.set _ZN9rocsparseL18bsrxmvn_4x4_kernelILj128ELj4EdlldddEEvT3_20rocsparse_direction_NS_24const_host_device_scalarIT1_EES1_PKS1_PKT2_SA_S7_PKT4_PKT5_S5_PT6_21rocsparse_index_base_b.has_indirect_call, 0
	.section	.AMDGPU.csdata,"",@progbits
; Kernel info:
; codeLenInByte = 6116
; TotalNumSgprs: 14
; NumVgprs: 151
; ScratchSize: 0
; MemoryBound: 1
; FloatMode: 240
; IeeeMode: 1
; LDSByteSize: 0 bytes/workgroup (compile time only)
; SGPRBlocks: 0
; VGPRBlocks: 18
; NumSGPRsForWavesPerEU: 14
; NumVGPRsForWavesPerEU: 151
; Occupancy: 9
; WaveLimiterHint : 1
; COMPUTE_PGM_RSRC2:SCRATCH_EN: 0
; COMPUTE_PGM_RSRC2:USER_SGPR: 2
; COMPUTE_PGM_RSRC2:TRAP_HANDLER: 0
; COMPUTE_PGM_RSRC2:TGID_X_EN: 1
; COMPUTE_PGM_RSRC2:TGID_Y_EN: 0
; COMPUTE_PGM_RSRC2:TGID_Z_EN: 0
; COMPUTE_PGM_RSRC2:TIDIG_COMP_CNT: 0
	.section	.text._ZN9rocsparseL18bsrxmvn_4x4_kernelILj128ELj8EdlldddEEvT3_20rocsparse_direction_NS_24const_host_device_scalarIT1_EES1_PKS1_PKT2_SA_S7_PKT4_PKT5_S5_PT6_21rocsparse_index_base_b,"axG",@progbits,_ZN9rocsparseL18bsrxmvn_4x4_kernelILj128ELj8EdlldddEEvT3_20rocsparse_direction_NS_24const_host_device_scalarIT1_EES1_PKS1_PKT2_SA_S7_PKT4_PKT5_S5_PT6_21rocsparse_index_base_b,comdat
	.globl	_ZN9rocsparseL18bsrxmvn_4x4_kernelILj128ELj8EdlldddEEvT3_20rocsparse_direction_NS_24const_host_device_scalarIT1_EES1_PKS1_PKT2_SA_S7_PKT4_PKT5_S5_PT6_21rocsparse_index_base_b ; -- Begin function _ZN9rocsparseL18bsrxmvn_4x4_kernelILj128ELj8EdlldddEEvT3_20rocsparse_direction_NS_24const_host_device_scalarIT1_EES1_PKS1_PKT2_SA_S7_PKT4_PKT5_S5_PT6_21rocsparse_index_base_b
	.p2align	8
	.type	_ZN9rocsparseL18bsrxmvn_4x4_kernelILj128ELj8EdlldddEEvT3_20rocsparse_direction_NS_24const_host_device_scalarIT1_EES1_PKS1_PKT2_SA_S7_PKT4_PKT5_S5_PT6_21rocsparse_index_base_b,@function
_ZN9rocsparseL18bsrxmvn_4x4_kernelILj128ELj8EdlldddEEvT3_20rocsparse_direction_NS_24const_host_device_scalarIT1_EES1_PKS1_PKT2_SA_S7_PKT4_PKT5_S5_PT6_21rocsparse_index_base_b: ; @_ZN9rocsparseL18bsrxmvn_4x4_kernelILj128ELj8EdlldddEEvT3_20rocsparse_direction_NS_24const_host_device_scalarIT1_EES1_PKS1_PKT2_SA_S7_PKT4_PKT5_S5_PT6_21rocsparse_index_base_b
; %bb.0:
	s_clause 0x2
	s_load_b64 s[8:9], s[0:1], 0x60
	s_load_b128 s[4:7], s[0:1], 0x10
	s_load_b64 s[2:3], s[0:1], 0x50
	s_wait_kmcnt 0x0
	s_bitcmp1_b32 s9, 0
	v_dual_mov_b32 v2, s4 :: v_dual_mov_b32 v3, s5
	s_cselect_b32 s9, -1, 0
	s_delay_alu instid0(SALU_CYCLE_1)
	s_and_b32 vcc_lo, exec_lo, s9
	s_xor_b32 s9, s9, -1
	s_cbranch_vccnz .LBB46_2
; %bb.1:
	v_dual_mov_b32 v1, s4 :: v_dual_mov_b32 v2, s5
	flat_load_b64 v[2:3], v[1:2]
.LBB46_2:
	v_dual_mov_b32 v9, s3 :: v_dual_mov_b32 v8, s2
	s_and_not1_b32 vcc_lo, exec_lo, s9
	s_cbranch_vccnz .LBB46_4
; %bb.3:
	v_dual_mov_b32 v5, s3 :: v_dual_mov_b32 v4, s2
	flat_load_b64 v[8:9], v[4:5]
.LBB46_4:
	s_wait_loadcnt_dscnt 0x0
	v_cmp_neq_f64_e32 vcc_lo, 0, v[2:3]
	v_cmp_neq_f64_e64 s2, 1.0, v[8:9]
	s_or_b32 s2, vcc_lo, s2
	s_wait_alu 0xfffe
	s_and_saveexec_b32 s3, s2
	s_cbranch_execz .LBB46_10
; %bb.5:
	s_load_b64 s[2:3], s[0:1], 0x20
	v_lshrrev_b32_e32 v1, 3, v0
	v_mov_b32_e32 v7, 0
	s_delay_alu instid0(VALU_DEP_2)
	v_lshl_or_b32 v6, ttmp9, 4, v1
	s_wait_kmcnt 0x0
	s_cmp_lg_u64 s[2:3], 0
	s_cbranch_scc0 .LBB46_11
; %bb.6:
	s_delay_alu instid0(VALU_DEP_1)
	v_cmp_gt_i64_e32 vcc_lo, s[6:7], v[6:7]
	s_mov_b32 s5, 0
	s_mov_b32 s4, 0
                                        ; implicit-def: $vgpr10_vgpr11
                                        ; implicit-def: $vgpr4_vgpr5
	s_and_saveexec_b32 s6, vcc_lo
	s_wait_alu 0xfffe
	s_xor_b32 s6, exec_lo, s6
	s_cbranch_execz .LBB46_8
; %bb.7:
	v_lshlrev_b64_e32 v[4:5], 3, v[6:7]
	s_mov_b32 s9, 0
	s_mov_b32 s4, exec_lo
	s_delay_alu instid0(VALU_DEP_1) | instskip(NEXT) | instid1(VALU_DEP_1)
	v_add_co_u32 v4, vcc_lo, s2, v4
	v_add_co_ci_u32_e64 v5, null, s3, v5, vcc_lo
	global_load_b64 v[4:5], v[4:5], off
	s_wait_loadcnt 0x0
	v_sub_co_u32 v10, vcc_lo, v4, s8
	s_wait_alu 0xfffd
	v_subrev_co_ci_u32_e64 v11, null, 0, v5, vcc_lo
	v_dual_mov_b32 v4, s8 :: v_dual_mov_b32 v5, s9
.LBB46_8:
	s_wait_alu 0xfffe
	s_or_b32 exec_lo, exec_lo, s6
	s_delay_alu instid0(SALU_CYCLE_1)
	s_and_b32 vcc_lo, exec_lo, s5
	s_wait_alu 0xfffe
	s_cbranch_vccnz .LBB46_12
.LBB46_9:
	s_wait_alu 0xfffe
	s_and_b32 exec_lo, exec_lo, s4
	s_cbranch_execnz .LBB46_15
.LBB46_10:
	s_nop 0
	s_sendmsg sendmsg(MSG_DEALLOC_VGPRS)
	s_endpgm
.LBB46_11:
	s_mov_b32 s4, 0
                                        ; implicit-def: $vgpr10_vgpr11
                                        ; implicit-def: $vgpr4_vgpr5
	s_cbranch_execz .LBB46_9
.LBB46_12:
	s_load_b64 s[2:3], s[0:1], 0x0
	s_wait_kmcnt 0x0
	v_cmp_gt_i64_e32 vcc_lo, s[2:3], v[6:7]
	s_and_saveexec_b32 s2, vcc_lo
; %bb.13:
	s_mov_b32 s9, 0
	s_or_b32 s4, s4, exec_lo
; %bb.14:
	s_wait_alu 0xfffe
	s_or_b32 exec_lo, exec_lo, s2
	v_dual_mov_b32 v4, s8 :: v_dual_mov_b32 v5, s9
	v_dual_mov_b32 v11, v7 :: v_dual_mov_b32 v10, v6
	s_and_b32 exec_lo, exec_lo, s4
	s_cbranch_execz .LBB46_10
.LBB46_15:
	s_load_b256 s[4:11], s[0:1], 0x28
	s_delay_alu instid0(VALU_DEP_1) | instskip(SKIP_3) | instid1(VALU_DEP_2)
	v_lshlrev_b64_e32 v[6:7], 3, v[10:11]
	v_and_b32_e32 v34, 7, v0
	s_load_b32 s3, s[0:1], 0x8
	s_wait_kmcnt 0x0
	v_add_co_u32 v12, vcc_lo, s4, v6
	s_wait_alu 0xfffd
	v_add_co_ci_u32_e64 v13, null, s5, v7, vcc_lo
	v_add_co_u32 v1, vcc_lo, s6, v6
	s_wait_alu 0xfffd
	v_add_co_ci_u32_e64 v6, null, s7, v7, vcc_lo
	v_add_co_u32 v14, vcc_lo, v12, 8
	global_load_b64 v[22:23], v[12:13], off
	s_wait_alu 0xfffd
	v_add_co_ci_u32_e64 v7, null, 0, v13, vcc_lo
	s_cmp_eq_u64 s[6:7], 0
	s_load_b64 s[4:5], s[0:1], 0x48
	s_cselect_b32 vcc_lo, -1, 0
	s_cmp_eq_u32 s3, 1
	s_wait_alu 0xfffe
	v_dual_cndmask_b32 v7, v6, v7 :: v_dual_cndmask_b32 v6, v1, v14
	global_load_b64 v[6:7], v[6:7], off
	s_wait_loadcnt 0x1
	v_sub_co_u32 v0, vcc_lo, v22, v4
	s_wait_alu 0xfffd
	v_sub_co_ci_u32_e64 v1, null, v23, v5, vcc_lo
	s_delay_alu instid0(VALU_DEP_2) | instskip(SKIP_1) | instid1(VALU_DEP_2)
	v_add_co_u32 v0, vcc_lo, v0, v34
	s_wait_alu 0xfffd
	v_add_co_ci_u32_e64 v1, null, 0, v1, vcc_lo
	s_delay_alu instid0(VALU_DEP_1) | instskip(SKIP_4) | instid1(VALU_DEP_3)
	v_lshlrev_b64_e32 v[12:13], 7, v[0:1]
	s_wait_loadcnt 0x0
	v_sub_co_u32 v6, vcc_lo, v6, v4
	s_wait_alu 0xfffd
	v_sub_co_ci_u32_e64 v7, null, v7, v5, vcc_lo
	v_add_co_u32 v12, vcc_lo, s10, v12
	s_delay_alu instid0(VALU_DEP_2)
	v_cmp_lt_i64_e64 s2, v[0:1], v[6:7]
	s_wait_alu 0xfffd
	v_add_co_ci_u32_e64 v13, null, s11, v13, vcc_lo
	s_cbranch_scc1 .LBB46_27
; %bb.16:
	v_mov_b32_e32 v14, 0
	v_dual_mov_b32 v20, 0 :: v_dual_mov_b32 v15, 0
	v_dual_mov_b32 v16, 0 :: v_dual_mov_b32 v21, 0
	;; [unrolled: 1-line block ×3, first 2 shown]
	v_mov_b32_e32 v19, 0
	s_and_saveexec_b32 s6, s2
	s_cbranch_execz .LBB46_26
; %bb.17:
	v_or_b32_e32 v14, 8, v34
	v_not_b32_e32 v17, v22
	v_sub_co_u32 v18, s3, v4, v34
	v_not_b32_e32 v16, v23
	s_delay_alu instid0(VALU_DEP_4)
	v_sub_co_u32 v14, vcc_lo, v14, v4
	s_wait_alu 0xfffd
	v_sub_co_ci_u32_e64 v15, null, 0, v5, vcc_lo
	s_wait_alu 0xf1ff
	v_subrev_co_ci_u32_e64 v19, null, 0, v5, s3
	v_add_co_u32 v14, vcc_lo, v14, v22
	s_wait_alu 0xfffd
	v_add_co_ci_u32_e64 v15, null, v15, v23, vcc_lo
	v_dual_mov_b32 v27, v1 :: v_dual_mov_b32 v26, v0
	v_mov_b32_e32 v20, 0
	s_delay_alu instid0(VALU_DEP_3)
	v_cmp_gt_i64_e32 vcc_lo, v[14:15], v[6:7]
	v_mov_b32_e32 v21, 0
	s_wait_alu 0xfffd
	v_dual_cndmask_b32 v15, v7, v15 :: v_dual_cndmask_b32 v14, v6, v14
	v_add_co_u32 v17, vcc_lo, v18, v17
	s_wait_alu 0xfffd
	v_add_co_ci_u32_e64 v16, null, v19, v16, vcc_lo
	v_mov_b32_e32 v18, 0
	s_delay_alu instid0(VALU_DEP_3) | instskip(SKIP_3) | instid1(VALU_DEP_3)
	v_add_co_u32 v28, vcc_lo, v17, v14
	v_mov_b32_e32 v25, 0
	s_wait_alu 0xfffd
	v_add_co_ci_u32_e64 v29, null, v16, v15, vcc_lo
	v_and_b32_e32 v24, 24, v28
	v_dual_mov_b32 v16, 0 :: v_dual_mov_b32 v19, 0
	v_dual_mov_b32 v17, 0 :: v_dual_mov_b32 v14, 0
	s_delay_alu instid0(VALU_DEP_3)
	v_cmp_ne_u64_e32 vcc_lo, 24, v[24:25]
	v_mov_b32_e32 v15, 0
	v_dual_mov_b32 v25, v13 :: v_dual_mov_b32 v24, v12
	s_and_saveexec_b32 s7, vcc_lo
	s_cbranch_execz .LBB46_21
; %bb.18:
	v_lshrrev_b32_e32 v14, 3, v28
	v_lshlrev_b64_e32 v[18:19], 3, v[0:1]
	v_mov_b32_e32 v16, 0
	v_mov_b32_e32 v20, 0
	s_delay_alu instid0(VALU_DEP_4) | instskip(SKIP_3) | instid1(VALU_DEP_4)
	v_dual_mov_b32 v21, 0 :: v_dual_add_nc_u32 v26, 1, v14
	v_dual_mov_b32 v14, 0 :: v_dual_mov_b32 v25, v13
	v_mov_b32_e32 v15, 0
	v_add_co_u32 v30, vcc_lo, s8, v18
	v_and_b32_e32 v26, 3, v26
	s_wait_alu 0xfffd
	v_add_co_ci_u32_e64 v31, null, s9, v19, vcc_lo
	v_mov_b32_e32 v18, 0
	v_dual_mov_b32 v24, v12 :: v_dual_mov_b32 v17, 0
	v_sub_co_u32 v32, s3, 0, v26
	v_mov_b32_e32 v27, v1
	s_wait_alu 0xf1ff
	v_sub_co_ci_u32_e64 v33, null, 0, 0, s3
	v_dual_mov_b32 v19, 0 :: v_dual_mov_b32 v26, v0
	s_mov_b32 s10, 0
.LBB46_19:                              ; =>This Inner Loop Header: Depth=1
	global_load_b64 v[63:64], v[30:31], off
	s_clause 0x6
	global_load_b128 v[35:38], v[24:25], off offset:48
	global_load_b128 v[39:42], v[24:25], off offset:32
	;; [unrolled: 1-line block ×3, first 2 shown]
	global_load_b128 v[47:50], v[24:25], off
	global_load_b128 v[51:54], v[24:25], off offset:112
	global_load_b128 v[55:58], v[24:25], off offset:96
	;; [unrolled: 1-line block ×3, first 2 shown]
	v_add_co_u32 v30, s3, v30, 64
	s_wait_alu 0xf1ff
	v_add_co_ci_u32_e64 v31, null, 0, v31, s3
	s_wait_loadcnt 0x7
	v_sub_co_u32 v63, vcc_lo, v63, v4
	s_wait_alu 0xfffd
	v_sub_co_ci_u32_e64 v64, null, v64, v5, vcc_lo
	s_delay_alu instid0(VALU_DEP_1) | instskip(SKIP_1) | instid1(VALU_DEP_1)
	v_lshlrev_b64_e32 v[63:64], 5, v[63:64]
	s_wait_kmcnt 0x0
	v_add_co_u32 v71, vcc_lo, s4, v63
	s_wait_alu 0xfffd
	s_delay_alu instid0(VALU_DEP_2)
	v_add_co_ci_u32_e64 v72, null, s5, v64, vcc_lo
	global_load_b128 v[63:66], v[24:25], off offset:64
	s_clause 0x1
	global_load_b128 v[67:70], v[71:72], off
	global_load_b128 v[71:74], v[71:72], off offset:16
	v_add_co_u32 v24, vcc_lo, 0x400, v24
	s_wait_alu 0xfffd
	v_add_co_ci_u32_e64 v25, null, 0, v25, vcc_lo
	v_add_co_u32 v32, vcc_lo, v32, 1
	s_wait_alu 0xfffd
	v_add_co_ci_u32_e64 v33, null, 0, v33, vcc_lo
	;; [unrolled: 3-line block ×3, first 2 shown]
	s_delay_alu instid0(VALU_DEP_3)
	v_cmp_eq_u64_e32 vcc_lo, 0, v[32:33]
	s_wait_alu 0xfffe
	s_or_b32 s10, vcc_lo, s10
	s_wait_loadcnt 0x1
	v_fma_f64 v[18:19], v[47:48], v[67:68], v[18:19]
	v_fma_f64 v[20:21], v[39:40], v[67:68], v[20:21]
	;; [unrolled: 1-line block ×4, first 2 shown]
	s_delay_alu instid0(VALU_DEP_4) | instskip(NEXT) | instid1(VALU_DEP_4)
	v_fma_f64 v[18:19], v[49:50], v[69:70], v[18:19]
	v_fma_f64 v[20:21], v[41:42], v[69:70], v[20:21]
	s_delay_alu instid0(VALU_DEP_4) | instskip(NEXT) | instid1(VALU_DEP_4)
	v_fma_f64 v[16:17], v[65:66], v[69:70], v[16:17]
	v_fma_f64 v[14:15], v[57:58], v[69:70], v[14:15]
	s_wait_loadcnt 0x0
	s_delay_alu instid0(VALU_DEP_4) | instskip(NEXT) | instid1(VALU_DEP_4)
	v_fma_f64 v[18:19], v[43:44], v[71:72], v[18:19]
	v_fma_f64 v[20:21], v[35:36], v[71:72], v[20:21]
	s_delay_alu instid0(VALU_DEP_4) | instskip(NEXT) | instid1(VALU_DEP_4)
	v_fma_f64 v[16:17], v[59:60], v[71:72], v[16:17]
	v_fma_f64 v[14:15], v[51:52], v[71:72], v[14:15]
	;; [unrolled: 3-line block ×4, first 2 shown]
	s_wait_alu 0xfffe
	s_and_not1_b32 exec_lo, exec_lo, s10
	s_cbranch_execnz .LBB46_19
; %bb.20:
	s_or_b32 exec_lo, exec_lo, s10
.LBB46_21:
	s_wait_alu 0xfffe
	s_or_b32 exec_lo, exec_lo, s7
	s_delay_alu instid0(SALU_CYCLE_1)
	s_mov_b32 s7, exec_lo
	v_cmpx_lt_u64_e32 23, v[28:29]
	s_cbranch_execz .LBB46_25
; %bb.22:
	v_lshlrev_b64_e32 v[28:29], 3, v[26:27]
	s_mov_b32 s10, 0
	s_delay_alu instid0(VALU_DEP_1) | instskip(SKIP_1) | instid1(VALU_DEP_2)
	v_add_co_u32 v28, vcc_lo, s8, v28
	s_wait_alu 0xfffd
	v_add_co_ci_u32_e64 v29, null, s9, v29, vcc_lo
	s_delay_alu instid0(VALU_DEP_2) | instskip(SKIP_1) | instid1(VALU_DEP_2)
	v_add_co_u32 v28, vcc_lo, 0x80, v28
	s_wait_alu 0xfffd
	v_add_co_ci_u32_e64 v29, null, 0, v29, vcc_lo
.LBB46_23:                              ; =>This Inner Loop Header: Depth=1
	s_clause 0x2
	global_load_b64 v[63:64], v[28:29], off offset:-128
	global_load_b64 v[99:100], v[28:29], off offset:-64
	global_load_b64 v[139:140], v[28:29], off
	s_clause 0x7
	global_load_b128 v[30:33], v[24:25], off offset:48
	global_load_b128 v[35:38], v[24:25], off offset:32
	;; [unrolled: 1-line block ×3, first 2 shown]
	global_load_b128 v[43:46], v[24:25], off
	global_load_b128 v[47:50], v[24:25], off offset:112
	global_load_b128 v[51:54], v[24:25], off offset:96
	;; [unrolled: 1-line block ×4, first 2 shown]
	global_load_b64 v[147:148], v[28:29], off offset:64
	v_add_co_u32 v28, s3, 0x100, v28
	s_wait_alu 0xf1ff
	v_add_co_ci_u32_e64 v29, null, 0, v29, s3
	s_wait_loadcnt 0xb
	v_sub_co_u32 v63, vcc_lo, v63, v4
	s_wait_alu 0xfffd
	v_sub_co_ci_u32_e64 v64, null, v64, v5, vcc_lo
	s_delay_alu instid0(VALU_DEP_1) | instskip(SKIP_1) | instid1(VALU_DEP_1)
	v_lshlrev_b64_e32 v[63:64], 5, v[63:64]
	s_wait_kmcnt 0x0
	v_add_co_u32 v67, vcc_lo, s4, v63
	s_wait_alu 0xfffd
	s_delay_alu instid0(VALU_DEP_2)
	v_add_co_ci_u32_e64 v68, null, s5, v64, vcc_lo
	s_wait_loadcnt 0xa
	v_sub_co_u32 v99, vcc_lo, v99, v4
	s_wait_alu 0xfffd
	v_sub_co_ci_u32_e64 v100, null, v100, v5, vcc_lo
	s_clause 0x1
	global_load_b128 v[63:66], v[67:68], off
	global_load_b128 v[67:70], v[67:68], off offset:16
	s_clause 0x6
	global_load_b128 v[71:74], v[24:25], off offset:1072
	global_load_b128 v[75:78], v[24:25], off offset:1056
	;; [unrolled: 1-line block ×7, first 2 shown]
	v_lshlrev_b64_e32 v[99:100], 5, v[99:100]
	s_delay_alu instid0(VALU_DEP_1) | instskip(SKIP_1) | instid1(VALU_DEP_2)
	v_add_co_u32 v107, vcc_lo, s4, v99
	s_wait_alu 0xfffd
	v_add_co_ci_u32_e64 v108, null, s5, v100, vcc_lo
	global_load_b128 v[99:102], v[24:25], off offset:1088
	s_clause 0x1
	global_load_b128 v[103:106], v[107:108], off
	global_load_b128 v[107:110], v[107:108], off offset:16
	s_clause 0x6
	global_load_b128 v[111:114], v[24:25], off offset:2096
	global_load_b128 v[115:118], v[24:25], off offset:2080
	;; [unrolled: 1-line block ×7, first 2 shown]
	s_wait_loadcnt 0x1c
	v_sub_co_u32 v139, vcc_lo, v139, v4
	s_wait_alu 0xfffd
	v_sub_co_ci_u32_e64 v140, null, v140, v5, vcc_lo
	s_delay_alu instid0(VALU_DEP_1) | instskip(NEXT) | instid1(VALU_DEP_1)
	v_lshlrev_b64_e32 v[139:140], 5, v[139:140]
	v_add_co_u32 v149, vcc_lo, s4, v139
	s_wait_alu 0xfffd
	s_delay_alu instid0(VALU_DEP_2)
	v_add_co_ci_u32_e64 v150, null, s5, v140, vcc_lo
	global_load_b128 v[139:142], v[24:25], off offset:2112
	global_load_b128 v[143:146], v[149:150], off
	s_wait_loadcnt 0x14
	v_fma_f64 v[18:19], v[43:44], v[63:64], v[18:19]
	v_fma_f64 v[20:21], v[35:36], v[63:64], v[20:21]
	v_fma_f64 v[16:17], v[59:60], v[63:64], v[16:17]
	v_fma_f64 v[14:15], v[51:52], v[63:64], v[14:15]
	s_delay_alu instid0(VALU_DEP_4) | instskip(NEXT) | instid1(VALU_DEP_4)
	v_fma_f64 v[18:19], v[45:46], v[65:66], v[18:19]
	v_fma_f64 v[20:21], v[37:38], v[65:66], v[20:21]
	s_delay_alu instid0(VALU_DEP_4) | instskip(NEXT) | instid1(VALU_DEP_4)
	v_fma_f64 v[35:36], v[61:62], v[65:66], v[16:17]
	v_fma_f64 v[37:38], v[53:54], v[65:66], v[14:15]
	global_load_b128 v[14:17], v[149:150], off offset:16
	s_wait_loadcnt 0x14
	v_fma_f64 v[39:40], v[39:40], v[67:68], v[18:19]
	v_fma_f64 v[30:31], v[30:31], v[67:68], v[20:21]
	;; [unrolled: 1-line block ×4, first 2 shown]
	s_clause 0x4
	global_load_b128 v[18:21], v[24:25], off offset:3120
	global_load_b128 v[35:38], v[24:25], off offset:3104
	global_load_b128 v[43:46], v[24:25], off offset:3088
	global_load_b128 v[51:54], v[24:25], off offset:3072
	global_load_b128 v[59:62], v[24:25], off offset:3184
	v_fma_f64 v[63:64], v[41:42], v[69:70], v[39:40]
	v_fma_f64 v[65:66], v[32:33], v[69:70], v[30:31]
	;; [unrolled: 1-line block ×4, first 2 shown]
	v_sub_co_u32 v30, vcc_lo, v147, v4
	s_wait_alu 0xfffd
	v_sub_co_ci_u32_e64 v31, null, v148, v5, vcc_lo
	global_load_b128 v[39:42], v[24:25], off offset:3168
	v_lshlrev_b64_e32 v[30:31], 5, v[30:31]
	s_delay_alu instid0(VALU_DEP_1) | instskip(SKIP_1) | instid1(VALU_DEP_2)
	v_add_co_u32 v67, vcc_lo, s4, v30
	s_wait_alu 0xfffd
	v_add_co_ci_u32_e64 v68, null, s5, v31, vcc_lo
	global_load_b128 v[30:33], v[24:25], off offset:3136
	global_load_b128 v[47:50], v[67:68], off
	v_add_co_u32 v26, vcc_lo, v26, 32
	s_wait_alu 0xfffd
	v_add_co_ci_u32_e64 v27, null, 0, v27, vcc_lo
	s_wait_loadcnt 0x13
	v_fma_f64 v[63:64], v[83:84], v[103:104], v[63:64]
	v_fma_f64 v[65:66], v[75:76], v[103:104], v[65:66]
	;; [unrolled: 1-line block ×4, first 2 shown]
	s_delay_alu instid0(VALU_DEP_4) | instskip(NEXT) | instid1(VALU_DEP_4)
	v_fma_f64 v[69:70], v[85:86], v[105:106], v[63:64]
	v_fma_f64 v[75:76], v[77:78], v[105:106], v[65:66]
	s_delay_alu instid0(VALU_DEP_4) | instskip(NEXT) | instid1(VALU_DEP_4)
	v_fma_f64 v[77:78], v[101:102], v[105:106], v[55:56]
	v_fma_f64 v[83:84], v[93:94], v[105:106], v[57:58]
	global_load_b128 v[55:58], v[24:25], off offset:3152
	global_load_b128 v[63:66], v[67:68], off offset:16
	v_add_co_u32 v24, vcc_lo, 0x1000, v24
	s_wait_alu 0xfffd
	v_add_co_ci_u32_e64 v25, null, 0, v25, vcc_lo
	v_cmp_ge_i64_e32 vcc_lo, v[26:27], v[6:7]
	s_wait_alu 0xfffe
	s_or_b32 s10, vcc_lo, s10
	s_wait_loadcnt 0x14
	v_fma_f64 v[67:68], v[79:80], v[107:108], v[69:70]
	v_fma_f64 v[69:70], v[71:72], v[107:108], v[75:76]
	;; [unrolled: 1-line block ×4, first 2 shown]
	s_delay_alu instid0(VALU_DEP_4) | instskip(NEXT) | instid1(VALU_DEP_4)
	v_fma_f64 v[67:68], v[81:82], v[109:110], v[67:68]
	v_fma_f64 v[69:70], v[73:74], v[109:110], v[69:70]
	s_delay_alu instid0(VALU_DEP_4) | instskip(NEXT) | instid1(VALU_DEP_4)
	v_fma_f64 v[71:72], v[97:98], v[109:110], v[71:72]
	v_fma_f64 v[73:74], v[89:90], v[109:110], v[75:76]
	s_wait_loadcnt 0xb
	s_delay_alu instid0(VALU_DEP_4) | instskip(NEXT) | instid1(VALU_DEP_4)
	v_fma_f64 v[67:68], v[123:124], v[143:144], v[67:68]
	v_fma_f64 v[69:70], v[115:116], v[143:144], v[69:70]
	s_delay_alu instid0(VALU_DEP_4) | instskip(NEXT) | instid1(VALU_DEP_4)
	v_fma_f64 v[71:72], v[139:140], v[143:144], v[71:72]
	v_fma_f64 v[73:74], v[131:132], v[143:144], v[73:74]
	s_delay_alu instid0(VALU_DEP_4) | instskip(NEXT) | instid1(VALU_DEP_4)
	v_fma_f64 v[67:68], v[125:126], v[145:146], v[67:68]
	v_fma_f64 v[69:70], v[117:118], v[145:146], v[69:70]
	s_delay_alu instid0(VALU_DEP_4) | instskip(NEXT) | instid1(VALU_DEP_4)
	v_fma_f64 v[71:72], v[141:142], v[145:146], v[71:72]
	v_fma_f64 v[73:74], v[133:134], v[145:146], v[73:74]
	s_wait_loadcnt 0xa
	s_delay_alu instid0(VALU_DEP_4) | instskip(NEXT) | instid1(VALU_DEP_4)
	v_fma_f64 v[67:68], v[119:120], v[14:15], v[67:68]
	v_fma_f64 v[69:70], v[111:112], v[14:15], v[69:70]
	s_delay_alu instid0(VALU_DEP_4) | instskip(NEXT) | instid1(VALU_DEP_4)
	v_fma_f64 v[71:72], v[135:136], v[14:15], v[71:72]
	v_fma_f64 v[14:15], v[127:128], v[14:15], v[73:74]
	;; [unrolled: 13-line block ×4, first 2 shown]
	s_delay_alu instid0(VALU_DEP_4) | instskip(NEXT) | instid1(VALU_DEP_4)
	v_fma_f64 v[18:19], v[45:46], v[65:66], v[16:17]
	v_fma_f64 v[20:21], v[20:21], v[65:66], v[32:33]
	s_delay_alu instid0(VALU_DEP_4) | instskip(NEXT) | instid1(VALU_DEP_4)
	v_fma_f64 v[16:17], v[57:58], v[65:66], v[30:31]
	v_fma_f64 v[14:15], v[61:62], v[65:66], v[14:15]
	s_wait_alu 0xfffe
	s_and_not1_b32 exec_lo, exec_lo, s10
	s_cbranch_execnz .LBB46_23
; %bb.24:
	s_or_b32 exec_lo, exec_lo, s10
.LBB46_25:
	s_wait_alu 0xfffe
	s_or_b32 exec_lo, exec_lo, s7
.LBB46_26:
	s_wait_alu 0xfffe
	s_or_b32 exec_lo, exec_lo, s6
	s_cbranch_execz .LBB46_28
	s_branch .LBB46_39
.LBB46_27:
                                        ; implicit-def: $vgpr14_vgpr15
                                        ; implicit-def: $vgpr16_vgpr17
                                        ; implicit-def: $vgpr20_vgpr21
                                        ; implicit-def: $vgpr18_vgpr19
.LBB46_28:
	v_mov_b32_e32 v14, 0
	v_dual_mov_b32 v20, 0 :: v_dual_mov_b32 v15, 0
	v_dual_mov_b32 v16, 0 :: v_dual_mov_b32 v21, 0
	;; [unrolled: 1-line block ×3, first 2 shown]
	v_mov_b32_e32 v19, 0
	s_and_saveexec_b32 s3, s2
	s_cbranch_execz .LBB46_38
; %bb.29:
	v_or_b32_e32 v14, 8, v34
	v_not_b32_e32 v17, v22
	v_sub_co_u32 v18, s2, v4, v34
	v_not_b32_e32 v16, v23
	s_delay_alu instid0(VALU_DEP_4)
	v_sub_co_u32 v14, vcc_lo, v14, v4
	s_wait_alu 0xfffd
	v_sub_co_ci_u32_e64 v15, null, 0, v5, vcc_lo
	s_wait_alu 0xf1ff
	v_subrev_co_ci_u32_e64 v19, null, 0, v5, s2
	v_add_co_u32 v14, vcc_lo, v14, v22
	s_wait_alu 0xfffd
	v_add_co_ci_u32_e64 v15, null, v15, v23, vcc_lo
	s_delay_alu instid0(VALU_DEP_1)
	v_cmp_gt_i64_e32 vcc_lo, v[14:15], v[6:7]
	s_wait_alu 0xfffd
	v_cndmask_b32_e32 v20, v7, v15, vcc_lo
	v_cndmask_b32_e32 v14, v6, v14, vcc_lo
	v_add_co_u32 v15, vcc_lo, v18, v17
	s_wait_alu 0xfffd
	v_add_co_ci_u32_e64 v16, null, v19, v16, vcc_lo
	v_mov_b32_e32 v18, 0
	v_mov_b32_e32 v19, 0
	v_add_co_u32 v22, vcc_lo, v15, v14
	v_mov_b32_e32 v15, 0
	s_wait_alu 0xfffd
	v_add_co_ci_u32_e64 v23, null, v16, v20, vcc_lo
	s_delay_alu instid0(VALU_DEP_3) | instskip(SKIP_3) | instid1(VALU_DEP_4)
	v_and_b32_e32 v14, 24, v22
	v_mov_b32_e32 v20, 0
	v_dual_mov_b32 v21, 0 :: v_dual_mov_b32 v16, 0
	v_mov_b32_e32 v17, 0
	v_cmp_ne_u64_e32 vcc_lo, 24, v[14:15]
	v_mov_b32_e32 v14, 0
	v_mov_b32_e32 v15, 0
	s_and_saveexec_b32 s6, vcc_lo
	s_cbranch_execz .LBB46_33
; %bb.30:
	v_lshrrev_b32_e32 v14, 3, v22
	v_lshlrev_b64_e32 v[24:25], 3, v[0:1]
	v_mov_b32_e32 v16, 0
	v_mov_b32_e32 v20, 0
	;; [unrolled: 1-line block ×3, first 2 shown]
	v_add_nc_u32_e32 v26, 1, v14
	v_dual_mov_b32 v14, 0 :: v_dual_mov_b32 v17, 0
	v_mov_b32_e32 v15, 0
	v_add_co_u32 v24, vcc_lo, s8, v24
	s_delay_alu instid0(VALU_DEP_4) | instskip(SKIP_3) | instid1(VALU_DEP_3)
	v_dual_mov_b32 v21, 0 :: v_dual_and_b32 v26, 3, v26
	v_mov_b32_e32 v19, 0
	s_wait_alu 0xfffd
	v_add_co_ci_u32_e64 v25, null, s9, v25, vcc_lo
	v_sub_co_u32 v26, s2, 0, v26
	s_wait_alu 0xf1ff
	v_sub_co_ci_u32_e64 v27, null, 0, 0, s2
	s_mov_b32 s7, 0
.LBB46_31:                              ; =>This Inner Loop Header: Depth=1
	global_load_b64 v[32:33], v[24:25], off
	global_load_b128 v[28:31], v[12:13], off offset:16
	v_add_co_u32 v24, s2, v24, 64
	s_wait_alu 0xf1ff
	v_add_co_ci_u32_e64 v25, null, 0, v25, s2
	s_wait_loadcnt 0x1
	v_sub_co_u32 v32, vcc_lo, v32, v4
	s_wait_alu 0xfffd
	v_sub_co_ci_u32_e64 v33, null, v33, v5, vcc_lo
	s_delay_alu instid0(VALU_DEP_1) | instskip(SKIP_1) | instid1(VALU_DEP_1)
	v_lshlrev_b64_e32 v[32:33], 5, v[32:33]
	s_wait_kmcnt 0x0
	v_add_co_u32 v32, vcc_lo, s4, v32
	s_wait_alu 0xfffd
	s_delay_alu instid0(VALU_DEP_2)
	v_add_co_ci_u32_e64 v33, null, s5, v33, vcc_lo
	global_load_b128 v[35:38], v[12:13], off
	s_clause 0x1
	global_load_b128 v[39:42], v[32:33], off
	global_load_b128 v[43:46], v[32:33], off offset:16
	s_clause 0x5
	global_load_b128 v[47:50], v[12:13], off offset:32
	global_load_b128 v[51:54], v[12:13], off offset:48
	;; [unrolled: 1-line block ×6, first 2 shown]
	v_add_co_u32 v12, vcc_lo, 0x400, v12
	s_wait_alu 0xfffd
	v_add_co_ci_u32_e64 v13, null, 0, v13, vcc_lo
	v_add_co_u32 v26, vcc_lo, v26, 1
	s_wait_alu 0xfffd
	v_add_co_ci_u32_e64 v27, null, 0, v27, vcc_lo
	;; [unrolled: 3-line block ×3, first 2 shown]
	s_delay_alu instid0(VALU_DEP_3)
	v_cmp_eq_u64_e32 vcc_lo, 0, v[26:27]
	s_wait_alu 0xfffe
	s_or_b32 s7, vcc_lo, s7
	s_wait_loadcnt 0x7
	v_fma_f64 v[18:19], v[35:36], v[39:40], v[18:19]
	v_fma_f64 v[20:21], v[37:38], v[39:40], v[20:21]
	;; [unrolled: 1-line block ×4, first 2 shown]
	s_wait_loadcnt 0x5
	s_delay_alu instid0(VALU_DEP_4) | instskip(NEXT) | instid1(VALU_DEP_4)
	v_fma_f64 v[18:19], v[47:48], v[41:42], v[18:19]
	v_fma_f64 v[20:21], v[49:50], v[41:42], v[20:21]
	s_wait_loadcnt 0x4
	s_delay_alu instid0(VALU_DEP_4) | instskip(NEXT) | instid1(VALU_DEP_4)
	v_fma_f64 v[16:17], v[51:52], v[41:42], v[16:17]
	v_fma_f64 v[14:15], v[53:54], v[41:42], v[14:15]
	;; [unrolled: 4-line block ×6, first 2 shown]
	s_wait_alu 0xfffe
	s_and_not1_b32 exec_lo, exec_lo, s7
	s_cbranch_execnz .LBB46_31
; %bb.32:
	s_or_b32 exec_lo, exec_lo, s7
.LBB46_33:
	s_wait_alu 0xfffe
	s_or_b32 exec_lo, exec_lo, s6
	s_delay_alu instid0(SALU_CYCLE_1)
	s_mov_b32 s6, exec_lo
	v_cmpx_lt_u64_e32 23, v[22:23]
	s_cbranch_execz .LBB46_37
; %bb.34:
	v_lshlrev_b64_e32 v[22:23], 3, v[0:1]
	s_mov_b32 s7, 0
	s_delay_alu instid0(VALU_DEP_1) | instskip(SKIP_1) | instid1(VALU_DEP_2)
	v_add_co_u32 v22, vcc_lo, s8, v22
	s_wait_alu 0xfffd
	v_add_co_ci_u32_e64 v23, null, s9, v23, vcc_lo
	s_delay_alu instid0(VALU_DEP_2) | instskip(SKIP_1) | instid1(VALU_DEP_2)
	v_add_co_u32 v22, vcc_lo, 0x80, v22
	s_wait_alu 0xfffd
	v_add_co_ci_u32_e64 v23, null, 0, v23, vcc_lo
.LBB46_35:                              ; =>This Inner Loop Header: Depth=1
	s_clause 0x2
	global_load_b64 v[32:33], v[22:23], off offset:-128
	global_load_b64 v[71:72], v[22:23], off offset:-64
	global_load_b64 v[111:112], v[22:23], off
	s_clause 0x1
	global_load_b128 v[24:27], v[12:13], off offset:16
	global_load_b128 v[28:31], v[12:13], off
	global_load_b64 v[119:120], v[22:23], off offset:64
	v_add_co_u32 v22, s2, 0x100, v22
	s_wait_alu 0xf1ff
	v_add_co_ci_u32_e64 v23, null, 0, v23, s2
	s_wait_loadcnt 0x5
	v_sub_co_u32 v32, vcc_lo, v32, v4
	s_wait_alu 0xfffd
	v_sub_co_ci_u32_e64 v33, null, v33, v5, vcc_lo
	s_delay_alu instid0(VALU_DEP_1) | instskip(SKIP_1) | instid1(VALU_DEP_1)
	v_lshlrev_b64_e32 v[32:33], 5, v[32:33]
	s_wait_kmcnt 0x0
	v_add_co_u32 v32, vcc_lo, s4, v32
	s_wait_alu 0xfffd
	s_delay_alu instid0(VALU_DEP_2)
	v_add_co_ci_u32_e64 v33, null, s5, v33, vcc_lo
	global_load_b128 v[35:38], v[32:33], off
	s_clause 0x3
	global_load_b128 v[39:42], v[12:13], off offset:32
	global_load_b128 v[43:46], v[12:13], off offset:48
	;; [unrolled: 1-line block ×5, first 2 shown]
	s_clause 0x2
	global_load_b128 v[59:62], v[12:13], off offset:96
	global_load_b128 v[63:66], v[12:13], off offset:112
	;; [unrolled: 1-line block ×3, first 2 shown]
	s_wait_loadcnt 0xd
	v_sub_co_u32 v32, vcc_lo, v71, v4
	s_wait_alu 0xfffd
	v_sub_co_ci_u32_e64 v33, null, v72, v5, vcc_lo
	s_delay_alu instid0(VALU_DEP_1) | instskip(NEXT) | instid1(VALU_DEP_1)
	v_lshlrev_b64_e32 v[32:33], 5, v[32:33]
	v_add_co_u32 v32, vcc_lo, s4, v32
	s_wait_alu 0xfffd
	s_delay_alu instid0(VALU_DEP_2)
	v_add_co_ci_u32_e64 v33, null, s5, v33, vcc_lo
	global_load_b128 v[71:74], v[12:13], off offset:1024
	global_load_b128 v[75:78], v[32:33], off
	s_clause 0x3
	global_load_b128 v[79:82], v[12:13], off offset:1056
	global_load_b128 v[83:86], v[12:13], off offset:1072
	;; [unrolled: 1-line block ×5, first 2 shown]
	s_clause 0x2
	global_load_b128 v[99:102], v[12:13], off offset:1120
	global_load_b128 v[103:106], v[12:13], off offset:1136
	;; [unrolled: 1-line block ×3, first 2 shown]
	s_wait_loadcnt 0x16
	v_sub_co_u32 v32, vcc_lo, v111, v4
	s_wait_alu 0xfffd
	v_sub_co_ci_u32_e64 v33, null, v112, v5, vcc_lo
	s_delay_alu instid0(VALU_DEP_1) | instskip(NEXT) | instid1(VALU_DEP_1)
	v_lshlrev_b64_e32 v[32:33], 5, v[32:33]
	v_add_co_u32 v32, vcc_lo, s4, v32
	s_wait_alu 0xfffd
	s_delay_alu instid0(VALU_DEP_2)
	v_add_co_ci_u32_e64 v33, null, s5, v33, vcc_lo
	global_load_b128 v[111:114], v[12:13], off offset:2048
	global_load_b128 v[115:118], v[32:33], off
	s_wait_loadcnt 0x14
	v_fma_f64 v[28:29], v[28:29], v[35:36], v[18:19]
	v_fma_f64 v[30:31], v[30:31], v[35:36], v[20:21]
	;; [unrolled: 1-line block ×4, first 2 shown]
	s_clause 0x1
	global_load_b128 v[14:17], v[12:13], off offset:2080
	global_load_b128 v[18:21], v[12:13], off offset:2096
	s_wait_loadcnt 0x15
	v_fma_f64 v[39:40], v[39:40], v[37:38], v[28:29]
	v_fma_f64 v[41:42], v[41:42], v[37:38], v[30:31]
	s_wait_loadcnt 0x14
	v_fma_f64 v[43:44], v[43:44], v[37:38], v[24:25]
	v_fma_f64 v[45:46], v[45:46], v[37:38], v[26:27]
	s_clause 0x1
	global_load_b128 v[24:27], v[12:13], off offset:2128
	global_load_b128 v[28:31], v[12:13], off offset:2112
	;; [unrolled: 1-line block ×3, first 2 shown]
	s_wait_loadcnt 0x14
	v_fma_f64 v[32:33], v[47:48], v[55:56], v[39:40]
	v_fma_f64 v[121:122], v[49:50], v[55:56], v[41:42]
	;; [unrolled: 1-line block ×4, first 2 shown]
	s_clause 0x2
	global_load_b128 v[39:42], v[12:13], off offset:2144
	global_load_b128 v[43:46], v[12:13], off offset:2160
	;; [unrolled: 1-line block ×3, first 2 shown]
	v_sub_co_u32 v55, vcc_lo, v119, v4
	s_wait_alu 0xfffd
	v_sub_co_ci_u32_e64 v56, null, v120, v5, vcc_lo
	s_wait_loadcnt 0x16
	v_fma_f64 v[32:33], v[59:60], v[57:58], v[32:33]
	v_fma_f64 v[59:60], v[61:62], v[57:58], v[121:122]
	s_wait_loadcnt 0x15
	v_fma_f64 v[61:62], v[63:64], v[57:58], v[51:52]
	v_fma_f64 v[63:64], v[65:66], v[57:58], v[53:54]
	v_lshlrev_b64_e32 v[51:52], 5, v[55:56]
	s_delay_alu instid0(VALU_DEP_1) | instskip(SKIP_1) | instid1(VALU_DEP_2)
	v_add_co_u32 v119, vcc_lo, s4, v51
	s_wait_alu 0xfffd
	v_add_co_ci_u32_e64 v120, null, s5, v52, vcc_lo
	global_load_b128 v[51:54], v[12:13], off offset:3072
	global_load_b128 v[55:58], v[119:120], off
	v_add_co_u32 v0, vcc_lo, v0, 32
	s_wait_alu 0xfffd
	v_add_co_ci_u32_e64 v1, null, 0, v1, vcc_lo
	s_wait_loadcnt 0x14
	v_fma_f64 v[32:33], v[71:72], v[75:76], v[32:33]
	v_fma_f64 v[71:72], v[73:74], v[75:76], v[59:60]
	;; [unrolled: 1-line block ×4, first 2 shown]
	s_clause 0x1
	global_load_b128 v[59:62], v[12:13], off offset:3104
	global_load_b128 v[63:66], v[12:13], off offset:3120
	s_wait_loadcnt 0x15
	v_fma_f64 v[32:33], v[79:80], v[77:78], v[32:33]
	v_fma_f64 v[79:80], v[81:82], v[77:78], v[71:72]
	s_wait_loadcnt 0x14
	v_fma_f64 v[81:82], v[83:84], v[77:78], v[67:68]
	v_fma_f64 v[83:84], v[85:86], v[77:78], v[69:70]
	s_clause 0x1
	global_load_b128 v[67:70], v[12:13], off offset:3136
	global_load_b128 v[71:74], v[12:13], off offset:3152
	;; [unrolled: 1-line block ×3, first 2 shown]
	s_wait_loadcnt 0x14
	v_fma_f64 v[32:33], v[87:88], v[95:96], v[32:33]
	v_fma_f64 v[87:88], v[89:90], v[95:96], v[79:80]
	;; [unrolled: 1-line block ×4, first 2 shown]
	s_clause 0x1
	global_load_b128 v[79:82], v[12:13], off offset:3168
	global_load_b128 v[83:86], v[12:13], off offset:3184
	v_add_co_u32 v12, vcc_lo, 0x1000, v12
	s_wait_alu 0xfffd
	v_add_co_ci_u32_e64 v13, null, 0, v13, vcc_lo
	v_cmp_ge_i64_e32 vcc_lo, v[0:1], v[6:7]
	s_wait_alu 0xfffe
	s_or_b32 s7, vcc_lo, s7
	s_wait_loadcnt 0x15
	v_fma_f64 v[32:33], v[99:100], v[97:98], v[32:33]
	v_fma_f64 v[87:88], v[101:102], v[97:98], v[87:88]
	s_wait_loadcnt 0x14
	v_fma_f64 v[89:90], v[103:104], v[97:98], v[89:90]
	v_fma_f64 v[91:92], v[105:106], v[97:98], v[91:92]
	s_wait_loadcnt 0x11
	s_delay_alu instid0(VALU_DEP_4) | instskip(NEXT) | instid1(VALU_DEP_4)
	v_fma_f64 v[32:33], v[111:112], v[115:116], v[32:33]
	v_fma_f64 v[87:88], v[113:114], v[115:116], v[87:88]
	s_delay_alu instid0(VALU_DEP_4) | instskip(NEXT) | instid1(VALU_DEP_4)
	v_fma_f64 v[89:90], v[107:108], v[115:116], v[89:90]
	v_fma_f64 v[91:92], v[109:110], v[115:116], v[91:92]
	s_wait_loadcnt 0x10
	s_delay_alu instid0(VALU_DEP_4) | instskip(NEXT) | instid1(VALU_DEP_4)
	v_fma_f64 v[14:15], v[14:15], v[117:118], v[32:33]
	v_fma_f64 v[16:17], v[16:17], v[117:118], v[87:88]
	s_wait_loadcnt 0xf
	s_delay_alu instid0(VALU_DEP_4) | instskip(NEXT) | instid1(VALU_DEP_4)
	v_fma_f64 v[18:19], v[18:19], v[117:118], v[89:90]
	v_fma_f64 v[20:21], v[20:21], v[117:118], v[91:92]
	s_wait_loadcnt 0xc
	s_delay_alu instid0(VALU_DEP_4) | instskip(NEXT) | instid1(VALU_DEP_4)
	v_fma_f64 v[14:15], v[28:29], v[35:36], v[14:15]
	v_fma_f64 v[16:17], v[30:31], v[35:36], v[16:17]
	s_delay_alu instid0(VALU_DEP_4) | instskip(NEXT) | instid1(VALU_DEP_4)
	v_fma_f64 v[18:19], v[24:25], v[35:36], v[18:19]
	v_fma_f64 v[20:21], v[26:27], v[35:36], v[20:21]
	s_wait_loadcnt 0xb
	s_delay_alu instid0(VALU_DEP_4) | instskip(NEXT) | instid1(VALU_DEP_4)
	v_fma_f64 v[14:15], v[39:40], v[37:38], v[14:15]
	v_fma_f64 v[16:17], v[41:42], v[37:38], v[16:17]
	s_wait_loadcnt 0xa
	s_delay_alu instid0(VALU_DEP_4) | instskip(NEXT) | instid1(VALU_DEP_4)
	v_fma_f64 v[18:19], v[43:44], v[37:38], v[18:19]
	v_fma_f64 v[20:21], v[45:46], v[37:38], v[20:21]
	s_wait_loadcnt 0x7
	s_delay_alu instid0(VALU_DEP_4) | instskip(NEXT) | instid1(VALU_DEP_4)
	v_fma_f64 v[14:15], v[51:52], v[55:56], v[14:15]
	v_fma_f64 v[16:17], v[53:54], v[55:56], v[16:17]
	s_delay_alu instid0(VALU_DEP_4) | instskip(NEXT) | instid1(VALU_DEP_4)
	v_fma_f64 v[18:19], v[47:48], v[55:56], v[18:19]
	v_fma_f64 v[20:21], v[49:50], v[55:56], v[20:21]
	s_wait_loadcnt 0x6
	s_delay_alu instid0(VALU_DEP_4) | instskip(NEXT) | instid1(VALU_DEP_4)
	v_fma_f64 v[14:15], v[59:60], v[57:58], v[14:15]
	v_fma_f64 v[16:17], v[61:62], v[57:58], v[16:17]
	s_wait_loadcnt 0x5
	s_delay_alu instid0(VALU_DEP_4) | instskip(NEXT) | instid1(VALU_DEP_4)
	v_fma_f64 v[18:19], v[63:64], v[57:58], v[18:19]
	v_fma_f64 v[20:21], v[65:66], v[57:58], v[20:21]
	s_wait_loadcnt 0x2
	s_delay_alu instid0(VALU_DEP_4) | instskip(NEXT) | instid1(VALU_DEP_4)
	v_fma_f64 v[14:15], v[67:68], v[75:76], v[14:15]
	v_fma_f64 v[16:17], v[69:70], v[75:76], v[16:17]
	s_delay_alu instid0(VALU_DEP_4) | instskip(NEXT) | instid1(VALU_DEP_4)
	v_fma_f64 v[24:25], v[71:72], v[75:76], v[18:19]
	v_fma_f64 v[26:27], v[73:74], v[75:76], v[20:21]
	s_wait_loadcnt 0x1
	s_delay_alu instid0(VALU_DEP_4) | instskip(NEXT) | instid1(VALU_DEP_4)
	v_fma_f64 v[18:19], v[79:80], v[77:78], v[14:15]
	v_fma_f64 v[20:21], v[81:82], v[77:78], v[16:17]
	s_wait_loadcnt 0x0
	s_delay_alu instid0(VALU_DEP_4) | instskip(NEXT) | instid1(VALU_DEP_4)
	v_fma_f64 v[16:17], v[83:84], v[77:78], v[24:25]
	v_fma_f64 v[14:15], v[85:86], v[77:78], v[26:27]
	s_wait_alu 0xfffe
	s_and_not1_b32 exec_lo, exec_lo, s7
	s_cbranch_execnz .LBB46_35
; %bb.36:
	s_or_b32 exec_lo, exec_lo, s7
.LBB46_37:
	s_wait_alu 0xfffe
	s_or_b32 exec_lo, exec_lo, s6
.LBB46_38:
	s_wait_alu 0xfffe
	s_or_b32 exec_lo, exec_lo, s3
.LBB46_39:
	v_mbcnt_lo_u32_b32 v24, -1, 0
	s_delay_alu instid0(VALU_DEP_1) | instskip(NEXT) | instid1(VALU_DEP_1)
	v_xor_b32_e32 v0, 4, v24
	v_cmp_gt_i32_e32 vcc_lo, 32, v0
	s_wait_alu 0xfffd
	v_cndmask_b32_e32 v0, v24, v0, vcc_lo
	s_delay_alu instid0(VALU_DEP_1)
	v_lshlrev_b32_e32 v13, 2, v0
	ds_bpermute_b32 v6, v13, v16
	ds_bpermute_b32 v7, v13, v17
	s_wait_dscnt 0x0
	v_add_f64_e32 v[16:17], v[16:17], v[6:7]
	v_xor_b32_e32 v6, 2, v24
	s_delay_alu instid0(VALU_DEP_1)
	v_cmp_gt_i32_e32 vcc_lo, 32, v6
	s_wait_alu 0xfffd
	v_cndmask_b32_e32 v6, v24, v6, vcc_lo
	ds_bpermute_b32 v0, v13, v18
	ds_bpermute_b32 v1, v13, v19
	;; [unrolled: 1-line block ×6, first 2 shown]
	s_wait_dscnt 0x4
	v_add_f64_e32 v[0:1], v[18:19], v[0:1]
	s_wait_dscnt 0x2
	v_add_f64_e32 v[4:5], v[20:21], v[4:5]
	;; [unrolled: 2-line block ×3, first 2 shown]
	v_lshlrev_b32_e32 v12, 2, v6
	ds_bpermute_b32 v20, v12, v16
	ds_bpermute_b32 v21, v12, v17
	;; [unrolled: 1-line block ×8, first 2 shown]
	s_wait_dscnt 0x4
	v_add_f64_e32 v[12:13], v[0:1], v[6:7]
	v_add_f64_e32 v[0:1], v[16:17], v[20:21]
	s_wait_dscnt 0x2
	v_add_f64_e32 v[6:7], v[4:5], v[18:19]
	s_wait_dscnt 0x0
	v_add_f64_e32 v[4:5], v[14:15], v[22:23]
	v_xor_b32_e32 v14, 1, v24
	s_delay_alu instid0(VALU_DEP_1) | instskip(SKIP_3) | instid1(VALU_DEP_2)
	v_cmp_gt_i32_e32 vcc_lo, 32, v14
	s_wait_alu 0xfffd
	v_cndmask_b32_e32 v14, v24, v14, vcc_lo
	v_cmp_eq_u32_e32 vcc_lo, 7, v34
	v_lshlrev_b32_e32 v15, 2, v14
	ds_bpermute_b32 v20, v15, v12
	ds_bpermute_b32 v21, v15, v13
	;; [unrolled: 1-line block ×8, first 2 shown]
	s_and_b32 exec_lo, exec_lo, vcc_lo
	s_cbranch_execz .LBB46_10
; %bb.40:
	s_wait_dscnt 0x6
	v_add_f64_e32 v[12:13], v[12:13], v[20:21]
	s_wait_dscnt 0x4
	v_add_f64_e32 v[6:7], v[6:7], v[18:19]
	;; [unrolled: 2-line block ×4, first 2 shown]
	s_load_b64 s[0:1], s[0:1], 0x58
	v_lshlrev_b64_e32 v[10:11], 5, v[10:11]
	s_mov_b32 s2, exec_lo
	v_mul_f64_e32 v[4:5], v[2:3], v[12:13]
	v_mul_f64_e32 v[6:7], v[2:3], v[6:7]
	;; [unrolled: 1-line block ×4, first 2 shown]
	v_cmpx_eq_f64_e32 0, v[8:9]
	s_wait_alu 0xfffe
	s_xor_b32 s2, exec_lo, s2
	s_cbranch_execz .LBB46_42
; %bb.41:
	s_wait_kmcnt 0x0
	v_add_co_u32 v8, vcc_lo, s0, v10
	s_wait_alu 0xfffd
	v_add_co_ci_u32_e64 v9, null, s1, v11, vcc_lo
                                        ; implicit-def: $vgpr10_vgpr11
	s_clause 0x1
	global_store_b128 v[8:9], v[4:7], off
	global_store_b128 v[8:9], v[0:3], off offset:16
                                        ; implicit-def: $vgpr8_vgpr9
                                        ; implicit-def: $vgpr4_vgpr5
                                        ; implicit-def: $vgpr0_vgpr1
.LBB46_42:
	s_wait_alu 0xfffe
	s_and_not1_saveexec_b32 s2, s2
	s_cbranch_execz .LBB46_10
; %bb.43:
	s_wait_kmcnt 0x0
	v_add_co_u32 v18, vcc_lo, s0, v10
	s_wait_alu 0xfffd
	v_add_co_ci_u32_e64 v19, null, s1, v11, vcc_lo
	s_clause 0x1
	global_load_b128 v[10:13], v[18:19], off
	global_load_b128 v[14:17], v[18:19], off offset:16
	s_wait_loadcnt 0x1
	v_fma_f64 v[4:5], v[8:9], v[10:11], v[4:5]
	v_fma_f64 v[6:7], v[8:9], v[12:13], v[6:7]
	s_wait_loadcnt 0x0
	v_fma_f64 v[0:1], v[8:9], v[14:15], v[0:1]
	v_fma_f64 v[2:3], v[8:9], v[16:17], v[2:3]
	s_clause 0x1
	global_store_b128 v[18:19], v[4:7], off
	global_store_b128 v[18:19], v[0:3], off offset:16
	s_nop 0
	s_sendmsg sendmsg(MSG_DEALLOC_VGPRS)
	s_endpgm
	.section	.rodata,"a",@progbits
	.p2align	6, 0x0
	.amdhsa_kernel _ZN9rocsparseL18bsrxmvn_4x4_kernelILj128ELj8EdlldddEEvT3_20rocsparse_direction_NS_24const_host_device_scalarIT1_EES1_PKS1_PKT2_SA_S7_PKT4_PKT5_S5_PT6_21rocsparse_index_base_b
		.amdhsa_group_segment_fixed_size 0
		.amdhsa_private_segment_fixed_size 0
		.amdhsa_kernarg_size 104
		.amdhsa_user_sgpr_count 2
		.amdhsa_user_sgpr_dispatch_ptr 0
		.amdhsa_user_sgpr_queue_ptr 0
		.amdhsa_user_sgpr_kernarg_segment_ptr 1
		.amdhsa_user_sgpr_dispatch_id 0
		.amdhsa_user_sgpr_private_segment_size 0
		.amdhsa_wavefront_size32 1
		.amdhsa_uses_dynamic_stack 0
		.amdhsa_enable_private_segment 0
		.amdhsa_system_sgpr_workgroup_id_x 1
		.amdhsa_system_sgpr_workgroup_id_y 0
		.amdhsa_system_sgpr_workgroup_id_z 0
		.amdhsa_system_sgpr_workgroup_info 0
		.amdhsa_system_vgpr_workitem_id 0
		.amdhsa_next_free_vgpr 151
		.amdhsa_next_free_sgpr 12
		.amdhsa_reserve_vcc 1
		.amdhsa_float_round_mode_32 0
		.amdhsa_float_round_mode_16_64 0
		.amdhsa_float_denorm_mode_32 3
		.amdhsa_float_denorm_mode_16_64 3
		.amdhsa_fp16_overflow 0
		.amdhsa_workgroup_processor_mode 1
		.amdhsa_memory_ordered 1
		.amdhsa_forward_progress 1
		.amdhsa_inst_pref_size 49
		.amdhsa_round_robin_scheduling 0
		.amdhsa_exception_fp_ieee_invalid_op 0
		.amdhsa_exception_fp_denorm_src 0
		.amdhsa_exception_fp_ieee_div_zero 0
		.amdhsa_exception_fp_ieee_overflow 0
		.amdhsa_exception_fp_ieee_underflow 0
		.amdhsa_exception_fp_ieee_inexact 0
		.amdhsa_exception_int_div_zero 0
	.end_amdhsa_kernel
	.section	.text._ZN9rocsparseL18bsrxmvn_4x4_kernelILj128ELj8EdlldddEEvT3_20rocsparse_direction_NS_24const_host_device_scalarIT1_EES1_PKS1_PKT2_SA_S7_PKT4_PKT5_S5_PT6_21rocsparse_index_base_b,"axG",@progbits,_ZN9rocsparseL18bsrxmvn_4x4_kernelILj128ELj8EdlldddEEvT3_20rocsparse_direction_NS_24const_host_device_scalarIT1_EES1_PKS1_PKT2_SA_S7_PKT4_PKT5_S5_PT6_21rocsparse_index_base_b,comdat
.Lfunc_end46:
	.size	_ZN9rocsparseL18bsrxmvn_4x4_kernelILj128ELj8EdlldddEEvT3_20rocsparse_direction_NS_24const_host_device_scalarIT1_EES1_PKS1_PKT2_SA_S7_PKT4_PKT5_S5_PT6_21rocsparse_index_base_b, .Lfunc_end46-_ZN9rocsparseL18bsrxmvn_4x4_kernelILj128ELj8EdlldddEEvT3_20rocsparse_direction_NS_24const_host_device_scalarIT1_EES1_PKS1_PKT2_SA_S7_PKT4_PKT5_S5_PT6_21rocsparse_index_base_b
                                        ; -- End function
	.set _ZN9rocsparseL18bsrxmvn_4x4_kernelILj128ELj8EdlldddEEvT3_20rocsparse_direction_NS_24const_host_device_scalarIT1_EES1_PKS1_PKT2_SA_S7_PKT4_PKT5_S5_PT6_21rocsparse_index_base_b.num_vgpr, 151
	.set _ZN9rocsparseL18bsrxmvn_4x4_kernelILj128ELj8EdlldddEEvT3_20rocsparse_direction_NS_24const_host_device_scalarIT1_EES1_PKS1_PKT2_SA_S7_PKT4_PKT5_S5_PT6_21rocsparse_index_base_b.num_agpr, 0
	.set _ZN9rocsparseL18bsrxmvn_4x4_kernelILj128ELj8EdlldddEEvT3_20rocsparse_direction_NS_24const_host_device_scalarIT1_EES1_PKS1_PKT2_SA_S7_PKT4_PKT5_S5_PT6_21rocsparse_index_base_b.numbered_sgpr, 12
	.set _ZN9rocsparseL18bsrxmvn_4x4_kernelILj128ELj8EdlldddEEvT3_20rocsparse_direction_NS_24const_host_device_scalarIT1_EES1_PKS1_PKT2_SA_S7_PKT4_PKT5_S5_PT6_21rocsparse_index_base_b.num_named_barrier, 0
	.set _ZN9rocsparseL18bsrxmvn_4x4_kernelILj128ELj8EdlldddEEvT3_20rocsparse_direction_NS_24const_host_device_scalarIT1_EES1_PKS1_PKT2_SA_S7_PKT4_PKT5_S5_PT6_21rocsparse_index_base_b.private_seg_size, 0
	.set _ZN9rocsparseL18bsrxmvn_4x4_kernelILj128ELj8EdlldddEEvT3_20rocsparse_direction_NS_24const_host_device_scalarIT1_EES1_PKS1_PKT2_SA_S7_PKT4_PKT5_S5_PT6_21rocsparse_index_base_b.uses_vcc, 1
	.set _ZN9rocsparseL18bsrxmvn_4x4_kernelILj128ELj8EdlldddEEvT3_20rocsparse_direction_NS_24const_host_device_scalarIT1_EES1_PKS1_PKT2_SA_S7_PKT4_PKT5_S5_PT6_21rocsparse_index_base_b.uses_flat_scratch, 0
	.set _ZN9rocsparseL18bsrxmvn_4x4_kernelILj128ELj8EdlldddEEvT3_20rocsparse_direction_NS_24const_host_device_scalarIT1_EES1_PKS1_PKT2_SA_S7_PKT4_PKT5_S5_PT6_21rocsparse_index_base_b.has_dyn_sized_stack, 0
	.set _ZN9rocsparseL18bsrxmvn_4x4_kernelILj128ELj8EdlldddEEvT3_20rocsparse_direction_NS_24const_host_device_scalarIT1_EES1_PKS1_PKT2_SA_S7_PKT4_PKT5_S5_PT6_21rocsparse_index_base_b.has_recursion, 0
	.set _ZN9rocsparseL18bsrxmvn_4x4_kernelILj128ELj8EdlldddEEvT3_20rocsparse_direction_NS_24const_host_device_scalarIT1_EES1_PKS1_PKT2_SA_S7_PKT4_PKT5_S5_PT6_21rocsparse_index_base_b.has_indirect_call, 0
	.section	.AMDGPU.csdata,"",@progbits
; Kernel info:
; codeLenInByte = 6240
; TotalNumSgprs: 14
; NumVgprs: 151
; ScratchSize: 0
; MemoryBound: 1
; FloatMode: 240
; IeeeMode: 1
; LDSByteSize: 0 bytes/workgroup (compile time only)
; SGPRBlocks: 0
; VGPRBlocks: 18
; NumSGPRsForWavesPerEU: 14
; NumVGPRsForWavesPerEU: 151
; Occupancy: 9
; WaveLimiterHint : 1
; COMPUTE_PGM_RSRC2:SCRATCH_EN: 0
; COMPUTE_PGM_RSRC2:USER_SGPR: 2
; COMPUTE_PGM_RSRC2:TRAP_HANDLER: 0
; COMPUTE_PGM_RSRC2:TGID_X_EN: 1
; COMPUTE_PGM_RSRC2:TGID_Y_EN: 0
; COMPUTE_PGM_RSRC2:TGID_Z_EN: 0
; COMPUTE_PGM_RSRC2:TIDIG_COMP_CNT: 0
	.section	.text._ZN9rocsparseL18bsrxmvn_4x4_kernelILj128ELj16EdlldddEEvT3_20rocsparse_direction_NS_24const_host_device_scalarIT1_EES1_PKS1_PKT2_SA_S7_PKT4_PKT5_S5_PT6_21rocsparse_index_base_b,"axG",@progbits,_ZN9rocsparseL18bsrxmvn_4x4_kernelILj128ELj16EdlldddEEvT3_20rocsparse_direction_NS_24const_host_device_scalarIT1_EES1_PKS1_PKT2_SA_S7_PKT4_PKT5_S5_PT6_21rocsparse_index_base_b,comdat
	.globl	_ZN9rocsparseL18bsrxmvn_4x4_kernelILj128ELj16EdlldddEEvT3_20rocsparse_direction_NS_24const_host_device_scalarIT1_EES1_PKS1_PKT2_SA_S7_PKT4_PKT5_S5_PT6_21rocsparse_index_base_b ; -- Begin function _ZN9rocsparseL18bsrxmvn_4x4_kernelILj128ELj16EdlldddEEvT3_20rocsparse_direction_NS_24const_host_device_scalarIT1_EES1_PKS1_PKT2_SA_S7_PKT4_PKT5_S5_PT6_21rocsparse_index_base_b
	.p2align	8
	.type	_ZN9rocsparseL18bsrxmvn_4x4_kernelILj128ELj16EdlldddEEvT3_20rocsparse_direction_NS_24const_host_device_scalarIT1_EES1_PKS1_PKT2_SA_S7_PKT4_PKT5_S5_PT6_21rocsparse_index_base_b,@function
_ZN9rocsparseL18bsrxmvn_4x4_kernelILj128ELj16EdlldddEEvT3_20rocsparse_direction_NS_24const_host_device_scalarIT1_EES1_PKS1_PKT2_SA_S7_PKT4_PKT5_S5_PT6_21rocsparse_index_base_b: ; @_ZN9rocsparseL18bsrxmvn_4x4_kernelILj128ELj16EdlldddEEvT3_20rocsparse_direction_NS_24const_host_device_scalarIT1_EES1_PKS1_PKT2_SA_S7_PKT4_PKT5_S5_PT6_21rocsparse_index_base_b
; %bb.0:
	s_clause 0x2
	s_load_b64 s[8:9], s[0:1], 0x60
	s_load_b128 s[4:7], s[0:1], 0x10
	s_load_b64 s[2:3], s[0:1], 0x50
	s_wait_kmcnt 0x0
	s_bitcmp1_b32 s9, 0
	v_dual_mov_b32 v2, s4 :: v_dual_mov_b32 v3, s5
	s_cselect_b32 s9, -1, 0
	s_delay_alu instid0(SALU_CYCLE_1)
	s_and_b32 vcc_lo, exec_lo, s9
	s_xor_b32 s9, s9, -1
	s_cbranch_vccnz .LBB47_2
; %bb.1:
	v_dual_mov_b32 v1, s4 :: v_dual_mov_b32 v2, s5
	flat_load_b64 v[2:3], v[1:2]
.LBB47_2:
	v_dual_mov_b32 v9, s3 :: v_dual_mov_b32 v8, s2
	s_and_not1_b32 vcc_lo, exec_lo, s9
	s_cbranch_vccnz .LBB47_4
; %bb.3:
	v_dual_mov_b32 v5, s3 :: v_dual_mov_b32 v4, s2
	flat_load_b64 v[8:9], v[4:5]
.LBB47_4:
	s_wait_loadcnt_dscnt 0x0
	v_cmp_neq_f64_e32 vcc_lo, 0, v[2:3]
	v_cmp_neq_f64_e64 s2, 1.0, v[8:9]
	s_or_b32 s2, vcc_lo, s2
	s_wait_alu 0xfffe
	s_and_saveexec_b32 s3, s2
	s_cbranch_execz .LBB47_10
; %bb.5:
	s_load_b64 s[2:3], s[0:1], 0x20
	v_lshrrev_b32_e32 v1, 4, v0
	v_mov_b32_e32 v7, 0
	s_delay_alu instid0(VALU_DEP_2)
	v_lshl_or_b32 v6, ttmp9, 3, v1
	s_wait_kmcnt 0x0
	s_cmp_lg_u64 s[2:3], 0
	s_cbranch_scc0 .LBB47_11
; %bb.6:
	s_delay_alu instid0(VALU_DEP_1)
	v_cmp_gt_i64_e32 vcc_lo, s[6:7], v[6:7]
	s_mov_b32 s5, 0
	s_mov_b32 s4, 0
                                        ; implicit-def: $vgpr10_vgpr11
                                        ; implicit-def: $vgpr4_vgpr5
	s_and_saveexec_b32 s6, vcc_lo
	s_wait_alu 0xfffe
	s_xor_b32 s6, exec_lo, s6
	s_cbranch_execz .LBB47_8
; %bb.7:
	v_lshlrev_b64_e32 v[4:5], 3, v[6:7]
	s_mov_b32 s9, 0
	s_mov_b32 s4, exec_lo
	s_delay_alu instid0(VALU_DEP_1) | instskip(NEXT) | instid1(VALU_DEP_1)
	v_add_co_u32 v4, vcc_lo, s2, v4
	v_add_co_ci_u32_e64 v5, null, s3, v5, vcc_lo
	global_load_b64 v[4:5], v[4:5], off
	s_wait_loadcnt 0x0
	v_sub_co_u32 v10, vcc_lo, v4, s8
	s_wait_alu 0xfffd
	v_subrev_co_ci_u32_e64 v11, null, 0, v5, vcc_lo
	v_dual_mov_b32 v4, s8 :: v_dual_mov_b32 v5, s9
.LBB47_8:
	s_wait_alu 0xfffe
	s_or_b32 exec_lo, exec_lo, s6
	s_delay_alu instid0(SALU_CYCLE_1)
	s_and_b32 vcc_lo, exec_lo, s5
	s_wait_alu 0xfffe
	s_cbranch_vccnz .LBB47_12
.LBB47_9:
	s_wait_alu 0xfffe
	s_and_b32 exec_lo, exec_lo, s4
	s_cbranch_execnz .LBB47_15
.LBB47_10:
	s_nop 0
	s_sendmsg sendmsg(MSG_DEALLOC_VGPRS)
	s_endpgm
.LBB47_11:
	s_mov_b32 s4, 0
                                        ; implicit-def: $vgpr10_vgpr11
                                        ; implicit-def: $vgpr4_vgpr5
	s_cbranch_execz .LBB47_9
.LBB47_12:
	s_load_b64 s[2:3], s[0:1], 0x0
	s_wait_kmcnt 0x0
	v_cmp_gt_i64_e32 vcc_lo, s[2:3], v[6:7]
	s_and_saveexec_b32 s2, vcc_lo
; %bb.13:
	s_mov_b32 s9, 0
	s_or_b32 s4, s4, exec_lo
; %bb.14:
	s_wait_alu 0xfffe
	s_or_b32 exec_lo, exec_lo, s2
	v_dual_mov_b32 v4, s8 :: v_dual_mov_b32 v5, s9
	v_dual_mov_b32 v11, v7 :: v_dual_mov_b32 v10, v6
	s_and_b32 exec_lo, exec_lo, s4
	s_cbranch_execz .LBB47_10
.LBB47_15:
	s_load_b256 s[4:11], s[0:1], 0x28
	s_delay_alu instid0(VALU_DEP_1) | instskip(SKIP_3) | instid1(VALU_DEP_2)
	v_lshlrev_b64_e32 v[6:7], 3, v[10:11]
	v_and_b32_e32 v34, 15, v0
	s_load_b32 s3, s[0:1], 0x8
	s_wait_kmcnt 0x0
	v_add_co_u32 v12, vcc_lo, s4, v6
	s_wait_alu 0xfffd
	v_add_co_ci_u32_e64 v13, null, s5, v7, vcc_lo
	v_add_co_u32 v1, vcc_lo, s6, v6
	s_wait_alu 0xfffd
	v_add_co_ci_u32_e64 v6, null, s7, v7, vcc_lo
	v_add_co_u32 v14, vcc_lo, v12, 8
	global_load_b64 v[22:23], v[12:13], off
	s_wait_alu 0xfffd
	v_add_co_ci_u32_e64 v7, null, 0, v13, vcc_lo
	s_cmp_eq_u64 s[6:7], 0
	s_load_b64 s[4:5], s[0:1], 0x48
	s_cselect_b32 vcc_lo, -1, 0
	s_cmp_eq_u32 s3, 1
	s_wait_alu 0xfffe
	v_dual_cndmask_b32 v7, v6, v7 :: v_dual_cndmask_b32 v6, v1, v14
	global_load_b64 v[6:7], v[6:7], off
	s_wait_loadcnt 0x1
	v_sub_co_u32 v0, vcc_lo, v22, v4
	s_wait_alu 0xfffd
	v_sub_co_ci_u32_e64 v1, null, v23, v5, vcc_lo
	s_delay_alu instid0(VALU_DEP_2) | instskip(SKIP_1) | instid1(VALU_DEP_2)
	v_add_co_u32 v0, vcc_lo, v0, v34
	s_wait_alu 0xfffd
	v_add_co_ci_u32_e64 v1, null, 0, v1, vcc_lo
	s_delay_alu instid0(VALU_DEP_1) | instskip(SKIP_4) | instid1(VALU_DEP_3)
	v_lshlrev_b64_e32 v[12:13], 7, v[0:1]
	s_wait_loadcnt 0x0
	v_sub_co_u32 v6, vcc_lo, v6, v4
	s_wait_alu 0xfffd
	v_sub_co_ci_u32_e64 v7, null, v7, v5, vcc_lo
	v_add_co_u32 v12, vcc_lo, s10, v12
	s_delay_alu instid0(VALU_DEP_2)
	v_cmp_lt_i64_e64 s2, v[0:1], v[6:7]
	s_wait_alu 0xfffd
	v_add_co_ci_u32_e64 v13, null, s11, v13, vcc_lo
	s_cbranch_scc1 .LBB47_27
; %bb.16:
	v_mov_b32_e32 v14, 0
	v_dual_mov_b32 v20, 0 :: v_dual_mov_b32 v15, 0
	v_dual_mov_b32 v16, 0 :: v_dual_mov_b32 v21, 0
	;; [unrolled: 1-line block ×3, first 2 shown]
	v_mov_b32_e32 v19, 0
	s_and_saveexec_b32 s6, s2
	s_cbranch_execz .LBB47_26
; %bb.17:
	v_or_b32_e32 v14, 16, v34
	v_not_b32_e32 v17, v22
	v_sub_co_u32 v18, s3, v4, v34
	v_not_b32_e32 v16, v23
	s_delay_alu instid0(VALU_DEP_4)
	v_sub_co_u32 v14, vcc_lo, v14, v4
	s_wait_alu 0xfffd
	v_sub_co_ci_u32_e64 v15, null, 0, v5, vcc_lo
	s_wait_alu 0xf1ff
	v_subrev_co_ci_u32_e64 v19, null, 0, v5, s3
	v_add_co_u32 v14, vcc_lo, v14, v22
	s_wait_alu 0xfffd
	v_add_co_ci_u32_e64 v15, null, v15, v23, vcc_lo
	v_dual_mov_b32 v27, v1 :: v_dual_mov_b32 v26, v0
	v_mov_b32_e32 v20, 0
	s_delay_alu instid0(VALU_DEP_3)
	v_cmp_gt_i64_e32 vcc_lo, v[14:15], v[6:7]
	v_mov_b32_e32 v21, 0
	s_wait_alu 0xfffd
	v_dual_cndmask_b32 v15, v7, v15 :: v_dual_cndmask_b32 v14, v6, v14
	v_add_co_u32 v17, vcc_lo, v18, v17
	s_wait_alu 0xfffd
	v_add_co_ci_u32_e64 v16, null, v19, v16, vcc_lo
	v_mov_b32_e32 v18, 0
	s_delay_alu instid0(VALU_DEP_3) | instskip(SKIP_3) | instid1(VALU_DEP_3)
	v_add_co_u32 v28, vcc_lo, v17, v14
	v_mov_b32_e32 v25, 0
	s_wait_alu 0xfffd
	v_add_co_ci_u32_e64 v29, null, v16, v15, vcc_lo
	v_and_b32_e32 v24, 48, v28
	v_dual_mov_b32 v16, 0 :: v_dual_mov_b32 v19, 0
	v_dual_mov_b32 v17, 0 :: v_dual_mov_b32 v14, 0
	s_delay_alu instid0(VALU_DEP_3)
	v_cmp_ne_u64_e32 vcc_lo, 48, v[24:25]
	v_mov_b32_e32 v15, 0
	v_dual_mov_b32 v25, v13 :: v_dual_mov_b32 v24, v12
	s_and_saveexec_b32 s7, vcc_lo
	s_cbranch_execz .LBB47_21
; %bb.18:
	v_lshrrev_b32_e32 v14, 4, v28
	v_lshlrev_b64_e32 v[18:19], 3, v[0:1]
	v_mov_b32_e32 v16, 0
	v_mov_b32_e32 v20, 0
	s_delay_alu instid0(VALU_DEP_4) | instskip(SKIP_3) | instid1(VALU_DEP_4)
	v_dual_mov_b32 v21, 0 :: v_dual_add_nc_u32 v26, 1, v14
	v_dual_mov_b32 v14, 0 :: v_dual_mov_b32 v25, v13
	v_mov_b32_e32 v15, 0
	v_add_co_u32 v30, vcc_lo, s8, v18
	v_and_b32_e32 v26, 3, v26
	s_wait_alu 0xfffd
	v_add_co_ci_u32_e64 v31, null, s9, v19, vcc_lo
	v_mov_b32_e32 v18, 0
	v_dual_mov_b32 v24, v12 :: v_dual_mov_b32 v17, 0
	v_sub_co_u32 v32, s3, 0, v26
	v_mov_b32_e32 v27, v1
	s_wait_alu 0xf1ff
	v_sub_co_ci_u32_e64 v33, null, 0, 0, s3
	v_dual_mov_b32 v19, 0 :: v_dual_mov_b32 v26, v0
	s_mov_b32 s10, 0
.LBB47_19:                              ; =>This Inner Loop Header: Depth=1
	global_load_b64 v[63:64], v[30:31], off
	s_clause 0x6
	global_load_b128 v[35:38], v[24:25], off offset:48
	global_load_b128 v[39:42], v[24:25], off offset:32
	;; [unrolled: 1-line block ×3, first 2 shown]
	global_load_b128 v[47:50], v[24:25], off
	global_load_b128 v[51:54], v[24:25], off offset:112
	global_load_b128 v[55:58], v[24:25], off offset:96
	;; [unrolled: 1-line block ×3, first 2 shown]
	v_add_co_u32 v30, s3, 0x80, v30
	s_wait_alu 0xf1ff
	v_add_co_ci_u32_e64 v31, null, 0, v31, s3
	s_wait_loadcnt 0x7
	v_sub_co_u32 v63, vcc_lo, v63, v4
	s_wait_alu 0xfffd
	v_sub_co_ci_u32_e64 v64, null, v64, v5, vcc_lo
	s_delay_alu instid0(VALU_DEP_1) | instskip(SKIP_1) | instid1(VALU_DEP_1)
	v_lshlrev_b64_e32 v[63:64], 5, v[63:64]
	s_wait_kmcnt 0x0
	v_add_co_u32 v71, vcc_lo, s4, v63
	s_wait_alu 0xfffd
	s_delay_alu instid0(VALU_DEP_2)
	v_add_co_ci_u32_e64 v72, null, s5, v64, vcc_lo
	global_load_b128 v[63:66], v[24:25], off offset:64
	s_clause 0x1
	global_load_b128 v[67:70], v[71:72], off
	global_load_b128 v[71:74], v[71:72], off offset:16
	v_add_co_u32 v24, vcc_lo, 0x800, v24
	s_wait_alu 0xfffd
	v_add_co_ci_u32_e64 v25, null, 0, v25, vcc_lo
	v_add_co_u32 v32, vcc_lo, v32, 1
	s_wait_alu 0xfffd
	v_add_co_ci_u32_e64 v33, null, 0, v33, vcc_lo
	;; [unrolled: 3-line block ×3, first 2 shown]
	s_delay_alu instid0(VALU_DEP_3)
	v_cmp_eq_u64_e32 vcc_lo, 0, v[32:33]
	s_wait_alu 0xfffe
	s_or_b32 s10, vcc_lo, s10
	s_wait_loadcnt 0x1
	v_fma_f64 v[18:19], v[47:48], v[67:68], v[18:19]
	v_fma_f64 v[20:21], v[39:40], v[67:68], v[20:21]
	v_fma_f64 v[16:17], v[63:64], v[67:68], v[16:17]
	v_fma_f64 v[14:15], v[55:56], v[67:68], v[14:15]
	s_delay_alu instid0(VALU_DEP_4) | instskip(NEXT) | instid1(VALU_DEP_4)
	v_fma_f64 v[18:19], v[49:50], v[69:70], v[18:19]
	v_fma_f64 v[20:21], v[41:42], v[69:70], v[20:21]
	s_delay_alu instid0(VALU_DEP_4) | instskip(NEXT) | instid1(VALU_DEP_4)
	v_fma_f64 v[16:17], v[65:66], v[69:70], v[16:17]
	v_fma_f64 v[14:15], v[57:58], v[69:70], v[14:15]
	s_wait_loadcnt 0x0
	s_delay_alu instid0(VALU_DEP_4) | instskip(NEXT) | instid1(VALU_DEP_4)
	v_fma_f64 v[18:19], v[43:44], v[71:72], v[18:19]
	v_fma_f64 v[20:21], v[35:36], v[71:72], v[20:21]
	s_delay_alu instid0(VALU_DEP_4) | instskip(NEXT) | instid1(VALU_DEP_4)
	v_fma_f64 v[16:17], v[59:60], v[71:72], v[16:17]
	v_fma_f64 v[14:15], v[51:52], v[71:72], v[14:15]
	;; [unrolled: 3-line block ×4, first 2 shown]
	s_wait_alu 0xfffe
	s_and_not1_b32 exec_lo, exec_lo, s10
	s_cbranch_execnz .LBB47_19
; %bb.20:
	s_or_b32 exec_lo, exec_lo, s10
.LBB47_21:
	s_wait_alu 0xfffe
	s_or_b32 exec_lo, exec_lo, s7
	s_delay_alu instid0(SALU_CYCLE_1)
	s_mov_b32 s7, exec_lo
	v_cmpx_lt_u64_e32 47, v[28:29]
	s_cbranch_execz .LBB47_25
; %bb.22:
	v_lshlrev_b64_e32 v[28:29], 3, v[26:27]
	s_mov_b32 s10, 0
	s_delay_alu instid0(VALU_DEP_1) | instskip(SKIP_1) | instid1(VALU_DEP_2)
	v_add_co_u32 v28, vcc_lo, s8, v28
	s_wait_alu 0xfffd
	v_add_co_ci_u32_e64 v29, null, s9, v29, vcc_lo
	s_delay_alu instid0(VALU_DEP_2) | instskip(SKIP_1) | instid1(VALU_DEP_2)
	v_add_co_u32 v28, vcc_lo, 0x100, v28
	s_wait_alu 0xfffd
	v_add_co_ci_u32_e64 v29, null, 0, v29, vcc_lo
.LBB47_23:                              ; =>This Inner Loop Header: Depth=1
	s_clause 0x2
	global_load_b64 v[63:64], v[28:29], off offset:-256
	global_load_b64 v[99:100], v[28:29], off offset:-128
	global_load_b64 v[139:140], v[28:29], off
	s_clause 0x7
	global_load_b128 v[30:33], v[24:25], off offset:48
	global_load_b128 v[35:38], v[24:25], off offset:32
	;; [unrolled: 1-line block ×3, first 2 shown]
	global_load_b128 v[43:46], v[24:25], off
	global_load_b128 v[47:50], v[24:25], off offset:112
	global_load_b128 v[51:54], v[24:25], off offset:96
	;; [unrolled: 1-line block ×4, first 2 shown]
	global_load_b64 v[147:148], v[28:29], off offset:128
	v_add_co_u32 v28, s3, 0x200, v28
	s_wait_alu 0xf1ff
	v_add_co_ci_u32_e64 v29, null, 0, v29, s3
	s_wait_loadcnt 0xb
	v_sub_co_u32 v63, vcc_lo, v63, v4
	s_wait_alu 0xfffd
	v_sub_co_ci_u32_e64 v64, null, v64, v5, vcc_lo
	s_delay_alu instid0(VALU_DEP_1) | instskip(SKIP_1) | instid1(VALU_DEP_1)
	v_lshlrev_b64_e32 v[63:64], 5, v[63:64]
	s_wait_kmcnt 0x0
	v_add_co_u32 v67, vcc_lo, s4, v63
	s_wait_alu 0xfffd
	s_delay_alu instid0(VALU_DEP_2)
	v_add_co_ci_u32_e64 v68, null, s5, v64, vcc_lo
	s_wait_loadcnt 0xa
	v_sub_co_u32 v99, vcc_lo, v99, v4
	s_wait_alu 0xfffd
	v_sub_co_ci_u32_e64 v100, null, v100, v5, vcc_lo
	s_clause 0x1
	global_load_b128 v[63:66], v[67:68], off
	global_load_b128 v[67:70], v[67:68], off offset:16
	s_clause 0x6
	global_load_b128 v[71:74], v[24:25], off offset:2096
	global_load_b128 v[75:78], v[24:25], off offset:2080
	;; [unrolled: 1-line block ×7, first 2 shown]
	v_lshlrev_b64_e32 v[99:100], 5, v[99:100]
	s_delay_alu instid0(VALU_DEP_1) | instskip(SKIP_1) | instid1(VALU_DEP_2)
	v_add_co_u32 v107, vcc_lo, s4, v99
	s_wait_alu 0xfffd
	v_add_co_ci_u32_e64 v108, null, s5, v100, vcc_lo
	global_load_b128 v[99:102], v[24:25], off offset:2112
	s_clause 0x1
	global_load_b128 v[103:106], v[107:108], off
	global_load_b128 v[107:110], v[107:108], off offset:16
	s_clause 0x6
	global_load_b128 v[111:114], v[24:25], off offset:4144
	global_load_b128 v[115:118], v[24:25], off offset:4128
	global_load_b128 v[119:122], v[24:25], off offset:4112
	global_load_b128 v[123:126], v[24:25], off offset:4096
	global_load_b128 v[127:130], v[24:25], off offset:4208
	global_load_b128 v[131:134], v[24:25], off offset:4192
	global_load_b128 v[135:138], v[24:25], off offset:4176
	s_wait_loadcnt 0x1c
	v_sub_co_u32 v139, vcc_lo, v139, v4
	s_wait_alu 0xfffd
	v_sub_co_ci_u32_e64 v140, null, v140, v5, vcc_lo
	s_delay_alu instid0(VALU_DEP_1) | instskip(NEXT) | instid1(VALU_DEP_1)
	v_lshlrev_b64_e32 v[139:140], 5, v[139:140]
	v_add_co_u32 v149, vcc_lo, s4, v139
	s_wait_alu 0xfffd
	s_delay_alu instid0(VALU_DEP_2)
	v_add_co_ci_u32_e64 v150, null, s5, v140, vcc_lo
	global_load_b128 v[139:142], v[24:25], off offset:4160
	global_load_b128 v[143:146], v[149:150], off
	s_wait_loadcnt 0x14
	v_fma_f64 v[18:19], v[43:44], v[63:64], v[18:19]
	v_fma_f64 v[20:21], v[35:36], v[63:64], v[20:21]
	;; [unrolled: 1-line block ×4, first 2 shown]
	s_delay_alu instid0(VALU_DEP_4) | instskip(NEXT) | instid1(VALU_DEP_4)
	v_fma_f64 v[18:19], v[45:46], v[65:66], v[18:19]
	v_fma_f64 v[20:21], v[37:38], v[65:66], v[20:21]
	s_delay_alu instid0(VALU_DEP_4) | instskip(NEXT) | instid1(VALU_DEP_4)
	v_fma_f64 v[35:36], v[61:62], v[65:66], v[16:17]
	v_fma_f64 v[37:38], v[53:54], v[65:66], v[14:15]
	global_load_b128 v[14:17], v[149:150], off offset:16
	s_wait_loadcnt 0x14
	v_fma_f64 v[39:40], v[39:40], v[67:68], v[18:19]
	v_fma_f64 v[30:31], v[30:31], v[67:68], v[20:21]
	;; [unrolled: 1-line block ×4, first 2 shown]
	s_clause 0x4
	global_load_b128 v[18:21], v[24:25], off offset:6192
	global_load_b128 v[35:38], v[24:25], off offset:6176
	;; [unrolled: 1-line block ×5, first 2 shown]
	v_fma_f64 v[63:64], v[41:42], v[69:70], v[39:40]
	v_fma_f64 v[65:66], v[32:33], v[69:70], v[30:31]
	;; [unrolled: 1-line block ×4, first 2 shown]
	v_sub_co_u32 v30, vcc_lo, v147, v4
	s_wait_alu 0xfffd
	v_sub_co_ci_u32_e64 v31, null, v148, v5, vcc_lo
	global_load_b128 v[39:42], v[24:25], off offset:6240
	v_lshlrev_b64_e32 v[30:31], 5, v[30:31]
	s_delay_alu instid0(VALU_DEP_1) | instskip(SKIP_1) | instid1(VALU_DEP_2)
	v_add_co_u32 v67, vcc_lo, s4, v30
	s_wait_alu 0xfffd
	v_add_co_ci_u32_e64 v68, null, s5, v31, vcc_lo
	global_load_b128 v[30:33], v[24:25], off offset:6208
	global_load_b128 v[47:50], v[67:68], off
	v_add_co_u32 v26, vcc_lo, v26, 64
	s_wait_alu 0xfffd
	v_add_co_ci_u32_e64 v27, null, 0, v27, vcc_lo
	s_wait_loadcnt 0x13
	v_fma_f64 v[63:64], v[83:84], v[103:104], v[63:64]
	v_fma_f64 v[65:66], v[75:76], v[103:104], v[65:66]
	;; [unrolled: 1-line block ×4, first 2 shown]
	s_delay_alu instid0(VALU_DEP_4) | instskip(NEXT) | instid1(VALU_DEP_4)
	v_fma_f64 v[69:70], v[85:86], v[105:106], v[63:64]
	v_fma_f64 v[75:76], v[77:78], v[105:106], v[65:66]
	s_delay_alu instid0(VALU_DEP_4) | instskip(NEXT) | instid1(VALU_DEP_4)
	v_fma_f64 v[77:78], v[101:102], v[105:106], v[55:56]
	v_fma_f64 v[83:84], v[93:94], v[105:106], v[57:58]
	global_load_b128 v[55:58], v[24:25], off offset:6224
	global_load_b128 v[63:66], v[67:68], off offset:16
	v_add_co_u32 v24, vcc_lo, 0x2000, v24
	s_wait_alu 0xfffd
	v_add_co_ci_u32_e64 v25, null, 0, v25, vcc_lo
	v_cmp_ge_i64_e32 vcc_lo, v[26:27], v[6:7]
	s_wait_alu 0xfffe
	s_or_b32 s10, vcc_lo, s10
	s_wait_loadcnt 0x14
	v_fma_f64 v[67:68], v[79:80], v[107:108], v[69:70]
	v_fma_f64 v[69:70], v[71:72], v[107:108], v[75:76]
	;; [unrolled: 1-line block ×4, first 2 shown]
	s_delay_alu instid0(VALU_DEP_4) | instskip(NEXT) | instid1(VALU_DEP_4)
	v_fma_f64 v[67:68], v[81:82], v[109:110], v[67:68]
	v_fma_f64 v[69:70], v[73:74], v[109:110], v[69:70]
	s_delay_alu instid0(VALU_DEP_4) | instskip(NEXT) | instid1(VALU_DEP_4)
	v_fma_f64 v[71:72], v[97:98], v[109:110], v[71:72]
	v_fma_f64 v[73:74], v[89:90], v[109:110], v[75:76]
	s_wait_loadcnt 0xb
	s_delay_alu instid0(VALU_DEP_4) | instskip(NEXT) | instid1(VALU_DEP_4)
	v_fma_f64 v[67:68], v[123:124], v[143:144], v[67:68]
	v_fma_f64 v[69:70], v[115:116], v[143:144], v[69:70]
	s_delay_alu instid0(VALU_DEP_4) | instskip(NEXT) | instid1(VALU_DEP_4)
	v_fma_f64 v[71:72], v[139:140], v[143:144], v[71:72]
	v_fma_f64 v[73:74], v[131:132], v[143:144], v[73:74]
	s_delay_alu instid0(VALU_DEP_4) | instskip(NEXT) | instid1(VALU_DEP_4)
	v_fma_f64 v[67:68], v[125:126], v[145:146], v[67:68]
	v_fma_f64 v[69:70], v[117:118], v[145:146], v[69:70]
	s_delay_alu instid0(VALU_DEP_4) | instskip(NEXT) | instid1(VALU_DEP_4)
	v_fma_f64 v[71:72], v[141:142], v[145:146], v[71:72]
	v_fma_f64 v[73:74], v[133:134], v[145:146], v[73:74]
	s_wait_loadcnt 0xa
	s_delay_alu instid0(VALU_DEP_4) | instskip(NEXT) | instid1(VALU_DEP_4)
	v_fma_f64 v[67:68], v[119:120], v[14:15], v[67:68]
	v_fma_f64 v[69:70], v[111:112], v[14:15], v[69:70]
	s_delay_alu instid0(VALU_DEP_4) | instskip(NEXT) | instid1(VALU_DEP_4)
	v_fma_f64 v[71:72], v[135:136], v[14:15], v[71:72]
	v_fma_f64 v[14:15], v[127:128], v[14:15], v[73:74]
	;; [unrolled: 13-line block ×4, first 2 shown]
	s_delay_alu instid0(VALU_DEP_4) | instskip(NEXT) | instid1(VALU_DEP_4)
	v_fma_f64 v[18:19], v[45:46], v[65:66], v[16:17]
	v_fma_f64 v[20:21], v[20:21], v[65:66], v[32:33]
	s_delay_alu instid0(VALU_DEP_4) | instskip(NEXT) | instid1(VALU_DEP_4)
	v_fma_f64 v[16:17], v[57:58], v[65:66], v[30:31]
	v_fma_f64 v[14:15], v[61:62], v[65:66], v[14:15]
	s_wait_alu 0xfffe
	s_and_not1_b32 exec_lo, exec_lo, s10
	s_cbranch_execnz .LBB47_23
; %bb.24:
	s_or_b32 exec_lo, exec_lo, s10
.LBB47_25:
	s_wait_alu 0xfffe
	s_or_b32 exec_lo, exec_lo, s7
.LBB47_26:
	s_wait_alu 0xfffe
	s_or_b32 exec_lo, exec_lo, s6
	s_cbranch_execz .LBB47_28
	s_branch .LBB47_39
.LBB47_27:
                                        ; implicit-def: $vgpr14_vgpr15
                                        ; implicit-def: $vgpr16_vgpr17
                                        ; implicit-def: $vgpr20_vgpr21
                                        ; implicit-def: $vgpr18_vgpr19
.LBB47_28:
	v_mov_b32_e32 v14, 0
	v_dual_mov_b32 v20, 0 :: v_dual_mov_b32 v15, 0
	v_dual_mov_b32 v16, 0 :: v_dual_mov_b32 v21, 0
	;; [unrolled: 1-line block ×3, first 2 shown]
	v_mov_b32_e32 v19, 0
	s_and_saveexec_b32 s3, s2
	s_cbranch_execz .LBB47_38
; %bb.29:
	v_or_b32_e32 v14, 16, v34
	v_not_b32_e32 v17, v22
	v_sub_co_u32 v18, s2, v4, v34
	v_not_b32_e32 v16, v23
	s_delay_alu instid0(VALU_DEP_4)
	v_sub_co_u32 v14, vcc_lo, v14, v4
	s_wait_alu 0xfffd
	v_sub_co_ci_u32_e64 v15, null, 0, v5, vcc_lo
	s_wait_alu 0xf1ff
	v_subrev_co_ci_u32_e64 v19, null, 0, v5, s2
	v_add_co_u32 v14, vcc_lo, v14, v22
	s_wait_alu 0xfffd
	v_add_co_ci_u32_e64 v15, null, v15, v23, vcc_lo
	s_delay_alu instid0(VALU_DEP_1)
	v_cmp_gt_i64_e32 vcc_lo, v[14:15], v[6:7]
	s_wait_alu 0xfffd
	v_cndmask_b32_e32 v20, v7, v15, vcc_lo
	v_cndmask_b32_e32 v14, v6, v14, vcc_lo
	v_add_co_u32 v15, vcc_lo, v18, v17
	s_wait_alu 0xfffd
	v_add_co_ci_u32_e64 v16, null, v19, v16, vcc_lo
	v_mov_b32_e32 v18, 0
	v_mov_b32_e32 v19, 0
	v_add_co_u32 v22, vcc_lo, v15, v14
	v_mov_b32_e32 v15, 0
	s_wait_alu 0xfffd
	v_add_co_ci_u32_e64 v23, null, v16, v20, vcc_lo
	s_delay_alu instid0(VALU_DEP_3) | instskip(SKIP_3) | instid1(VALU_DEP_4)
	v_and_b32_e32 v14, 48, v22
	v_mov_b32_e32 v20, 0
	v_dual_mov_b32 v21, 0 :: v_dual_mov_b32 v16, 0
	v_mov_b32_e32 v17, 0
	v_cmp_ne_u64_e32 vcc_lo, 48, v[14:15]
	v_mov_b32_e32 v14, 0
	v_mov_b32_e32 v15, 0
	s_and_saveexec_b32 s6, vcc_lo
	s_cbranch_execz .LBB47_33
; %bb.30:
	v_lshrrev_b32_e32 v14, 4, v22
	v_lshlrev_b64_e32 v[24:25], 3, v[0:1]
	v_mov_b32_e32 v16, 0
	v_mov_b32_e32 v20, 0
	;; [unrolled: 1-line block ×3, first 2 shown]
	v_add_nc_u32_e32 v26, 1, v14
	v_dual_mov_b32 v14, 0 :: v_dual_mov_b32 v17, 0
	v_mov_b32_e32 v15, 0
	v_add_co_u32 v24, vcc_lo, s8, v24
	s_delay_alu instid0(VALU_DEP_4) | instskip(SKIP_3) | instid1(VALU_DEP_3)
	v_dual_mov_b32 v21, 0 :: v_dual_and_b32 v26, 3, v26
	v_mov_b32_e32 v19, 0
	s_wait_alu 0xfffd
	v_add_co_ci_u32_e64 v25, null, s9, v25, vcc_lo
	v_sub_co_u32 v26, s2, 0, v26
	s_wait_alu 0xf1ff
	v_sub_co_ci_u32_e64 v27, null, 0, 0, s2
	s_mov_b32 s7, 0
.LBB47_31:                              ; =>This Inner Loop Header: Depth=1
	global_load_b64 v[32:33], v[24:25], off
	global_load_b128 v[28:31], v[12:13], off offset:16
	v_add_co_u32 v24, s2, 0x80, v24
	s_wait_alu 0xf1ff
	v_add_co_ci_u32_e64 v25, null, 0, v25, s2
	s_wait_loadcnt 0x1
	v_sub_co_u32 v32, vcc_lo, v32, v4
	s_wait_alu 0xfffd
	v_sub_co_ci_u32_e64 v33, null, v33, v5, vcc_lo
	s_delay_alu instid0(VALU_DEP_1) | instskip(SKIP_1) | instid1(VALU_DEP_1)
	v_lshlrev_b64_e32 v[32:33], 5, v[32:33]
	s_wait_kmcnt 0x0
	v_add_co_u32 v32, vcc_lo, s4, v32
	s_wait_alu 0xfffd
	s_delay_alu instid0(VALU_DEP_2)
	v_add_co_ci_u32_e64 v33, null, s5, v33, vcc_lo
	global_load_b128 v[35:38], v[12:13], off
	s_clause 0x1
	global_load_b128 v[39:42], v[32:33], off
	global_load_b128 v[43:46], v[32:33], off offset:16
	s_clause 0x5
	global_load_b128 v[47:50], v[12:13], off offset:32
	global_load_b128 v[51:54], v[12:13], off offset:48
	global_load_b128 v[55:58], v[12:13], off offset:64
	global_load_b128 v[59:62], v[12:13], off offset:80
	global_load_b128 v[63:66], v[12:13], off offset:96
	global_load_b128 v[67:70], v[12:13], off offset:112
	v_add_co_u32 v12, vcc_lo, 0x800, v12
	s_wait_alu 0xfffd
	v_add_co_ci_u32_e64 v13, null, 0, v13, vcc_lo
	v_add_co_u32 v26, vcc_lo, v26, 1
	s_wait_alu 0xfffd
	v_add_co_ci_u32_e64 v27, null, 0, v27, vcc_lo
	;; [unrolled: 3-line block ×3, first 2 shown]
	s_delay_alu instid0(VALU_DEP_3)
	v_cmp_eq_u64_e32 vcc_lo, 0, v[26:27]
	s_wait_alu 0xfffe
	s_or_b32 s7, vcc_lo, s7
	s_wait_loadcnt 0x7
	v_fma_f64 v[18:19], v[35:36], v[39:40], v[18:19]
	v_fma_f64 v[20:21], v[37:38], v[39:40], v[20:21]
	;; [unrolled: 1-line block ×4, first 2 shown]
	s_wait_loadcnt 0x5
	s_delay_alu instid0(VALU_DEP_4) | instskip(NEXT) | instid1(VALU_DEP_4)
	v_fma_f64 v[18:19], v[47:48], v[41:42], v[18:19]
	v_fma_f64 v[20:21], v[49:50], v[41:42], v[20:21]
	s_wait_loadcnt 0x4
	s_delay_alu instid0(VALU_DEP_4) | instskip(NEXT) | instid1(VALU_DEP_4)
	v_fma_f64 v[16:17], v[51:52], v[41:42], v[16:17]
	v_fma_f64 v[14:15], v[53:54], v[41:42], v[14:15]
	s_wait_loadcnt 0x3
	s_delay_alu instid0(VALU_DEP_4) | instskip(NEXT) | instid1(VALU_DEP_4)
	v_fma_f64 v[18:19], v[55:56], v[43:44], v[18:19]
	v_fma_f64 v[20:21], v[57:58], v[43:44], v[20:21]
	s_wait_loadcnt 0x2
	s_delay_alu instid0(VALU_DEP_4) | instskip(NEXT) | instid1(VALU_DEP_4)
	v_fma_f64 v[16:17], v[59:60], v[43:44], v[16:17]
	v_fma_f64 v[14:15], v[61:62], v[43:44], v[14:15]
	s_wait_loadcnt 0x1
	s_delay_alu instid0(VALU_DEP_4) | instskip(NEXT) | instid1(VALU_DEP_4)
	v_fma_f64 v[18:19], v[63:64], v[45:46], v[18:19]
	v_fma_f64 v[20:21], v[65:66], v[45:46], v[20:21]
	s_wait_loadcnt 0x0
	s_delay_alu instid0(VALU_DEP_4) | instskip(NEXT) | instid1(VALU_DEP_4)
	v_fma_f64 v[16:17], v[67:68], v[45:46], v[16:17]
	v_fma_f64 v[14:15], v[69:70], v[45:46], v[14:15]
	s_wait_alu 0xfffe
	s_and_not1_b32 exec_lo, exec_lo, s7
	s_cbranch_execnz .LBB47_31
; %bb.32:
	s_or_b32 exec_lo, exec_lo, s7
.LBB47_33:
	s_wait_alu 0xfffe
	s_or_b32 exec_lo, exec_lo, s6
	s_delay_alu instid0(SALU_CYCLE_1)
	s_mov_b32 s6, exec_lo
	v_cmpx_lt_u64_e32 47, v[22:23]
	s_cbranch_execz .LBB47_37
; %bb.34:
	v_lshlrev_b64_e32 v[22:23], 3, v[0:1]
	s_mov_b32 s7, 0
	s_delay_alu instid0(VALU_DEP_1) | instskip(SKIP_1) | instid1(VALU_DEP_2)
	v_add_co_u32 v22, vcc_lo, s8, v22
	s_wait_alu 0xfffd
	v_add_co_ci_u32_e64 v23, null, s9, v23, vcc_lo
	s_delay_alu instid0(VALU_DEP_2) | instskip(SKIP_1) | instid1(VALU_DEP_2)
	v_add_co_u32 v22, vcc_lo, 0x100, v22
	s_wait_alu 0xfffd
	v_add_co_ci_u32_e64 v23, null, 0, v23, vcc_lo
.LBB47_35:                              ; =>This Inner Loop Header: Depth=1
	s_clause 0x2
	global_load_b64 v[32:33], v[22:23], off offset:-256
	global_load_b64 v[71:72], v[22:23], off offset:-128
	global_load_b64 v[111:112], v[22:23], off
	s_clause 0x1
	global_load_b128 v[24:27], v[12:13], off offset:16
	global_load_b128 v[28:31], v[12:13], off
	global_load_b64 v[119:120], v[22:23], off offset:128
	v_add_co_u32 v22, s2, 0x200, v22
	s_wait_alu 0xf1ff
	v_add_co_ci_u32_e64 v23, null, 0, v23, s2
	s_wait_loadcnt 0x5
	v_sub_co_u32 v32, vcc_lo, v32, v4
	s_wait_alu 0xfffd
	v_sub_co_ci_u32_e64 v33, null, v33, v5, vcc_lo
	s_delay_alu instid0(VALU_DEP_1) | instskip(SKIP_1) | instid1(VALU_DEP_1)
	v_lshlrev_b64_e32 v[32:33], 5, v[32:33]
	s_wait_kmcnt 0x0
	v_add_co_u32 v32, vcc_lo, s4, v32
	s_wait_alu 0xfffd
	s_delay_alu instid0(VALU_DEP_2)
	v_add_co_ci_u32_e64 v33, null, s5, v33, vcc_lo
	global_load_b128 v[35:38], v[32:33], off
	s_clause 0x3
	global_load_b128 v[39:42], v[12:13], off offset:32
	global_load_b128 v[43:46], v[12:13], off offset:48
	;; [unrolled: 1-line block ×5, first 2 shown]
	s_clause 0x2
	global_load_b128 v[59:62], v[12:13], off offset:96
	global_load_b128 v[63:66], v[12:13], off offset:112
	;; [unrolled: 1-line block ×3, first 2 shown]
	s_wait_loadcnt 0xd
	v_sub_co_u32 v32, vcc_lo, v71, v4
	s_wait_alu 0xfffd
	v_sub_co_ci_u32_e64 v33, null, v72, v5, vcc_lo
	s_delay_alu instid0(VALU_DEP_1) | instskip(NEXT) | instid1(VALU_DEP_1)
	v_lshlrev_b64_e32 v[32:33], 5, v[32:33]
	v_add_co_u32 v32, vcc_lo, s4, v32
	s_wait_alu 0xfffd
	s_delay_alu instid0(VALU_DEP_2)
	v_add_co_ci_u32_e64 v33, null, s5, v33, vcc_lo
	global_load_b128 v[71:74], v[12:13], off offset:2048
	global_load_b128 v[75:78], v[32:33], off
	s_clause 0x3
	global_load_b128 v[79:82], v[12:13], off offset:2080
	global_load_b128 v[83:86], v[12:13], off offset:2096
	;; [unrolled: 1-line block ×5, first 2 shown]
	s_clause 0x2
	global_load_b128 v[99:102], v[12:13], off offset:2144
	global_load_b128 v[103:106], v[12:13], off offset:2160
	global_load_b128 v[107:110], v[12:13], off offset:4112
	s_wait_loadcnt 0x16
	v_sub_co_u32 v32, vcc_lo, v111, v4
	s_wait_alu 0xfffd
	v_sub_co_ci_u32_e64 v33, null, v112, v5, vcc_lo
	s_delay_alu instid0(VALU_DEP_1) | instskip(NEXT) | instid1(VALU_DEP_1)
	v_lshlrev_b64_e32 v[32:33], 5, v[32:33]
	v_add_co_u32 v32, vcc_lo, s4, v32
	s_wait_alu 0xfffd
	s_delay_alu instid0(VALU_DEP_2)
	v_add_co_ci_u32_e64 v33, null, s5, v33, vcc_lo
	global_load_b128 v[111:114], v[12:13], off offset:4096
	global_load_b128 v[115:118], v[32:33], off
	s_wait_loadcnt 0x14
	v_fma_f64 v[28:29], v[28:29], v[35:36], v[18:19]
	v_fma_f64 v[30:31], v[30:31], v[35:36], v[20:21]
	;; [unrolled: 1-line block ×4, first 2 shown]
	s_clause 0x1
	global_load_b128 v[14:17], v[12:13], off offset:4128
	global_load_b128 v[18:21], v[12:13], off offset:4144
	s_wait_loadcnt 0x15
	v_fma_f64 v[39:40], v[39:40], v[37:38], v[28:29]
	v_fma_f64 v[41:42], v[41:42], v[37:38], v[30:31]
	s_wait_loadcnt 0x14
	v_fma_f64 v[43:44], v[43:44], v[37:38], v[24:25]
	v_fma_f64 v[45:46], v[45:46], v[37:38], v[26:27]
	s_clause 0x1
	global_load_b128 v[24:27], v[12:13], off offset:4176
	global_load_b128 v[28:31], v[12:13], off offset:4160
	;; [unrolled: 1-line block ×3, first 2 shown]
	s_wait_loadcnt 0x14
	v_fma_f64 v[32:33], v[47:48], v[55:56], v[39:40]
	v_fma_f64 v[121:122], v[49:50], v[55:56], v[41:42]
	;; [unrolled: 1-line block ×4, first 2 shown]
	s_clause 0x2
	global_load_b128 v[39:42], v[12:13], off offset:4192
	global_load_b128 v[43:46], v[12:13], off offset:4208
	;; [unrolled: 1-line block ×3, first 2 shown]
	v_sub_co_u32 v55, vcc_lo, v119, v4
	s_wait_alu 0xfffd
	v_sub_co_ci_u32_e64 v56, null, v120, v5, vcc_lo
	s_wait_loadcnt 0x16
	v_fma_f64 v[32:33], v[59:60], v[57:58], v[32:33]
	v_fma_f64 v[59:60], v[61:62], v[57:58], v[121:122]
	s_wait_loadcnt 0x15
	v_fma_f64 v[61:62], v[63:64], v[57:58], v[51:52]
	v_fma_f64 v[63:64], v[65:66], v[57:58], v[53:54]
	v_lshlrev_b64_e32 v[51:52], 5, v[55:56]
	s_delay_alu instid0(VALU_DEP_1) | instskip(SKIP_1) | instid1(VALU_DEP_2)
	v_add_co_u32 v119, vcc_lo, s4, v51
	s_wait_alu 0xfffd
	v_add_co_ci_u32_e64 v120, null, s5, v52, vcc_lo
	global_load_b128 v[51:54], v[12:13], off offset:6144
	global_load_b128 v[55:58], v[119:120], off
	v_add_co_u32 v0, vcc_lo, v0, 64
	s_wait_alu 0xfffd
	v_add_co_ci_u32_e64 v1, null, 0, v1, vcc_lo
	s_wait_loadcnt 0x14
	v_fma_f64 v[32:33], v[71:72], v[75:76], v[32:33]
	v_fma_f64 v[71:72], v[73:74], v[75:76], v[59:60]
	;; [unrolled: 1-line block ×4, first 2 shown]
	s_clause 0x1
	global_load_b128 v[59:62], v[12:13], off offset:6176
	global_load_b128 v[63:66], v[12:13], off offset:6192
	s_wait_loadcnt 0x15
	v_fma_f64 v[32:33], v[79:80], v[77:78], v[32:33]
	v_fma_f64 v[79:80], v[81:82], v[77:78], v[71:72]
	s_wait_loadcnt 0x14
	v_fma_f64 v[81:82], v[83:84], v[77:78], v[67:68]
	v_fma_f64 v[83:84], v[85:86], v[77:78], v[69:70]
	s_clause 0x1
	global_load_b128 v[67:70], v[12:13], off offset:6208
	global_load_b128 v[71:74], v[12:13], off offset:6224
	;; [unrolled: 1-line block ×3, first 2 shown]
	s_wait_loadcnt 0x14
	v_fma_f64 v[32:33], v[87:88], v[95:96], v[32:33]
	v_fma_f64 v[87:88], v[89:90], v[95:96], v[79:80]
	v_fma_f64 v[89:90], v[91:92], v[95:96], v[81:82]
	v_fma_f64 v[91:92], v[93:94], v[95:96], v[83:84]
	s_clause 0x1
	global_load_b128 v[79:82], v[12:13], off offset:6240
	global_load_b128 v[83:86], v[12:13], off offset:6256
	v_add_co_u32 v12, vcc_lo, 0x2000, v12
	s_wait_alu 0xfffd
	v_add_co_ci_u32_e64 v13, null, 0, v13, vcc_lo
	v_cmp_ge_i64_e32 vcc_lo, v[0:1], v[6:7]
	s_wait_alu 0xfffe
	s_or_b32 s7, vcc_lo, s7
	s_wait_loadcnt 0x15
	v_fma_f64 v[32:33], v[99:100], v[97:98], v[32:33]
	v_fma_f64 v[87:88], v[101:102], v[97:98], v[87:88]
	s_wait_loadcnt 0x14
	v_fma_f64 v[89:90], v[103:104], v[97:98], v[89:90]
	v_fma_f64 v[91:92], v[105:106], v[97:98], v[91:92]
	s_wait_loadcnt 0x11
	s_delay_alu instid0(VALU_DEP_4) | instskip(NEXT) | instid1(VALU_DEP_4)
	v_fma_f64 v[32:33], v[111:112], v[115:116], v[32:33]
	v_fma_f64 v[87:88], v[113:114], v[115:116], v[87:88]
	s_delay_alu instid0(VALU_DEP_4) | instskip(NEXT) | instid1(VALU_DEP_4)
	v_fma_f64 v[89:90], v[107:108], v[115:116], v[89:90]
	v_fma_f64 v[91:92], v[109:110], v[115:116], v[91:92]
	s_wait_loadcnt 0x10
	s_delay_alu instid0(VALU_DEP_4) | instskip(NEXT) | instid1(VALU_DEP_4)
	v_fma_f64 v[14:15], v[14:15], v[117:118], v[32:33]
	v_fma_f64 v[16:17], v[16:17], v[117:118], v[87:88]
	s_wait_loadcnt 0xf
	s_delay_alu instid0(VALU_DEP_4) | instskip(NEXT) | instid1(VALU_DEP_4)
	v_fma_f64 v[18:19], v[18:19], v[117:118], v[89:90]
	v_fma_f64 v[20:21], v[20:21], v[117:118], v[91:92]
	s_wait_loadcnt 0xc
	s_delay_alu instid0(VALU_DEP_4) | instskip(NEXT) | instid1(VALU_DEP_4)
	v_fma_f64 v[14:15], v[28:29], v[35:36], v[14:15]
	v_fma_f64 v[16:17], v[30:31], v[35:36], v[16:17]
	s_delay_alu instid0(VALU_DEP_4) | instskip(NEXT) | instid1(VALU_DEP_4)
	v_fma_f64 v[18:19], v[24:25], v[35:36], v[18:19]
	v_fma_f64 v[20:21], v[26:27], v[35:36], v[20:21]
	s_wait_loadcnt 0xb
	s_delay_alu instid0(VALU_DEP_4) | instskip(NEXT) | instid1(VALU_DEP_4)
	v_fma_f64 v[14:15], v[39:40], v[37:38], v[14:15]
	v_fma_f64 v[16:17], v[41:42], v[37:38], v[16:17]
	s_wait_loadcnt 0xa
	s_delay_alu instid0(VALU_DEP_4) | instskip(NEXT) | instid1(VALU_DEP_4)
	v_fma_f64 v[18:19], v[43:44], v[37:38], v[18:19]
	v_fma_f64 v[20:21], v[45:46], v[37:38], v[20:21]
	s_wait_loadcnt 0x7
	s_delay_alu instid0(VALU_DEP_4) | instskip(NEXT) | instid1(VALU_DEP_4)
	v_fma_f64 v[14:15], v[51:52], v[55:56], v[14:15]
	v_fma_f64 v[16:17], v[53:54], v[55:56], v[16:17]
	s_delay_alu instid0(VALU_DEP_4) | instskip(NEXT) | instid1(VALU_DEP_4)
	v_fma_f64 v[18:19], v[47:48], v[55:56], v[18:19]
	v_fma_f64 v[20:21], v[49:50], v[55:56], v[20:21]
	s_wait_loadcnt 0x6
	s_delay_alu instid0(VALU_DEP_4) | instskip(NEXT) | instid1(VALU_DEP_4)
	v_fma_f64 v[14:15], v[59:60], v[57:58], v[14:15]
	v_fma_f64 v[16:17], v[61:62], v[57:58], v[16:17]
	s_wait_loadcnt 0x5
	s_delay_alu instid0(VALU_DEP_4) | instskip(NEXT) | instid1(VALU_DEP_4)
	v_fma_f64 v[18:19], v[63:64], v[57:58], v[18:19]
	v_fma_f64 v[20:21], v[65:66], v[57:58], v[20:21]
	s_wait_loadcnt 0x2
	s_delay_alu instid0(VALU_DEP_4) | instskip(NEXT) | instid1(VALU_DEP_4)
	v_fma_f64 v[14:15], v[67:68], v[75:76], v[14:15]
	v_fma_f64 v[16:17], v[69:70], v[75:76], v[16:17]
	s_delay_alu instid0(VALU_DEP_4) | instskip(NEXT) | instid1(VALU_DEP_4)
	v_fma_f64 v[24:25], v[71:72], v[75:76], v[18:19]
	v_fma_f64 v[26:27], v[73:74], v[75:76], v[20:21]
	s_wait_loadcnt 0x1
	s_delay_alu instid0(VALU_DEP_4) | instskip(NEXT) | instid1(VALU_DEP_4)
	v_fma_f64 v[18:19], v[79:80], v[77:78], v[14:15]
	v_fma_f64 v[20:21], v[81:82], v[77:78], v[16:17]
	s_wait_loadcnt 0x0
	s_delay_alu instid0(VALU_DEP_4) | instskip(NEXT) | instid1(VALU_DEP_4)
	v_fma_f64 v[16:17], v[83:84], v[77:78], v[24:25]
	v_fma_f64 v[14:15], v[85:86], v[77:78], v[26:27]
	s_wait_alu 0xfffe
	s_and_not1_b32 exec_lo, exec_lo, s7
	s_cbranch_execnz .LBB47_35
; %bb.36:
	s_or_b32 exec_lo, exec_lo, s7
.LBB47_37:
	s_wait_alu 0xfffe
	s_or_b32 exec_lo, exec_lo, s6
.LBB47_38:
	s_wait_alu 0xfffe
	s_or_b32 exec_lo, exec_lo, s3
.LBB47_39:
	v_mbcnt_lo_u32_b32 v24, -1, 0
	s_delay_alu instid0(VALU_DEP_1) | instskip(NEXT) | instid1(VALU_DEP_1)
	v_xor_b32_e32 v0, 8, v24
	v_cmp_gt_i32_e32 vcc_lo, 32, v0
	s_wait_alu 0xfffd
	v_cndmask_b32_e32 v0, v24, v0, vcc_lo
	s_delay_alu instid0(VALU_DEP_1)
	v_lshlrev_b32_e32 v13, 2, v0
	ds_bpermute_b32 v0, v13, v18
	ds_bpermute_b32 v1, v13, v19
	;; [unrolled: 1-line block ×8, first 2 shown]
	s_wait_dscnt 0x6
	v_add_f64_e32 v[0:1], v[18:19], v[0:1]
	s_wait_dscnt 0x4
	v_add_f64_e32 v[4:5], v[20:21], v[4:5]
	;; [unrolled: 2-line block ×4, first 2 shown]
	v_xor_b32_e32 v14, 4, v24
	s_delay_alu instid0(VALU_DEP_1) | instskip(SKIP_2) | instid1(VALU_DEP_1)
	v_cmp_gt_i32_e32 vcc_lo, 32, v14
	s_wait_alu 0xfffd
	v_cndmask_b32_e32 v14, v24, v14, vcc_lo
	v_lshlrev_b32_e32 v21, 2, v14
	ds_bpermute_b32 v14, v21, v0
	ds_bpermute_b32 v15, v21, v1
	;; [unrolled: 1-line block ×8, first 2 shown]
	s_wait_dscnt 0x6
	v_add_f64_e32 v[0:1], v[0:1], v[14:15]
	s_wait_dscnt 0x4
	v_add_f64_e32 v[4:5], v[4:5], v[16:17]
	;; [unrolled: 2-line block ×3, first 2 shown]
	v_xor_b32_e32 v6, 2, v24
	s_wait_dscnt 0x0
	v_add_f64_e32 v[16:17], v[12:13], v[20:21]
	s_delay_alu instid0(VALU_DEP_2) | instskip(SKIP_2) | instid1(VALU_DEP_1)
	v_cmp_gt_i32_e32 vcc_lo, 32, v6
	s_wait_alu 0xfffd
	v_cndmask_b32_e32 v6, v24, v6, vcc_lo
	v_lshlrev_b32_e32 v12, 2, v6
	ds_bpermute_b32 v6, v12, v0
	ds_bpermute_b32 v7, v12, v1
	;; [unrolled: 1-line block ×8, first 2 shown]
	s_wait_dscnt 0x6
	v_add_f64_e32 v[12:13], v[0:1], v[6:7]
	s_wait_dscnt 0x4
	v_add_f64_e32 v[6:7], v[4:5], v[18:19]
	;; [unrolled: 2-line block ×3, first 2 shown]
	v_xor_b32_e32 v14, 1, v24
	s_wait_dscnt 0x0
	v_add_f64_e32 v[4:5], v[16:17], v[22:23]
	s_delay_alu instid0(VALU_DEP_2) | instskip(SKIP_3) | instid1(VALU_DEP_2)
	v_cmp_gt_i32_e32 vcc_lo, 32, v14
	s_wait_alu 0xfffd
	v_cndmask_b32_e32 v14, v24, v14, vcc_lo
	v_cmp_eq_u32_e32 vcc_lo, 15, v34
	v_lshlrev_b32_e32 v15, 2, v14
	ds_bpermute_b32 v20, v15, v12
	ds_bpermute_b32 v21, v15, v13
	ds_bpermute_b32 v18, v15, v6
	ds_bpermute_b32 v19, v15, v7
	ds_bpermute_b32 v16, v15, v0
	ds_bpermute_b32 v17, v15, v1
	ds_bpermute_b32 v14, v15, v4
	ds_bpermute_b32 v15, v15, v5
	s_and_b32 exec_lo, exec_lo, vcc_lo
	s_cbranch_execz .LBB47_10
; %bb.40:
	s_wait_dscnt 0x6
	v_add_f64_e32 v[12:13], v[12:13], v[20:21]
	s_wait_dscnt 0x4
	v_add_f64_e32 v[6:7], v[6:7], v[18:19]
	s_wait_dscnt 0x2
	v_add_f64_e32 v[0:1], v[0:1], v[16:17]
	s_wait_dscnt 0x0
	v_add_f64_e32 v[14:15], v[4:5], v[14:15]
	s_load_b64 s[0:1], s[0:1], 0x58
	v_lshlrev_b64_e32 v[10:11], 5, v[10:11]
	s_mov_b32 s2, exec_lo
	v_mul_f64_e32 v[4:5], v[2:3], v[12:13]
	v_mul_f64_e32 v[6:7], v[2:3], v[6:7]
	;; [unrolled: 1-line block ×4, first 2 shown]
	v_cmpx_eq_f64_e32 0, v[8:9]
	s_wait_alu 0xfffe
	s_xor_b32 s2, exec_lo, s2
	s_cbranch_execz .LBB47_42
; %bb.41:
	s_wait_kmcnt 0x0
	v_add_co_u32 v8, vcc_lo, s0, v10
	s_wait_alu 0xfffd
	v_add_co_ci_u32_e64 v9, null, s1, v11, vcc_lo
                                        ; implicit-def: $vgpr10_vgpr11
	s_clause 0x1
	global_store_b128 v[8:9], v[4:7], off
	global_store_b128 v[8:9], v[0:3], off offset:16
                                        ; implicit-def: $vgpr8_vgpr9
                                        ; implicit-def: $vgpr4_vgpr5
                                        ; implicit-def: $vgpr0_vgpr1
.LBB47_42:
	s_wait_alu 0xfffe
	s_and_not1_saveexec_b32 s2, s2
	s_cbranch_execz .LBB47_10
; %bb.43:
	s_wait_kmcnt 0x0
	v_add_co_u32 v18, vcc_lo, s0, v10
	s_wait_alu 0xfffd
	v_add_co_ci_u32_e64 v19, null, s1, v11, vcc_lo
	s_clause 0x1
	global_load_b128 v[10:13], v[18:19], off
	global_load_b128 v[14:17], v[18:19], off offset:16
	s_wait_loadcnt 0x1
	v_fma_f64 v[4:5], v[8:9], v[10:11], v[4:5]
	v_fma_f64 v[6:7], v[8:9], v[12:13], v[6:7]
	s_wait_loadcnt 0x0
	v_fma_f64 v[0:1], v[8:9], v[14:15], v[0:1]
	v_fma_f64 v[2:3], v[8:9], v[16:17], v[2:3]
	s_clause 0x1
	global_store_b128 v[18:19], v[4:7], off
	global_store_b128 v[18:19], v[0:3], off offset:16
	s_nop 0
	s_sendmsg sendmsg(MSG_DEALLOC_VGPRS)
	s_endpgm
	.section	.rodata,"a",@progbits
	.p2align	6, 0x0
	.amdhsa_kernel _ZN9rocsparseL18bsrxmvn_4x4_kernelILj128ELj16EdlldddEEvT3_20rocsparse_direction_NS_24const_host_device_scalarIT1_EES1_PKS1_PKT2_SA_S7_PKT4_PKT5_S5_PT6_21rocsparse_index_base_b
		.amdhsa_group_segment_fixed_size 0
		.amdhsa_private_segment_fixed_size 0
		.amdhsa_kernarg_size 104
		.amdhsa_user_sgpr_count 2
		.amdhsa_user_sgpr_dispatch_ptr 0
		.amdhsa_user_sgpr_queue_ptr 0
		.amdhsa_user_sgpr_kernarg_segment_ptr 1
		.amdhsa_user_sgpr_dispatch_id 0
		.amdhsa_user_sgpr_private_segment_size 0
		.amdhsa_wavefront_size32 1
		.amdhsa_uses_dynamic_stack 0
		.amdhsa_enable_private_segment 0
		.amdhsa_system_sgpr_workgroup_id_x 1
		.amdhsa_system_sgpr_workgroup_id_y 0
		.amdhsa_system_sgpr_workgroup_id_z 0
		.amdhsa_system_sgpr_workgroup_info 0
		.amdhsa_system_vgpr_workitem_id 0
		.amdhsa_next_free_vgpr 151
		.amdhsa_next_free_sgpr 12
		.amdhsa_reserve_vcc 1
		.amdhsa_float_round_mode_32 0
		.amdhsa_float_round_mode_16_64 0
		.amdhsa_float_denorm_mode_32 3
		.amdhsa_float_denorm_mode_16_64 3
		.amdhsa_fp16_overflow 0
		.amdhsa_workgroup_processor_mode 1
		.amdhsa_memory_ordered 1
		.amdhsa_forward_progress 1
		.amdhsa_inst_pref_size 50
		.amdhsa_round_robin_scheduling 0
		.amdhsa_exception_fp_ieee_invalid_op 0
		.amdhsa_exception_fp_denorm_src 0
		.amdhsa_exception_fp_ieee_div_zero 0
		.amdhsa_exception_fp_ieee_overflow 0
		.amdhsa_exception_fp_ieee_underflow 0
		.amdhsa_exception_fp_ieee_inexact 0
		.amdhsa_exception_int_div_zero 0
	.end_amdhsa_kernel
	.section	.text._ZN9rocsparseL18bsrxmvn_4x4_kernelILj128ELj16EdlldddEEvT3_20rocsparse_direction_NS_24const_host_device_scalarIT1_EES1_PKS1_PKT2_SA_S7_PKT4_PKT5_S5_PT6_21rocsparse_index_base_b,"axG",@progbits,_ZN9rocsparseL18bsrxmvn_4x4_kernelILj128ELj16EdlldddEEvT3_20rocsparse_direction_NS_24const_host_device_scalarIT1_EES1_PKS1_PKT2_SA_S7_PKT4_PKT5_S5_PT6_21rocsparse_index_base_b,comdat
.Lfunc_end47:
	.size	_ZN9rocsparseL18bsrxmvn_4x4_kernelILj128ELj16EdlldddEEvT3_20rocsparse_direction_NS_24const_host_device_scalarIT1_EES1_PKS1_PKT2_SA_S7_PKT4_PKT5_S5_PT6_21rocsparse_index_base_b, .Lfunc_end47-_ZN9rocsparseL18bsrxmvn_4x4_kernelILj128ELj16EdlldddEEvT3_20rocsparse_direction_NS_24const_host_device_scalarIT1_EES1_PKS1_PKT2_SA_S7_PKT4_PKT5_S5_PT6_21rocsparse_index_base_b
                                        ; -- End function
	.set _ZN9rocsparseL18bsrxmvn_4x4_kernelILj128ELj16EdlldddEEvT3_20rocsparse_direction_NS_24const_host_device_scalarIT1_EES1_PKS1_PKT2_SA_S7_PKT4_PKT5_S5_PT6_21rocsparse_index_base_b.num_vgpr, 151
	.set _ZN9rocsparseL18bsrxmvn_4x4_kernelILj128ELj16EdlldddEEvT3_20rocsparse_direction_NS_24const_host_device_scalarIT1_EES1_PKS1_PKT2_SA_S7_PKT4_PKT5_S5_PT6_21rocsparse_index_base_b.num_agpr, 0
	.set _ZN9rocsparseL18bsrxmvn_4x4_kernelILj128ELj16EdlldddEEvT3_20rocsparse_direction_NS_24const_host_device_scalarIT1_EES1_PKS1_PKT2_SA_S7_PKT4_PKT5_S5_PT6_21rocsparse_index_base_b.numbered_sgpr, 12
	.set _ZN9rocsparseL18bsrxmvn_4x4_kernelILj128ELj16EdlldddEEvT3_20rocsparse_direction_NS_24const_host_device_scalarIT1_EES1_PKS1_PKT2_SA_S7_PKT4_PKT5_S5_PT6_21rocsparse_index_base_b.num_named_barrier, 0
	.set _ZN9rocsparseL18bsrxmvn_4x4_kernelILj128ELj16EdlldddEEvT3_20rocsparse_direction_NS_24const_host_device_scalarIT1_EES1_PKS1_PKT2_SA_S7_PKT4_PKT5_S5_PT6_21rocsparse_index_base_b.private_seg_size, 0
	.set _ZN9rocsparseL18bsrxmvn_4x4_kernelILj128ELj16EdlldddEEvT3_20rocsparse_direction_NS_24const_host_device_scalarIT1_EES1_PKS1_PKT2_SA_S7_PKT4_PKT5_S5_PT6_21rocsparse_index_base_b.uses_vcc, 1
	.set _ZN9rocsparseL18bsrxmvn_4x4_kernelILj128ELj16EdlldddEEvT3_20rocsparse_direction_NS_24const_host_device_scalarIT1_EES1_PKS1_PKT2_SA_S7_PKT4_PKT5_S5_PT6_21rocsparse_index_base_b.uses_flat_scratch, 0
	.set _ZN9rocsparseL18bsrxmvn_4x4_kernelILj128ELj16EdlldddEEvT3_20rocsparse_direction_NS_24const_host_device_scalarIT1_EES1_PKS1_PKT2_SA_S7_PKT4_PKT5_S5_PT6_21rocsparse_index_base_b.has_dyn_sized_stack, 0
	.set _ZN9rocsparseL18bsrxmvn_4x4_kernelILj128ELj16EdlldddEEvT3_20rocsparse_direction_NS_24const_host_device_scalarIT1_EES1_PKS1_PKT2_SA_S7_PKT4_PKT5_S5_PT6_21rocsparse_index_base_b.has_recursion, 0
	.set _ZN9rocsparseL18bsrxmvn_4x4_kernelILj128ELj16EdlldddEEvT3_20rocsparse_direction_NS_24const_host_device_scalarIT1_EES1_PKS1_PKT2_SA_S7_PKT4_PKT5_S5_PT6_21rocsparse_index_base_b.has_indirect_call, 0
	.section	.AMDGPU.csdata,"",@progbits
; Kernel info:
; codeLenInByte = 6372
; TotalNumSgprs: 14
; NumVgprs: 151
; ScratchSize: 0
; MemoryBound: 1
; FloatMode: 240
; IeeeMode: 1
; LDSByteSize: 0 bytes/workgroup (compile time only)
; SGPRBlocks: 0
; VGPRBlocks: 18
; NumSGPRsForWavesPerEU: 14
; NumVGPRsForWavesPerEU: 151
; Occupancy: 9
; WaveLimiterHint : 1
; COMPUTE_PGM_RSRC2:SCRATCH_EN: 0
; COMPUTE_PGM_RSRC2:USER_SGPR: 2
; COMPUTE_PGM_RSRC2:TRAP_HANDLER: 0
; COMPUTE_PGM_RSRC2:TGID_X_EN: 1
; COMPUTE_PGM_RSRC2:TGID_Y_EN: 0
; COMPUTE_PGM_RSRC2:TGID_Z_EN: 0
; COMPUTE_PGM_RSRC2:TIDIG_COMP_CNT: 0
	.section	.text._ZN9rocsparseL18bsrxmvn_4x4_kernelILj128ELj32EdlldddEEvT3_20rocsparse_direction_NS_24const_host_device_scalarIT1_EES1_PKS1_PKT2_SA_S7_PKT4_PKT5_S5_PT6_21rocsparse_index_base_b,"axG",@progbits,_ZN9rocsparseL18bsrxmvn_4x4_kernelILj128ELj32EdlldddEEvT3_20rocsparse_direction_NS_24const_host_device_scalarIT1_EES1_PKS1_PKT2_SA_S7_PKT4_PKT5_S5_PT6_21rocsparse_index_base_b,comdat
	.globl	_ZN9rocsparseL18bsrxmvn_4x4_kernelILj128ELj32EdlldddEEvT3_20rocsparse_direction_NS_24const_host_device_scalarIT1_EES1_PKS1_PKT2_SA_S7_PKT4_PKT5_S5_PT6_21rocsparse_index_base_b ; -- Begin function _ZN9rocsparseL18bsrxmvn_4x4_kernelILj128ELj32EdlldddEEvT3_20rocsparse_direction_NS_24const_host_device_scalarIT1_EES1_PKS1_PKT2_SA_S7_PKT4_PKT5_S5_PT6_21rocsparse_index_base_b
	.p2align	8
	.type	_ZN9rocsparseL18bsrxmvn_4x4_kernelILj128ELj32EdlldddEEvT3_20rocsparse_direction_NS_24const_host_device_scalarIT1_EES1_PKS1_PKT2_SA_S7_PKT4_PKT5_S5_PT6_21rocsparse_index_base_b,@function
_ZN9rocsparseL18bsrxmvn_4x4_kernelILj128ELj32EdlldddEEvT3_20rocsparse_direction_NS_24const_host_device_scalarIT1_EES1_PKS1_PKT2_SA_S7_PKT4_PKT5_S5_PT6_21rocsparse_index_base_b: ; @_ZN9rocsparseL18bsrxmvn_4x4_kernelILj128ELj32EdlldddEEvT3_20rocsparse_direction_NS_24const_host_device_scalarIT1_EES1_PKS1_PKT2_SA_S7_PKT4_PKT5_S5_PT6_21rocsparse_index_base_b
; %bb.0:
	s_clause 0x2
	s_load_b64 s[8:9], s[0:1], 0x60
	s_load_b128 s[4:7], s[0:1], 0x10
	s_load_b64 s[2:3], s[0:1], 0x50
	s_wait_kmcnt 0x0
	s_bitcmp1_b32 s9, 0
	v_dual_mov_b32 v2, s4 :: v_dual_mov_b32 v3, s5
	s_cselect_b32 s9, -1, 0
	s_delay_alu instid0(SALU_CYCLE_1)
	s_and_b32 vcc_lo, exec_lo, s9
	s_xor_b32 s9, s9, -1
	s_cbranch_vccnz .LBB48_2
; %bb.1:
	v_dual_mov_b32 v1, s4 :: v_dual_mov_b32 v2, s5
	flat_load_b64 v[2:3], v[1:2]
.LBB48_2:
	v_dual_mov_b32 v9, s3 :: v_dual_mov_b32 v8, s2
	s_and_not1_b32 vcc_lo, exec_lo, s9
	s_cbranch_vccnz .LBB48_4
; %bb.3:
	v_dual_mov_b32 v5, s3 :: v_dual_mov_b32 v4, s2
	flat_load_b64 v[8:9], v[4:5]
.LBB48_4:
	s_wait_loadcnt_dscnt 0x0
	v_cmp_neq_f64_e32 vcc_lo, 0, v[2:3]
	v_cmp_neq_f64_e64 s2, 1.0, v[8:9]
	s_or_b32 s2, vcc_lo, s2
	s_wait_alu 0xfffe
	s_and_saveexec_b32 s3, s2
	s_cbranch_execz .LBB48_10
; %bb.5:
	s_load_b64 s[2:3], s[0:1], 0x20
	v_lshrrev_b32_e32 v1, 5, v0
	v_mov_b32_e32 v7, 0
	s_delay_alu instid0(VALU_DEP_2)
	v_lshl_or_b32 v6, ttmp9, 2, v1
	s_wait_kmcnt 0x0
	s_cmp_lg_u64 s[2:3], 0
	s_cbranch_scc0 .LBB48_11
; %bb.6:
	s_delay_alu instid0(VALU_DEP_1)
	v_cmp_gt_i64_e32 vcc_lo, s[6:7], v[6:7]
	s_mov_b32 s5, 0
	s_mov_b32 s4, 0
                                        ; implicit-def: $vgpr10_vgpr11
                                        ; implicit-def: $vgpr4_vgpr5
	s_and_saveexec_b32 s6, vcc_lo
	s_wait_alu 0xfffe
	s_xor_b32 s6, exec_lo, s6
	s_cbranch_execz .LBB48_8
; %bb.7:
	v_lshlrev_b64_e32 v[4:5], 3, v[6:7]
	s_mov_b32 s9, 0
	s_mov_b32 s4, exec_lo
	s_delay_alu instid0(VALU_DEP_1) | instskip(NEXT) | instid1(VALU_DEP_1)
	v_add_co_u32 v4, vcc_lo, s2, v4
	v_add_co_ci_u32_e64 v5, null, s3, v5, vcc_lo
	global_load_b64 v[4:5], v[4:5], off
	s_wait_loadcnt 0x0
	v_sub_co_u32 v10, vcc_lo, v4, s8
	s_wait_alu 0xfffd
	v_subrev_co_ci_u32_e64 v11, null, 0, v5, vcc_lo
	v_dual_mov_b32 v4, s8 :: v_dual_mov_b32 v5, s9
.LBB48_8:
	s_wait_alu 0xfffe
	s_or_b32 exec_lo, exec_lo, s6
	s_delay_alu instid0(SALU_CYCLE_1)
	s_and_b32 vcc_lo, exec_lo, s5
	s_wait_alu 0xfffe
	s_cbranch_vccnz .LBB48_12
.LBB48_9:
	s_wait_alu 0xfffe
	s_and_b32 exec_lo, exec_lo, s4
	s_cbranch_execnz .LBB48_15
.LBB48_10:
	s_nop 0
	s_sendmsg sendmsg(MSG_DEALLOC_VGPRS)
	s_endpgm
.LBB48_11:
	s_mov_b32 s4, 0
                                        ; implicit-def: $vgpr10_vgpr11
                                        ; implicit-def: $vgpr4_vgpr5
	s_cbranch_execz .LBB48_9
.LBB48_12:
	s_load_b64 s[2:3], s[0:1], 0x0
	s_wait_kmcnt 0x0
	v_cmp_gt_i64_e32 vcc_lo, s[2:3], v[6:7]
	s_and_saveexec_b32 s2, vcc_lo
; %bb.13:
	s_mov_b32 s9, 0
	s_or_b32 s4, s4, exec_lo
; %bb.14:
	s_wait_alu 0xfffe
	s_or_b32 exec_lo, exec_lo, s2
	v_dual_mov_b32 v4, s8 :: v_dual_mov_b32 v5, s9
	v_dual_mov_b32 v11, v7 :: v_dual_mov_b32 v10, v6
	s_and_b32 exec_lo, exec_lo, s4
	s_cbranch_execz .LBB48_10
.LBB48_15:
	s_load_b256 s[4:11], s[0:1], 0x28
	s_delay_alu instid0(VALU_DEP_1) | instskip(SKIP_3) | instid1(VALU_DEP_2)
	v_lshlrev_b64_e32 v[6:7], 3, v[10:11]
	v_and_b32_e32 v34, 31, v0
	s_load_b32 s3, s[0:1], 0x8
	s_wait_kmcnt 0x0
	v_add_co_u32 v12, vcc_lo, s4, v6
	s_wait_alu 0xfffd
	v_add_co_ci_u32_e64 v13, null, s5, v7, vcc_lo
	v_add_co_u32 v1, vcc_lo, s6, v6
	s_wait_alu 0xfffd
	v_add_co_ci_u32_e64 v6, null, s7, v7, vcc_lo
	v_add_co_u32 v14, vcc_lo, v12, 8
	global_load_b64 v[22:23], v[12:13], off
	s_wait_alu 0xfffd
	v_add_co_ci_u32_e64 v7, null, 0, v13, vcc_lo
	s_cmp_eq_u64 s[6:7], 0
	s_load_b64 s[4:5], s[0:1], 0x48
	s_cselect_b32 vcc_lo, -1, 0
	s_cmp_eq_u32 s3, 1
	s_wait_alu 0xfffe
	v_dual_cndmask_b32 v7, v6, v7 :: v_dual_cndmask_b32 v6, v1, v14
	global_load_b64 v[6:7], v[6:7], off
	s_wait_loadcnt 0x1
	v_sub_co_u32 v0, vcc_lo, v22, v4
	s_wait_alu 0xfffd
	v_sub_co_ci_u32_e64 v1, null, v23, v5, vcc_lo
	s_delay_alu instid0(VALU_DEP_2) | instskip(SKIP_1) | instid1(VALU_DEP_2)
	v_add_co_u32 v0, vcc_lo, v0, v34
	s_wait_alu 0xfffd
	v_add_co_ci_u32_e64 v1, null, 0, v1, vcc_lo
	s_delay_alu instid0(VALU_DEP_1) | instskip(SKIP_4) | instid1(VALU_DEP_3)
	v_lshlrev_b64_e32 v[12:13], 7, v[0:1]
	s_wait_loadcnt 0x0
	v_sub_co_u32 v6, vcc_lo, v6, v4
	s_wait_alu 0xfffd
	v_sub_co_ci_u32_e64 v7, null, v7, v5, vcc_lo
	v_add_co_u32 v12, vcc_lo, s10, v12
	s_delay_alu instid0(VALU_DEP_2)
	v_cmp_lt_i64_e64 s2, v[0:1], v[6:7]
	s_wait_alu 0xfffd
	v_add_co_ci_u32_e64 v13, null, s11, v13, vcc_lo
	s_cbranch_scc1 .LBB48_27
; %bb.16:
	v_mov_b32_e32 v14, 0
	v_dual_mov_b32 v20, 0 :: v_dual_mov_b32 v15, 0
	v_dual_mov_b32 v16, 0 :: v_dual_mov_b32 v21, 0
	;; [unrolled: 1-line block ×3, first 2 shown]
	v_mov_b32_e32 v19, 0
	s_and_saveexec_b32 s6, s2
	s_cbranch_execz .LBB48_26
; %bb.17:
	v_or_b32_e32 v14, 32, v34
	v_not_b32_e32 v17, v22
	v_sub_co_u32 v18, s3, v4, v34
	v_not_b32_e32 v16, v23
	s_delay_alu instid0(VALU_DEP_4)
	v_sub_co_u32 v14, vcc_lo, v14, v4
	s_wait_alu 0xfffd
	v_sub_co_ci_u32_e64 v15, null, 0, v5, vcc_lo
	s_wait_alu 0xf1ff
	v_subrev_co_ci_u32_e64 v19, null, 0, v5, s3
	v_add_co_u32 v14, vcc_lo, v14, v22
	s_wait_alu 0xfffd
	v_add_co_ci_u32_e64 v15, null, v15, v23, vcc_lo
	v_dual_mov_b32 v27, v1 :: v_dual_mov_b32 v26, v0
	v_mov_b32_e32 v20, 0
	s_delay_alu instid0(VALU_DEP_3)
	v_cmp_gt_i64_e32 vcc_lo, v[14:15], v[6:7]
	v_mov_b32_e32 v21, 0
	s_wait_alu 0xfffd
	v_dual_cndmask_b32 v15, v7, v15 :: v_dual_cndmask_b32 v14, v6, v14
	v_add_co_u32 v17, vcc_lo, v18, v17
	s_wait_alu 0xfffd
	v_add_co_ci_u32_e64 v16, null, v19, v16, vcc_lo
	v_mov_b32_e32 v18, 0
	s_delay_alu instid0(VALU_DEP_3) | instskip(SKIP_3) | instid1(VALU_DEP_3)
	v_add_co_u32 v28, vcc_lo, v17, v14
	v_mov_b32_e32 v25, 0
	s_wait_alu 0xfffd
	v_add_co_ci_u32_e64 v29, null, v16, v15, vcc_lo
	v_and_b32_e32 v24, 0x60, v28
	v_dual_mov_b32 v16, 0 :: v_dual_mov_b32 v19, 0
	v_dual_mov_b32 v17, 0 :: v_dual_mov_b32 v14, 0
	s_delay_alu instid0(VALU_DEP_3)
	v_cmp_ne_u64_e32 vcc_lo, 0x60, v[24:25]
	v_mov_b32_e32 v15, 0
	v_dual_mov_b32 v25, v13 :: v_dual_mov_b32 v24, v12
	s_and_saveexec_b32 s7, vcc_lo
	s_cbranch_execz .LBB48_21
; %bb.18:
	v_lshrrev_b32_e32 v14, 5, v28
	v_lshlrev_b64_e32 v[18:19], 3, v[0:1]
	v_mov_b32_e32 v16, 0
	v_mov_b32_e32 v20, 0
	s_delay_alu instid0(VALU_DEP_4) | instskip(SKIP_3) | instid1(VALU_DEP_4)
	v_dual_mov_b32 v21, 0 :: v_dual_add_nc_u32 v26, 1, v14
	v_dual_mov_b32 v14, 0 :: v_dual_mov_b32 v25, v13
	v_mov_b32_e32 v15, 0
	v_add_co_u32 v30, vcc_lo, s8, v18
	v_and_b32_e32 v26, 3, v26
	s_wait_alu 0xfffd
	v_add_co_ci_u32_e64 v31, null, s9, v19, vcc_lo
	v_mov_b32_e32 v18, 0
	v_dual_mov_b32 v24, v12 :: v_dual_mov_b32 v17, 0
	v_sub_co_u32 v32, s3, 0, v26
	v_mov_b32_e32 v27, v1
	s_wait_alu 0xf1ff
	v_sub_co_ci_u32_e64 v33, null, 0, 0, s3
	v_dual_mov_b32 v19, 0 :: v_dual_mov_b32 v26, v0
	s_mov_b32 s10, 0
.LBB48_19:                              ; =>This Inner Loop Header: Depth=1
	global_load_b64 v[63:64], v[30:31], off
	s_clause 0x6
	global_load_b128 v[35:38], v[24:25], off offset:48
	global_load_b128 v[39:42], v[24:25], off offset:32
	;; [unrolled: 1-line block ×3, first 2 shown]
	global_load_b128 v[47:50], v[24:25], off
	global_load_b128 v[51:54], v[24:25], off offset:112
	global_load_b128 v[55:58], v[24:25], off offset:96
	;; [unrolled: 1-line block ×3, first 2 shown]
	v_add_co_u32 v30, s3, 0x100, v30
	s_wait_alu 0xf1ff
	v_add_co_ci_u32_e64 v31, null, 0, v31, s3
	s_wait_loadcnt 0x7
	v_sub_co_u32 v63, vcc_lo, v63, v4
	s_wait_alu 0xfffd
	v_sub_co_ci_u32_e64 v64, null, v64, v5, vcc_lo
	s_delay_alu instid0(VALU_DEP_1) | instskip(SKIP_1) | instid1(VALU_DEP_1)
	v_lshlrev_b64_e32 v[63:64], 5, v[63:64]
	s_wait_kmcnt 0x0
	v_add_co_u32 v71, vcc_lo, s4, v63
	s_wait_alu 0xfffd
	s_delay_alu instid0(VALU_DEP_2)
	v_add_co_ci_u32_e64 v72, null, s5, v64, vcc_lo
	global_load_b128 v[63:66], v[24:25], off offset:64
	s_clause 0x1
	global_load_b128 v[67:70], v[71:72], off
	global_load_b128 v[71:74], v[71:72], off offset:16
	v_add_co_u32 v24, vcc_lo, 0x1000, v24
	s_wait_alu 0xfffd
	v_add_co_ci_u32_e64 v25, null, 0, v25, vcc_lo
	v_add_co_u32 v32, vcc_lo, v32, 1
	s_wait_alu 0xfffd
	v_add_co_ci_u32_e64 v33, null, 0, v33, vcc_lo
	;; [unrolled: 3-line block ×3, first 2 shown]
	s_delay_alu instid0(VALU_DEP_3)
	v_cmp_eq_u64_e32 vcc_lo, 0, v[32:33]
	s_wait_alu 0xfffe
	s_or_b32 s10, vcc_lo, s10
	s_wait_loadcnt 0x1
	v_fma_f64 v[18:19], v[47:48], v[67:68], v[18:19]
	v_fma_f64 v[20:21], v[39:40], v[67:68], v[20:21]
	;; [unrolled: 1-line block ×4, first 2 shown]
	s_delay_alu instid0(VALU_DEP_4) | instskip(NEXT) | instid1(VALU_DEP_4)
	v_fma_f64 v[18:19], v[49:50], v[69:70], v[18:19]
	v_fma_f64 v[20:21], v[41:42], v[69:70], v[20:21]
	s_delay_alu instid0(VALU_DEP_4) | instskip(NEXT) | instid1(VALU_DEP_4)
	v_fma_f64 v[16:17], v[65:66], v[69:70], v[16:17]
	v_fma_f64 v[14:15], v[57:58], v[69:70], v[14:15]
	s_wait_loadcnt 0x0
	s_delay_alu instid0(VALU_DEP_4) | instskip(NEXT) | instid1(VALU_DEP_4)
	v_fma_f64 v[18:19], v[43:44], v[71:72], v[18:19]
	v_fma_f64 v[20:21], v[35:36], v[71:72], v[20:21]
	s_delay_alu instid0(VALU_DEP_4) | instskip(NEXT) | instid1(VALU_DEP_4)
	v_fma_f64 v[16:17], v[59:60], v[71:72], v[16:17]
	v_fma_f64 v[14:15], v[51:52], v[71:72], v[14:15]
	;; [unrolled: 3-line block ×4, first 2 shown]
	s_wait_alu 0xfffe
	s_and_not1_b32 exec_lo, exec_lo, s10
	s_cbranch_execnz .LBB48_19
; %bb.20:
	s_or_b32 exec_lo, exec_lo, s10
.LBB48_21:
	s_wait_alu 0xfffe
	s_or_b32 exec_lo, exec_lo, s7
	s_delay_alu instid0(SALU_CYCLE_1)
	s_mov_b32 s7, exec_lo
	v_cmpx_lt_u64_e32 0x5f, v[28:29]
	s_cbranch_execz .LBB48_25
; %bb.22:
	v_lshlrev_b64_e32 v[28:29], 3, v[26:27]
	s_mov_b32 s10, 0
	s_delay_alu instid0(VALU_DEP_1) | instskip(SKIP_1) | instid1(VALU_DEP_2)
	v_add_co_u32 v28, vcc_lo, s8, v28
	s_wait_alu 0xfffd
	v_add_co_ci_u32_e64 v29, null, s9, v29, vcc_lo
	s_delay_alu instid0(VALU_DEP_2) | instskip(SKIP_1) | instid1(VALU_DEP_2)
	v_add_co_u32 v28, vcc_lo, 0x200, v28
	s_wait_alu 0xfffd
	v_add_co_ci_u32_e64 v29, null, 0, v29, vcc_lo
.LBB48_23:                              ; =>This Inner Loop Header: Depth=1
	s_clause 0x2
	global_load_b64 v[63:64], v[28:29], off offset:-512
	global_load_b64 v[99:100], v[28:29], off offset:-256
	global_load_b64 v[139:140], v[28:29], off
	s_clause 0x7
	global_load_b128 v[30:33], v[24:25], off offset:48
	global_load_b128 v[35:38], v[24:25], off offset:32
	;; [unrolled: 1-line block ×3, first 2 shown]
	global_load_b128 v[43:46], v[24:25], off
	global_load_b128 v[47:50], v[24:25], off offset:112
	global_load_b128 v[51:54], v[24:25], off offset:96
	;; [unrolled: 1-line block ×4, first 2 shown]
	global_load_b64 v[147:148], v[28:29], off offset:256
	v_add_co_u32 v28, s3, 0x400, v28
	s_wait_alu 0xf1ff
	v_add_co_ci_u32_e64 v29, null, 0, v29, s3
	s_wait_loadcnt 0xb
	v_sub_co_u32 v63, vcc_lo, v63, v4
	s_wait_alu 0xfffd
	v_sub_co_ci_u32_e64 v64, null, v64, v5, vcc_lo
	s_delay_alu instid0(VALU_DEP_1) | instskip(SKIP_1) | instid1(VALU_DEP_1)
	v_lshlrev_b64_e32 v[63:64], 5, v[63:64]
	s_wait_kmcnt 0x0
	v_add_co_u32 v67, vcc_lo, s4, v63
	s_wait_alu 0xfffd
	s_delay_alu instid0(VALU_DEP_2)
	v_add_co_ci_u32_e64 v68, null, s5, v64, vcc_lo
	s_wait_loadcnt 0xa
	v_sub_co_u32 v99, vcc_lo, v99, v4
	s_wait_alu 0xfffd
	v_sub_co_ci_u32_e64 v100, null, v100, v5, vcc_lo
	s_clause 0x1
	global_load_b128 v[63:66], v[67:68], off
	global_load_b128 v[67:70], v[67:68], off offset:16
	s_clause 0x6
	global_load_b128 v[71:74], v[24:25], off offset:4144
	global_load_b128 v[75:78], v[24:25], off offset:4128
	;; [unrolled: 1-line block ×7, first 2 shown]
	v_lshlrev_b64_e32 v[99:100], 5, v[99:100]
	s_delay_alu instid0(VALU_DEP_1) | instskip(SKIP_1) | instid1(VALU_DEP_2)
	v_add_co_u32 v107, vcc_lo, s4, v99
	s_wait_alu 0xfffd
	v_add_co_ci_u32_e64 v108, null, s5, v100, vcc_lo
	global_load_b128 v[99:102], v[24:25], off offset:4160
	s_clause 0x1
	global_load_b128 v[103:106], v[107:108], off
	global_load_b128 v[107:110], v[107:108], off offset:16
	s_clause 0x6
	global_load_b128 v[111:114], v[24:25], off offset:8240
	global_load_b128 v[115:118], v[24:25], off offset:8224
	;; [unrolled: 1-line block ×7, first 2 shown]
	s_wait_loadcnt 0x1c
	v_sub_co_u32 v139, vcc_lo, v139, v4
	s_wait_alu 0xfffd
	v_sub_co_ci_u32_e64 v140, null, v140, v5, vcc_lo
	s_delay_alu instid0(VALU_DEP_1) | instskip(NEXT) | instid1(VALU_DEP_1)
	v_lshlrev_b64_e32 v[139:140], 5, v[139:140]
	v_add_co_u32 v149, vcc_lo, s4, v139
	s_wait_alu 0xfffd
	s_delay_alu instid0(VALU_DEP_2)
	v_add_co_ci_u32_e64 v150, null, s5, v140, vcc_lo
	global_load_b128 v[139:142], v[24:25], off offset:8256
	global_load_b128 v[143:146], v[149:150], off
	s_wait_loadcnt 0x14
	v_fma_f64 v[18:19], v[43:44], v[63:64], v[18:19]
	v_fma_f64 v[20:21], v[35:36], v[63:64], v[20:21]
	;; [unrolled: 1-line block ×4, first 2 shown]
	s_delay_alu instid0(VALU_DEP_4) | instskip(NEXT) | instid1(VALU_DEP_4)
	v_fma_f64 v[18:19], v[45:46], v[65:66], v[18:19]
	v_fma_f64 v[20:21], v[37:38], v[65:66], v[20:21]
	s_delay_alu instid0(VALU_DEP_4) | instskip(NEXT) | instid1(VALU_DEP_4)
	v_fma_f64 v[35:36], v[61:62], v[65:66], v[16:17]
	v_fma_f64 v[37:38], v[53:54], v[65:66], v[14:15]
	global_load_b128 v[14:17], v[149:150], off offset:16
	s_wait_loadcnt 0x14
	v_fma_f64 v[39:40], v[39:40], v[67:68], v[18:19]
	v_fma_f64 v[30:31], v[30:31], v[67:68], v[20:21]
	;; [unrolled: 1-line block ×4, first 2 shown]
	s_clause 0x4
	global_load_b128 v[18:21], v[24:25], off offset:12336
	global_load_b128 v[35:38], v[24:25], off offset:12320
	;; [unrolled: 1-line block ×5, first 2 shown]
	v_fma_f64 v[63:64], v[41:42], v[69:70], v[39:40]
	v_fma_f64 v[65:66], v[32:33], v[69:70], v[30:31]
	;; [unrolled: 1-line block ×4, first 2 shown]
	v_sub_co_u32 v30, vcc_lo, v147, v4
	s_wait_alu 0xfffd
	v_sub_co_ci_u32_e64 v31, null, v148, v5, vcc_lo
	global_load_b128 v[39:42], v[24:25], off offset:12384
	v_lshlrev_b64_e32 v[30:31], 5, v[30:31]
	s_delay_alu instid0(VALU_DEP_1) | instskip(SKIP_1) | instid1(VALU_DEP_2)
	v_add_co_u32 v67, vcc_lo, s4, v30
	s_wait_alu 0xfffd
	v_add_co_ci_u32_e64 v68, null, s5, v31, vcc_lo
	global_load_b128 v[30:33], v[24:25], off offset:12352
	global_load_b128 v[47:50], v[67:68], off
	v_add_co_u32 v26, vcc_lo, 0x80, v26
	s_wait_alu 0xfffd
	v_add_co_ci_u32_e64 v27, null, 0, v27, vcc_lo
	s_wait_loadcnt 0x13
	v_fma_f64 v[63:64], v[83:84], v[103:104], v[63:64]
	v_fma_f64 v[65:66], v[75:76], v[103:104], v[65:66]
	;; [unrolled: 1-line block ×4, first 2 shown]
	s_delay_alu instid0(VALU_DEP_4) | instskip(NEXT) | instid1(VALU_DEP_4)
	v_fma_f64 v[69:70], v[85:86], v[105:106], v[63:64]
	v_fma_f64 v[75:76], v[77:78], v[105:106], v[65:66]
	s_delay_alu instid0(VALU_DEP_4) | instskip(NEXT) | instid1(VALU_DEP_4)
	v_fma_f64 v[77:78], v[101:102], v[105:106], v[55:56]
	v_fma_f64 v[83:84], v[93:94], v[105:106], v[57:58]
	global_load_b128 v[55:58], v[24:25], off offset:12368
	global_load_b128 v[63:66], v[67:68], off offset:16
	v_add_co_u32 v24, vcc_lo, 0x4000, v24
	s_wait_alu 0xfffd
	v_add_co_ci_u32_e64 v25, null, 0, v25, vcc_lo
	v_cmp_ge_i64_e32 vcc_lo, v[26:27], v[6:7]
	s_wait_alu 0xfffe
	s_or_b32 s10, vcc_lo, s10
	s_wait_loadcnt 0x14
	v_fma_f64 v[67:68], v[79:80], v[107:108], v[69:70]
	v_fma_f64 v[69:70], v[71:72], v[107:108], v[75:76]
	;; [unrolled: 1-line block ×4, first 2 shown]
	s_delay_alu instid0(VALU_DEP_4) | instskip(NEXT) | instid1(VALU_DEP_4)
	v_fma_f64 v[67:68], v[81:82], v[109:110], v[67:68]
	v_fma_f64 v[69:70], v[73:74], v[109:110], v[69:70]
	s_delay_alu instid0(VALU_DEP_4) | instskip(NEXT) | instid1(VALU_DEP_4)
	v_fma_f64 v[71:72], v[97:98], v[109:110], v[71:72]
	v_fma_f64 v[73:74], v[89:90], v[109:110], v[75:76]
	s_wait_loadcnt 0xb
	s_delay_alu instid0(VALU_DEP_4) | instskip(NEXT) | instid1(VALU_DEP_4)
	v_fma_f64 v[67:68], v[123:124], v[143:144], v[67:68]
	v_fma_f64 v[69:70], v[115:116], v[143:144], v[69:70]
	s_delay_alu instid0(VALU_DEP_4) | instskip(NEXT) | instid1(VALU_DEP_4)
	v_fma_f64 v[71:72], v[139:140], v[143:144], v[71:72]
	v_fma_f64 v[73:74], v[131:132], v[143:144], v[73:74]
	s_delay_alu instid0(VALU_DEP_4) | instskip(NEXT) | instid1(VALU_DEP_4)
	v_fma_f64 v[67:68], v[125:126], v[145:146], v[67:68]
	v_fma_f64 v[69:70], v[117:118], v[145:146], v[69:70]
	s_delay_alu instid0(VALU_DEP_4) | instskip(NEXT) | instid1(VALU_DEP_4)
	v_fma_f64 v[71:72], v[141:142], v[145:146], v[71:72]
	v_fma_f64 v[73:74], v[133:134], v[145:146], v[73:74]
	s_wait_loadcnt 0xa
	s_delay_alu instid0(VALU_DEP_4) | instskip(NEXT) | instid1(VALU_DEP_4)
	v_fma_f64 v[67:68], v[119:120], v[14:15], v[67:68]
	v_fma_f64 v[69:70], v[111:112], v[14:15], v[69:70]
	s_delay_alu instid0(VALU_DEP_4) | instskip(NEXT) | instid1(VALU_DEP_4)
	v_fma_f64 v[71:72], v[135:136], v[14:15], v[71:72]
	v_fma_f64 v[14:15], v[127:128], v[14:15], v[73:74]
	;; [unrolled: 13-line block ×4, first 2 shown]
	s_delay_alu instid0(VALU_DEP_4) | instskip(NEXT) | instid1(VALU_DEP_4)
	v_fma_f64 v[18:19], v[45:46], v[65:66], v[16:17]
	v_fma_f64 v[20:21], v[20:21], v[65:66], v[32:33]
	s_delay_alu instid0(VALU_DEP_4) | instskip(NEXT) | instid1(VALU_DEP_4)
	v_fma_f64 v[16:17], v[57:58], v[65:66], v[30:31]
	v_fma_f64 v[14:15], v[61:62], v[65:66], v[14:15]
	s_wait_alu 0xfffe
	s_and_not1_b32 exec_lo, exec_lo, s10
	s_cbranch_execnz .LBB48_23
; %bb.24:
	s_or_b32 exec_lo, exec_lo, s10
.LBB48_25:
	s_wait_alu 0xfffe
	s_or_b32 exec_lo, exec_lo, s7
.LBB48_26:
	s_wait_alu 0xfffe
	s_or_b32 exec_lo, exec_lo, s6
	s_cbranch_execz .LBB48_28
	s_branch .LBB48_39
.LBB48_27:
                                        ; implicit-def: $vgpr14_vgpr15
                                        ; implicit-def: $vgpr16_vgpr17
                                        ; implicit-def: $vgpr20_vgpr21
                                        ; implicit-def: $vgpr18_vgpr19
.LBB48_28:
	v_mov_b32_e32 v14, 0
	v_dual_mov_b32 v20, 0 :: v_dual_mov_b32 v15, 0
	v_dual_mov_b32 v16, 0 :: v_dual_mov_b32 v21, 0
	;; [unrolled: 1-line block ×3, first 2 shown]
	v_mov_b32_e32 v19, 0
	s_and_saveexec_b32 s3, s2
	s_cbranch_execz .LBB48_38
; %bb.29:
	v_or_b32_e32 v14, 32, v34
	v_not_b32_e32 v17, v22
	v_sub_co_u32 v18, s2, v4, v34
	v_not_b32_e32 v16, v23
	s_delay_alu instid0(VALU_DEP_4)
	v_sub_co_u32 v14, vcc_lo, v14, v4
	s_wait_alu 0xfffd
	v_sub_co_ci_u32_e64 v15, null, 0, v5, vcc_lo
	s_wait_alu 0xf1ff
	v_subrev_co_ci_u32_e64 v19, null, 0, v5, s2
	v_add_co_u32 v14, vcc_lo, v14, v22
	s_wait_alu 0xfffd
	v_add_co_ci_u32_e64 v15, null, v15, v23, vcc_lo
	s_delay_alu instid0(VALU_DEP_1)
	v_cmp_gt_i64_e32 vcc_lo, v[14:15], v[6:7]
	s_wait_alu 0xfffd
	v_cndmask_b32_e32 v20, v7, v15, vcc_lo
	v_cndmask_b32_e32 v14, v6, v14, vcc_lo
	v_add_co_u32 v15, vcc_lo, v18, v17
	s_wait_alu 0xfffd
	v_add_co_ci_u32_e64 v16, null, v19, v16, vcc_lo
	v_mov_b32_e32 v18, 0
	v_mov_b32_e32 v19, 0
	v_add_co_u32 v22, vcc_lo, v15, v14
	v_mov_b32_e32 v15, 0
	s_wait_alu 0xfffd
	v_add_co_ci_u32_e64 v23, null, v16, v20, vcc_lo
	s_delay_alu instid0(VALU_DEP_3) | instskip(SKIP_3) | instid1(VALU_DEP_4)
	v_and_b32_e32 v14, 0x60, v22
	v_mov_b32_e32 v20, 0
	v_dual_mov_b32 v21, 0 :: v_dual_mov_b32 v16, 0
	v_mov_b32_e32 v17, 0
	v_cmp_ne_u64_e32 vcc_lo, 0x60, v[14:15]
	v_mov_b32_e32 v14, 0
	v_mov_b32_e32 v15, 0
	s_and_saveexec_b32 s6, vcc_lo
	s_cbranch_execz .LBB48_33
; %bb.30:
	v_lshrrev_b32_e32 v14, 5, v22
	v_lshlrev_b64_e32 v[24:25], 3, v[0:1]
	v_mov_b32_e32 v16, 0
	v_mov_b32_e32 v20, 0
	;; [unrolled: 1-line block ×3, first 2 shown]
	v_add_nc_u32_e32 v26, 1, v14
	v_dual_mov_b32 v14, 0 :: v_dual_mov_b32 v17, 0
	v_mov_b32_e32 v15, 0
	v_add_co_u32 v24, vcc_lo, s8, v24
	s_delay_alu instid0(VALU_DEP_4) | instskip(SKIP_3) | instid1(VALU_DEP_3)
	v_dual_mov_b32 v21, 0 :: v_dual_and_b32 v26, 3, v26
	v_mov_b32_e32 v19, 0
	s_wait_alu 0xfffd
	v_add_co_ci_u32_e64 v25, null, s9, v25, vcc_lo
	v_sub_co_u32 v26, s2, 0, v26
	s_wait_alu 0xf1ff
	v_sub_co_ci_u32_e64 v27, null, 0, 0, s2
	s_mov_b32 s7, 0
.LBB48_31:                              ; =>This Inner Loop Header: Depth=1
	global_load_b64 v[32:33], v[24:25], off
	global_load_b128 v[28:31], v[12:13], off offset:16
	v_add_co_u32 v24, s2, 0x100, v24
	s_wait_alu 0xf1ff
	v_add_co_ci_u32_e64 v25, null, 0, v25, s2
	s_wait_loadcnt 0x1
	v_sub_co_u32 v32, vcc_lo, v32, v4
	s_wait_alu 0xfffd
	v_sub_co_ci_u32_e64 v33, null, v33, v5, vcc_lo
	s_delay_alu instid0(VALU_DEP_1) | instskip(SKIP_1) | instid1(VALU_DEP_1)
	v_lshlrev_b64_e32 v[32:33], 5, v[32:33]
	s_wait_kmcnt 0x0
	v_add_co_u32 v32, vcc_lo, s4, v32
	s_wait_alu 0xfffd
	s_delay_alu instid0(VALU_DEP_2)
	v_add_co_ci_u32_e64 v33, null, s5, v33, vcc_lo
	global_load_b128 v[35:38], v[12:13], off
	s_clause 0x1
	global_load_b128 v[39:42], v[32:33], off
	global_load_b128 v[43:46], v[32:33], off offset:16
	s_clause 0x5
	global_load_b128 v[47:50], v[12:13], off offset:32
	global_load_b128 v[51:54], v[12:13], off offset:48
	;; [unrolled: 1-line block ×6, first 2 shown]
	v_add_co_u32 v12, vcc_lo, 0x1000, v12
	s_wait_alu 0xfffd
	v_add_co_ci_u32_e64 v13, null, 0, v13, vcc_lo
	v_add_co_u32 v26, vcc_lo, v26, 1
	s_wait_alu 0xfffd
	v_add_co_ci_u32_e64 v27, null, 0, v27, vcc_lo
	v_add_co_u32 v0, vcc_lo, v0, 32
	s_wait_alu 0xfffd
	v_add_co_ci_u32_e64 v1, null, 0, v1, vcc_lo
	s_delay_alu instid0(VALU_DEP_3)
	v_cmp_eq_u64_e32 vcc_lo, 0, v[26:27]
	s_wait_alu 0xfffe
	s_or_b32 s7, vcc_lo, s7
	s_wait_loadcnt 0x7
	v_fma_f64 v[18:19], v[35:36], v[39:40], v[18:19]
	v_fma_f64 v[20:21], v[37:38], v[39:40], v[20:21]
	;; [unrolled: 1-line block ×4, first 2 shown]
	s_wait_loadcnt 0x5
	s_delay_alu instid0(VALU_DEP_4) | instskip(NEXT) | instid1(VALU_DEP_4)
	v_fma_f64 v[18:19], v[47:48], v[41:42], v[18:19]
	v_fma_f64 v[20:21], v[49:50], v[41:42], v[20:21]
	s_wait_loadcnt 0x4
	s_delay_alu instid0(VALU_DEP_4) | instskip(NEXT) | instid1(VALU_DEP_4)
	v_fma_f64 v[16:17], v[51:52], v[41:42], v[16:17]
	v_fma_f64 v[14:15], v[53:54], v[41:42], v[14:15]
	;; [unrolled: 4-line block ×6, first 2 shown]
	s_wait_alu 0xfffe
	s_and_not1_b32 exec_lo, exec_lo, s7
	s_cbranch_execnz .LBB48_31
; %bb.32:
	s_or_b32 exec_lo, exec_lo, s7
.LBB48_33:
	s_wait_alu 0xfffe
	s_or_b32 exec_lo, exec_lo, s6
	s_delay_alu instid0(SALU_CYCLE_1)
	s_mov_b32 s6, exec_lo
	v_cmpx_lt_u64_e32 0x5f, v[22:23]
	s_cbranch_execz .LBB48_37
; %bb.34:
	v_lshlrev_b64_e32 v[22:23], 3, v[0:1]
	s_mov_b32 s7, 0
	s_delay_alu instid0(VALU_DEP_1) | instskip(SKIP_1) | instid1(VALU_DEP_2)
	v_add_co_u32 v22, vcc_lo, s8, v22
	s_wait_alu 0xfffd
	v_add_co_ci_u32_e64 v23, null, s9, v23, vcc_lo
	s_delay_alu instid0(VALU_DEP_2) | instskip(SKIP_1) | instid1(VALU_DEP_2)
	v_add_co_u32 v22, vcc_lo, 0x200, v22
	s_wait_alu 0xfffd
	v_add_co_ci_u32_e64 v23, null, 0, v23, vcc_lo
.LBB48_35:                              ; =>This Inner Loop Header: Depth=1
	s_clause 0x2
	global_load_b64 v[32:33], v[22:23], off offset:-512
	global_load_b64 v[71:72], v[22:23], off offset:-256
	global_load_b64 v[111:112], v[22:23], off
	s_clause 0x1
	global_load_b128 v[24:27], v[12:13], off offset:16
	global_load_b128 v[28:31], v[12:13], off
	global_load_b64 v[119:120], v[22:23], off offset:256
	v_add_co_u32 v22, s2, 0x400, v22
	s_wait_alu 0xf1ff
	v_add_co_ci_u32_e64 v23, null, 0, v23, s2
	s_wait_loadcnt 0x5
	v_sub_co_u32 v32, vcc_lo, v32, v4
	s_wait_alu 0xfffd
	v_sub_co_ci_u32_e64 v33, null, v33, v5, vcc_lo
	s_delay_alu instid0(VALU_DEP_1) | instskip(SKIP_1) | instid1(VALU_DEP_1)
	v_lshlrev_b64_e32 v[32:33], 5, v[32:33]
	s_wait_kmcnt 0x0
	v_add_co_u32 v32, vcc_lo, s4, v32
	s_wait_alu 0xfffd
	s_delay_alu instid0(VALU_DEP_2)
	v_add_co_ci_u32_e64 v33, null, s5, v33, vcc_lo
	global_load_b128 v[35:38], v[32:33], off
	s_clause 0x3
	global_load_b128 v[39:42], v[12:13], off offset:32
	global_load_b128 v[43:46], v[12:13], off offset:48
	global_load_b128 v[47:50], v[12:13], off offset:64
	global_load_b128 v[51:54], v[12:13], off offset:80
	global_load_b128 v[55:58], v[32:33], off offset:16
	s_clause 0x2
	global_load_b128 v[59:62], v[12:13], off offset:96
	global_load_b128 v[63:66], v[12:13], off offset:112
	;; [unrolled: 1-line block ×3, first 2 shown]
	s_wait_loadcnt 0xd
	v_sub_co_u32 v32, vcc_lo, v71, v4
	s_wait_alu 0xfffd
	v_sub_co_ci_u32_e64 v33, null, v72, v5, vcc_lo
	s_delay_alu instid0(VALU_DEP_1) | instskip(NEXT) | instid1(VALU_DEP_1)
	v_lshlrev_b64_e32 v[32:33], 5, v[32:33]
	v_add_co_u32 v32, vcc_lo, s4, v32
	s_wait_alu 0xfffd
	s_delay_alu instid0(VALU_DEP_2)
	v_add_co_ci_u32_e64 v33, null, s5, v33, vcc_lo
	global_load_b128 v[71:74], v[12:13], off offset:4096
	global_load_b128 v[75:78], v[32:33], off
	s_clause 0x3
	global_load_b128 v[79:82], v[12:13], off offset:4128
	global_load_b128 v[83:86], v[12:13], off offset:4144
	;; [unrolled: 1-line block ×5, first 2 shown]
	s_clause 0x2
	global_load_b128 v[99:102], v[12:13], off offset:4192
	global_load_b128 v[103:106], v[12:13], off offset:4208
	;; [unrolled: 1-line block ×3, first 2 shown]
	s_wait_loadcnt 0x16
	v_sub_co_u32 v32, vcc_lo, v111, v4
	s_wait_alu 0xfffd
	v_sub_co_ci_u32_e64 v33, null, v112, v5, vcc_lo
	s_delay_alu instid0(VALU_DEP_1) | instskip(NEXT) | instid1(VALU_DEP_1)
	v_lshlrev_b64_e32 v[32:33], 5, v[32:33]
	v_add_co_u32 v32, vcc_lo, s4, v32
	s_wait_alu 0xfffd
	s_delay_alu instid0(VALU_DEP_2)
	v_add_co_ci_u32_e64 v33, null, s5, v33, vcc_lo
	global_load_b128 v[111:114], v[12:13], off offset:8192
	global_load_b128 v[115:118], v[32:33], off
	s_wait_loadcnt 0x14
	v_fma_f64 v[28:29], v[28:29], v[35:36], v[18:19]
	v_fma_f64 v[30:31], v[30:31], v[35:36], v[20:21]
	;; [unrolled: 1-line block ×4, first 2 shown]
	s_clause 0x1
	global_load_b128 v[14:17], v[12:13], off offset:8224
	global_load_b128 v[18:21], v[12:13], off offset:8240
	s_wait_loadcnt 0x15
	v_fma_f64 v[39:40], v[39:40], v[37:38], v[28:29]
	v_fma_f64 v[41:42], v[41:42], v[37:38], v[30:31]
	s_wait_loadcnt 0x14
	v_fma_f64 v[43:44], v[43:44], v[37:38], v[24:25]
	v_fma_f64 v[45:46], v[45:46], v[37:38], v[26:27]
	s_clause 0x1
	global_load_b128 v[24:27], v[12:13], off offset:8272
	global_load_b128 v[28:31], v[12:13], off offset:8256
	;; [unrolled: 1-line block ×3, first 2 shown]
	s_wait_loadcnt 0x14
	v_fma_f64 v[32:33], v[47:48], v[55:56], v[39:40]
	v_fma_f64 v[121:122], v[49:50], v[55:56], v[41:42]
	;; [unrolled: 1-line block ×4, first 2 shown]
	s_clause 0x2
	global_load_b128 v[39:42], v[12:13], off offset:8288
	global_load_b128 v[43:46], v[12:13], off offset:8304
	;; [unrolled: 1-line block ×3, first 2 shown]
	v_sub_co_u32 v55, vcc_lo, v119, v4
	s_wait_alu 0xfffd
	v_sub_co_ci_u32_e64 v56, null, v120, v5, vcc_lo
	s_wait_loadcnt 0x16
	v_fma_f64 v[32:33], v[59:60], v[57:58], v[32:33]
	v_fma_f64 v[59:60], v[61:62], v[57:58], v[121:122]
	s_wait_loadcnt 0x15
	v_fma_f64 v[61:62], v[63:64], v[57:58], v[51:52]
	v_fma_f64 v[63:64], v[65:66], v[57:58], v[53:54]
	v_lshlrev_b64_e32 v[51:52], 5, v[55:56]
	s_delay_alu instid0(VALU_DEP_1) | instskip(SKIP_1) | instid1(VALU_DEP_2)
	v_add_co_u32 v119, vcc_lo, s4, v51
	s_wait_alu 0xfffd
	v_add_co_ci_u32_e64 v120, null, s5, v52, vcc_lo
	global_load_b128 v[51:54], v[12:13], off offset:12288
	global_load_b128 v[55:58], v[119:120], off
	v_add_co_u32 v0, vcc_lo, 0x80, v0
	s_wait_alu 0xfffd
	v_add_co_ci_u32_e64 v1, null, 0, v1, vcc_lo
	s_wait_loadcnt 0x14
	v_fma_f64 v[32:33], v[71:72], v[75:76], v[32:33]
	v_fma_f64 v[71:72], v[73:74], v[75:76], v[59:60]
	;; [unrolled: 1-line block ×4, first 2 shown]
	s_clause 0x1
	global_load_b128 v[59:62], v[12:13], off offset:12320
	global_load_b128 v[63:66], v[12:13], off offset:12336
	s_wait_loadcnt 0x15
	v_fma_f64 v[32:33], v[79:80], v[77:78], v[32:33]
	v_fma_f64 v[79:80], v[81:82], v[77:78], v[71:72]
	s_wait_loadcnt 0x14
	v_fma_f64 v[81:82], v[83:84], v[77:78], v[67:68]
	v_fma_f64 v[83:84], v[85:86], v[77:78], v[69:70]
	s_clause 0x1
	global_load_b128 v[67:70], v[12:13], off offset:12352
	global_load_b128 v[71:74], v[12:13], off offset:12368
	;; [unrolled: 1-line block ×3, first 2 shown]
	s_wait_loadcnt 0x14
	v_fma_f64 v[32:33], v[87:88], v[95:96], v[32:33]
	v_fma_f64 v[87:88], v[89:90], v[95:96], v[79:80]
	;; [unrolled: 1-line block ×4, first 2 shown]
	s_clause 0x1
	global_load_b128 v[79:82], v[12:13], off offset:12384
	global_load_b128 v[83:86], v[12:13], off offset:12400
	v_add_co_u32 v12, vcc_lo, 0x4000, v12
	s_wait_alu 0xfffd
	v_add_co_ci_u32_e64 v13, null, 0, v13, vcc_lo
	v_cmp_ge_i64_e32 vcc_lo, v[0:1], v[6:7]
	s_wait_alu 0xfffe
	s_or_b32 s7, vcc_lo, s7
	s_wait_loadcnt 0x15
	v_fma_f64 v[32:33], v[99:100], v[97:98], v[32:33]
	v_fma_f64 v[87:88], v[101:102], v[97:98], v[87:88]
	s_wait_loadcnt 0x14
	v_fma_f64 v[89:90], v[103:104], v[97:98], v[89:90]
	v_fma_f64 v[91:92], v[105:106], v[97:98], v[91:92]
	s_wait_loadcnt 0x11
	s_delay_alu instid0(VALU_DEP_4) | instskip(NEXT) | instid1(VALU_DEP_4)
	v_fma_f64 v[32:33], v[111:112], v[115:116], v[32:33]
	v_fma_f64 v[87:88], v[113:114], v[115:116], v[87:88]
	s_delay_alu instid0(VALU_DEP_4) | instskip(NEXT) | instid1(VALU_DEP_4)
	v_fma_f64 v[89:90], v[107:108], v[115:116], v[89:90]
	v_fma_f64 v[91:92], v[109:110], v[115:116], v[91:92]
	s_wait_loadcnt 0x10
	s_delay_alu instid0(VALU_DEP_4) | instskip(NEXT) | instid1(VALU_DEP_4)
	v_fma_f64 v[14:15], v[14:15], v[117:118], v[32:33]
	v_fma_f64 v[16:17], v[16:17], v[117:118], v[87:88]
	s_wait_loadcnt 0xf
	s_delay_alu instid0(VALU_DEP_4) | instskip(NEXT) | instid1(VALU_DEP_4)
	v_fma_f64 v[18:19], v[18:19], v[117:118], v[89:90]
	v_fma_f64 v[20:21], v[20:21], v[117:118], v[91:92]
	s_wait_loadcnt 0xc
	s_delay_alu instid0(VALU_DEP_4) | instskip(NEXT) | instid1(VALU_DEP_4)
	v_fma_f64 v[14:15], v[28:29], v[35:36], v[14:15]
	v_fma_f64 v[16:17], v[30:31], v[35:36], v[16:17]
	s_delay_alu instid0(VALU_DEP_4) | instskip(NEXT) | instid1(VALU_DEP_4)
	v_fma_f64 v[18:19], v[24:25], v[35:36], v[18:19]
	v_fma_f64 v[20:21], v[26:27], v[35:36], v[20:21]
	s_wait_loadcnt 0xb
	s_delay_alu instid0(VALU_DEP_4) | instskip(NEXT) | instid1(VALU_DEP_4)
	v_fma_f64 v[14:15], v[39:40], v[37:38], v[14:15]
	v_fma_f64 v[16:17], v[41:42], v[37:38], v[16:17]
	s_wait_loadcnt 0xa
	s_delay_alu instid0(VALU_DEP_4) | instskip(NEXT) | instid1(VALU_DEP_4)
	;; [unrolled: 15-line block ×4, first 2 shown]
	v_fma_f64 v[16:17], v[83:84], v[77:78], v[24:25]
	v_fma_f64 v[14:15], v[85:86], v[77:78], v[26:27]
	s_wait_alu 0xfffe
	s_and_not1_b32 exec_lo, exec_lo, s7
	s_cbranch_execnz .LBB48_35
; %bb.36:
	s_or_b32 exec_lo, exec_lo, s7
.LBB48_37:
	s_wait_alu 0xfffe
	s_or_b32 exec_lo, exec_lo, s6
.LBB48_38:
	s_wait_alu 0xfffe
	s_or_b32 exec_lo, exec_lo, s3
.LBB48_39:
	v_mbcnt_lo_u32_b32 v24, -1, 0
	s_delay_alu instid0(VALU_DEP_1) | instskip(NEXT) | instid1(VALU_DEP_1)
	v_xor_b32_e32 v0, 16, v24
	v_cmp_gt_i32_e32 vcc_lo, 32, v0
	s_wait_alu 0xfffd
	v_cndmask_b32_e32 v0, v24, v0, vcc_lo
	s_delay_alu instid0(VALU_DEP_1)
	v_lshlrev_b32_e32 v13, 2, v0
	ds_bpermute_b32 v0, v13, v18
	ds_bpermute_b32 v1, v13, v19
	;; [unrolled: 1-line block ×8, first 2 shown]
	s_wait_dscnt 0x6
	v_add_f64_e32 v[0:1], v[18:19], v[0:1]
	s_wait_dscnt 0x4
	v_add_f64_e32 v[4:5], v[20:21], v[4:5]
	;; [unrolled: 2-line block ×4, first 2 shown]
	v_xor_b32_e32 v14, 8, v24
	s_delay_alu instid0(VALU_DEP_1) | instskip(SKIP_2) | instid1(VALU_DEP_1)
	v_cmp_gt_i32_e32 vcc_lo, 32, v14
	s_wait_alu 0xfffd
	v_cndmask_b32_e32 v14, v24, v14, vcc_lo
	v_lshlrev_b32_e32 v21, 2, v14
	ds_bpermute_b32 v14, v21, v0
	ds_bpermute_b32 v15, v21, v1
	;; [unrolled: 1-line block ×8, first 2 shown]
	s_wait_dscnt 0x6
	v_add_f64_e32 v[0:1], v[0:1], v[14:15]
	v_xor_b32_e32 v14, 4, v24
	s_wait_dscnt 0x4
	v_add_f64_e32 v[4:5], v[4:5], v[16:17]
	s_wait_dscnt 0x2
	v_add_f64_e32 v[6:7], v[6:7], v[18:19]
	;; [unrolled: 2-line block ×3, first 2 shown]
	v_cmp_gt_i32_e32 vcc_lo, 32, v14
	s_wait_alu 0xfffd
	v_cndmask_b32_e32 v14, v24, v14, vcc_lo
	s_delay_alu instid0(VALU_DEP_1)
	v_lshlrev_b32_e32 v21, 2, v14
	ds_bpermute_b32 v14, v21, v0
	ds_bpermute_b32 v15, v21, v1
	ds_bpermute_b32 v16, v21, v4
	ds_bpermute_b32 v17, v21, v5
	ds_bpermute_b32 v18, v21, v6
	ds_bpermute_b32 v19, v21, v7
	ds_bpermute_b32 v20, v21, v12
	ds_bpermute_b32 v21, v21, v13
	s_wait_dscnt 0x6
	v_add_f64_e32 v[0:1], v[0:1], v[14:15]
	s_wait_dscnt 0x4
	v_add_f64_e32 v[4:5], v[4:5], v[16:17]
	;; [unrolled: 2-line block ×3, first 2 shown]
	v_xor_b32_e32 v6, 2, v24
	s_wait_dscnt 0x0
	v_add_f64_e32 v[16:17], v[12:13], v[20:21]
	s_delay_alu instid0(VALU_DEP_2) | instskip(SKIP_2) | instid1(VALU_DEP_1)
	v_cmp_gt_i32_e32 vcc_lo, 32, v6
	s_wait_alu 0xfffd
	v_cndmask_b32_e32 v6, v24, v6, vcc_lo
	v_lshlrev_b32_e32 v12, 2, v6
	ds_bpermute_b32 v6, v12, v0
	ds_bpermute_b32 v7, v12, v1
	;; [unrolled: 1-line block ×8, first 2 shown]
	s_wait_dscnt 0x6
	v_add_f64_e32 v[12:13], v[0:1], v[6:7]
	s_wait_dscnt 0x4
	v_add_f64_e32 v[6:7], v[4:5], v[18:19]
	;; [unrolled: 2-line block ×3, first 2 shown]
	v_xor_b32_e32 v14, 1, v24
	s_wait_dscnt 0x0
	v_add_f64_e32 v[4:5], v[16:17], v[22:23]
	s_delay_alu instid0(VALU_DEP_2) | instskip(SKIP_3) | instid1(VALU_DEP_2)
	v_cmp_gt_i32_e32 vcc_lo, 32, v14
	s_wait_alu 0xfffd
	v_cndmask_b32_e32 v14, v24, v14, vcc_lo
	v_cmp_eq_u32_e32 vcc_lo, 31, v34
	v_lshlrev_b32_e32 v15, 2, v14
	ds_bpermute_b32 v20, v15, v12
	ds_bpermute_b32 v21, v15, v13
	;; [unrolled: 1-line block ×8, first 2 shown]
	s_and_b32 exec_lo, exec_lo, vcc_lo
	s_cbranch_execz .LBB48_10
; %bb.40:
	s_wait_dscnt 0x6
	v_add_f64_e32 v[12:13], v[12:13], v[20:21]
	s_wait_dscnt 0x4
	v_add_f64_e32 v[6:7], v[6:7], v[18:19]
	;; [unrolled: 2-line block ×4, first 2 shown]
	s_load_b64 s[0:1], s[0:1], 0x58
	v_lshlrev_b64_e32 v[10:11], 5, v[10:11]
	s_mov_b32 s2, exec_lo
	v_mul_f64_e32 v[4:5], v[2:3], v[12:13]
	v_mul_f64_e32 v[6:7], v[2:3], v[6:7]
	v_mul_f64_e32 v[0:1], v[2:3], v[0:1]
	v_mul_f64_e32 v[2:3], v[2:3], v[14:15]
	v_cmpx_eq_f64_e32 0, v[8:9]
	s_wait_alu 0xfffe
	s_xor_b32 s2, exec_lo, s2
	s_cbranch_execz .LBB48_42
; %bb.41:
	s_wait_kmcnt 0x0
	v_add_co_u32 v8, vcc_lo, s0, v10
	s_wait_alu 0xfffd
	v_add_co_ci_u32_e64 v9, null, s1, v11, vcc_lo
                                        ; implicit-def: $vgpr10_vgpr11
	s_clause 0x1
	global_store_b128 v[8:9], v[4:7], off
	global_store_b128 v[8:9], v[0:3], off offset:16
                                        ; implicit-def: $vgpr8_vgpr9
                                        ; implicit-def: $vgpr4_vgpr5
                                        ; implicit-def: $vgpr0_vgpr1
.LBB48_42:
	s_wait_alu 0xfffe
	s_and_not1_saveexec_b32 s2, s2
	s_cbranch_execz .LBB48_10
; %bb.43:
	s_wait_kmcnt 0x0
	v_add_co_u32 v18, vcc_lo, s0, v10
	s_wait_alu 0xfffd
	v_add_co_ci_u32_e64 v19, null, s1, v11, vcc_lo
	s_clause 0x1
	global_load_b128 v[10:13], v[18:19], off
	global_load_b128 v[14:17], v[18:19], off offset:16
	s_wait_loadcnt 0x1
	v_fma_f64 v[4:5], v[8:9], v[10:11], v[4:5]
	v_fma_f64 v[6:7], v[8:9], v[12:13], v[6:7]
	s_wait_loadcnt 0x0
	v_fma_f64 v[0:1], v[8:9], v[14:15], v[0:1]
	v_fma_f64 v[2:3], v[8:9], v[16:17], v[2:3]
	s_clause 0x1
	global_store_b128 v[18:19], v[4:7], off
	global_store_b128 v[18:19], v[0:3], off offset:16
	s_nop 0
	s_sendmsg sendmsg(MSG_DEALLOC_VGPRS)
	s_endpgm
	.section	.rodata,"a",@progbits
	.p2align	6, 0x0
	.amdhsa_kernel _ZN9rocsparseL18bsrxmvn_4x4_kernelILj128ELj32EdlldddEEvT3_20rocsparse_direction_NS_24const_host_device_scalarIT1_EES1_PKS1_PKT2_SA_S7_PKT4_PKT5_S5_PT6_21rocsparse_index_base_b
		.amdhsa_group_segment_fixed_size 0
		.amdhsa_private_segment_fixed_size 0
		.amdhsa_kernarg_size 104
		.amdhsa_user_sgpr_count 2
		.amdhsa_user_sgpr_dispatch_ptr 0
		.amdhsa_user_sgpr_queue_ptr 0
		.amdhsa_user_sgpr_kernarg_segment_ptr 1
		.amdhsa_user_sgpr_dispatch_id 0
		.amdhsa_user_sgpr_private_segment_size 0
		.amdhsa_wavefront_size32 1
		.amdhsa_uses_dynamic_stack 0
		.amdhsa_enable_private_segment 0
		.amdhsa_system_sgpr_workgroup_id_x 1
		.amdhsa_system_sgpr_workgroup_id_y 0
		.amdhsa_system_sgpr_workgroup_id_z 0
		.amdhsa_system_sgpr_workgroup_info 0
		.amdhsa_system_vgpr_workitem_id 0
		.amdhsa_next_free_vgpr 151
		.amdhsa_next_free_sgpr 12
		.amdhsa_reserve_vcc 1
		.amdhsa_float_round_mode_32 0
		.amdhsa_float_round_mode_16_64 0
		.amdhsa_float_denorm_mode_32 3
		.amdhsa_float_denorm_mode_16_64 3
		.amdhsa_fp16_overflow 0
		.amdhsa_workgroup_processor_mode 1
		.amdhsa_memory_ordered 1
		.amdhsa_forward_progress 1
		.amdhsa_inst_pref_size 51
		.amdhsa_round_robin_scheduling 0
		.amdhsa_exception_fp_ieee_invalid_op 0
		.amdhsa_exception_fp_denorm_src 0
		.amdhsa_exception_fp_ieee_div_zero 0
		.amdhsa_exception_fp_ieee_overflow 0
		.amdhsa_exception_fp_ieee_underflow 0
		.amdhsa_exception_fp_ieee_inexact 0
		.amdhsa_exception_int_div_zero 0
	.end_amdhsa_kernel
	.section	.text._ZN9rocsparseL18bsrxmvn_4x4_kernelILj128ELj32EdlldddEEvT3_20rocsparse_direction_NS_24const_host_device_scalarIT1_EES1_PKS1_PKT2_SA_S7_PKT4_PKT5_S5_PT6_21rocsparse_index_base_b,"axG",@progbits,_ZN9rocsparseL18bsrxmvn_4x4_kernelILj128ELj32EdlldddEEvT3_20rocsparse_direction_NS_24const_host_device_scalarIT1_EES1_PKS1_PKT2_SA_S7_PKT4_PKT5_S5_PT6_21rocsparse_index_base_b,comdat
.Lfunc_end48:
	.size	_ZN9rocsparseL18bsrxmvn_4x4_kernelILj128ELj32EdlldddEEvT3_20rocsparse_direction_NS_24const_host_device_scalarIT1_EES1_PKS1_PKT2_SA_S7_PKT4_PKT5_S5_PT6_21rocsparse_index_base_b, .Lfunc_end48-_ZN9rocsparseL18bsrxmvn_4x4_kernelILj128ELj32EdlldddEEvT3_20rocsparse_direction_NS_24const_host_device_scalarIT1_EES1_PKS1_PKT2_SA_S7_PKT4_PKT5_S5_PT6_21rocsparse_index_base_b
                                        ; -- End function
	.set _ZN9rocsparseL18bsrxmvn_4x4_kernelILj128ELj32EdlldddEEvT3_20rocsparse_direction_NS_24const_host_device_scalarIT1_EES1_PKS1_PKT2_SA_S7_PKT4_PKT5_S5_PT6_21rocsparse_index_base_b.num_vgpr, 151
	.set _ZN9rocsparseL18bsrxmvn_4x4_kernelILj128ELj32EdlldddEEvT3_20rocsparse_direction_NS_24const_host_device_scalarIT1_EES1_PKS1_PKT2_SA_S7_PKT4_PKT5_S5_PT6_21rocsparse_index_base_b.num_agpr, 0
	.set _ZN9rocsparseL18bsrxmvn_4x4_kernelILj128ELj32EdlldddEEvT3_20rocsparse_direction_NS_24const_host_device_scalarIT1_EES1_PKS1_PKT2_SA_S7_PKT4_PKT5_S5_PT6_21rocsparse_index_base_b.numbered_sgpr, 12
	.set _ZN9rocsparseL18bsrxmvn_4x4_kernelILj128ELj32EdlldddEEvT3_20rocsparse_direction_NS_24const_host_device_scalarIT1_EES1_PKS1_PKT2_SA_S7_PKT4_PKT5_S5_PT6_21rocsparse_index_base_b.num_named_barrier, 0
	.set _ZN9rocsparseL18bsrxmvn_4x4_kernelILj128ELj32EdlldddEEvT3_20rocsparse_direction_NS_24const_host_device_scalarIT1_EES1_PKS1_PKT2_SA_S7_PKT4_PKT5_S5_PT6_21rocsparse_index_base_b.private_seg_size, 0
	.set _ZN9rocsparseL18bsrxmvn_4x4_kernelILj128ELj32EdlldddEEvT3_20rocsparse_direction_NS_24const_host_device_scalarIT1_EES1_PKS1_PKT2_SA_S7_PKT4_PKT5_S5_PT6_21rocsparse_index_base_b.uses_vcc, 1
	.set _ZN9rocsparseL18bsrxmvn_4x4_kernelILj128ELj32EdlldddEEvT3_20rocsparse_direction_NS_24const_host_device_scalarIT1_EES1_PKS1_PKT2_SA_S7_PKT4_PKT5_S5_PT6_21rocsparse_index_base_b.uses_flat_scratch, 0
	.set _ZN9rocsparseL18bsrxmvn_4x4_kernelILj128ELj32EdlldddEEvT3_20rocsparse_direction_NS_24const_host_device_scalarIT1_EES1_PKS1_PKT2_SA_S7_PKT4_PKT5_S5_PT6_21rocsparse_index_base_b.has_dyn_sized_stack, 0
	.set _ZN9rocsparseL18bsrxmvn_4x4_kernelILj128ELj32EdlldddEEvT3_20rocsparse_direction_NS_24const_host_device_scalarIT1_EES1_PKS1_PKT2_SA_S7_PKT4_PKT5_S5_PT6_21rocsparse_index_base_b.has_recursion, 0
	.set _ZN9rocsparseL18bsrxmvn_4x4_kernelILj128ELj32EdlldddEEvT3_20rocsparse_direction_NS_24const_host_device_scalarIT1_EES1_PKS1_PKT2_SA_S7_PKT4_PKT5_S5_PT6_21rocsparse_index_base_b.has_indirect_call, 0
	.section	.AMDGPU.csdata,"",@progbits
; Kernel info:
; codeLenInByte = 6524
; TotalNumSgprs: 14
; NumVgprs: 151
; ScratchSize: 0
; MemoryBound: 1
; FloatMode: 240
; IeeeMode: 1
; LDSByteSize: 0 bytes/workgroup (compile time only)
; SGPRBlocks: 0
; VGPRBlocks: 18
; NumSGPRsForWavesPerEU: 14
; NumVGPRsForWavesPerEU: 151
; Occupancy: 9
; WaveLimiterHint : 1
; COMPUTE_PGM_RSRC2:SCRATCH_EN: 0
; COMPUTE_PGM_RSRC2:USER_SGPR: 2
; COMPUTE_PGM_RSRC2:TRAP_HANDLER: 0
; COMPUTE_PGM_RSRC2:TGID_X_EN: 1
; COMPUTE_PGM_RSRC2:TGID_Y_EN: 0
; COMPUTE_PGM_RSRC2:TGID_Z_EN: 0
; COMPUTE_PGM_RSRC2:TIDIG_COMP_CNT: 0
	.section	.text._ZN9rocsparseL18bsrxmvn_4x4_kernelILj128ELj64EdlldddEEvT3_20rocsparse_direction_NS_24const_host_device_scalarIT1_EES1_PKS1_PKT2_SA_S7_PKT4_PKT5_S5_PT6_21rocsparse_index_base_b,"axG",@progbits,_ZN9rocsparseL18bsrxmvn_4x4_kernelILj128ELj64EdlldddEEvT3_20rocsparse_direction_NS_24const_host_device_scalarIT1_EES1_PKS1_PKT2_SA_S7_PKT4_PKT5_S5_PT6_21rocsparse_index_base_b,comdat
	.globl	_ZN9rocsparseL18bsrxmvn_4x4_kernelILj128ELj64EdlldddEEvT3_20rocsparse_direction_NS_24const_host_device_scalarIT1_EES1_PKS1_PKT2_SA_S7_PKT4_PKT5_S5_PT6_21rocsparse_index_base_b ; -- Begin function _ZN9rocsparseL18bsrxmvn_4x4_kernelILj128ELj64EdlldddEEvT3_20rocsparse_direction_NS_24const_host_device_scalarIT1_EES1_PKS1_PKT2_SA_S7_PKT4_PKT5_S5_PT6_21rocsparse_index_base_b
	.p2align	8
	.type	_ZN9rocsparseL18bsrxmvn_4x4_kernelILj128ELj64EdlldddEEvT3_20rocsparse_direction_NS_24const_host_device_scalarIT1_EES1_PKS1_PKT2_SA_S7_PKT4_PKT5_S5_PT6_21rocsparse_index_base_b,@function
_ZN9rocsparseL18bsrxmvn_4x4_kernelILj128ELj64EdlldddEEvT3_20rocsparse_direction_NS_24const_host_device_scalarIT1_EES1_PKS1_PKT2_SA_S7_PKT4_PKT5_S5_PT6_21rocsparse_index_base_b: ; @_ZN9rocsparseL18bsrxmvn_4x4_kernelILj128ELj64EdlldddEEvT3_20rocsparse_direction_NS_24const_host_device_scalarIT1_EES1_PKS1_PKT2_SA_S7_PKT4_PKT5_S5_PT6_21rocsparse_index_base_b
; %bb.0:
	s_clause 0x2
	s_load_b64 s[8:9], s[0:1], 0x60
	s_load_b128 s[4:7], s[0:1], 0x10
	s_load_b64 s[2:3], s[0:1], 0x50
	s_wait_kmcnt 0x0
	s_bitcmp1_b32 s9, 0
	v_dual_mov_b32 v2, s4 :: v_dual_mov_b32 v3, s5
	s_cselect_b32 s9, -1, 0
	s_delay_alu instid0(SALU_CYCLE_1)
	s_and_b32 vcc_lo, exec_lo, s9
	s_xor_b32 s9, s9, -1
	s_cbranch_vccnz .LBB49_2
; %bb.1:
	v_dual_mov_b32 v1, s4 :: v_dual_mov_b32 v2, s5
	flat_load_b64 v[2:3], v[1:2]
.LBB49_2:
	v_dual_mov_b32 v9, s3 :: v_dual_mov_b32 v8, s2
	s_and_not1_b32 vcc_lo, exec_lo, s9
	s_cbranch_vccnz .LBB49_4
; %bb.3:
	v_dual_mov_b32 v5, s3 :: v_dual_mov_b32 v4, s2
	flat_load_b64 v[8:9], v[4:5]
.LBB49_4:
	s_wait_loadcnt_dscnt 0x0
	v_cmp_neq_f64_e32 vcc_lo, 0, v[2:3]
	v_cmp_neq_f64_e64 s2, 1.0, v[8:9]
	s_or_b32 s2, vcc_lo, s2
	s_wait_alu 0xfffe
	s_and_saveexec_b32 s3, s2
	s_cbranch_execz .LBB49_10
; %bb.5:
	s_load_b64 s[2:3], s[0:1], 0x20
	v_lshrrev_b32_e32 v1, 6, v0
	v_mov_b32_e32 v7, 0
	s_delay_alu instid0(VALU_DEP_2)
	v_lshl_or_b32 v6, ttmp9, 1, v1
	s_wait_kmcnt 0x0
	s_cmp_lg_u64 s[2:3], 0
	s_cbranch_scc0 .LBB49_11
; %bb.6:
	s_delay_alu instid0(VALU_DEP_1)
	v_cmp_gt_i64_e32 vcc_lo, s[6:7], v[6:7]
	s_mov_b32 s5, 0
	s_mov_b32 s4, 0
                                        ; implicit-def: $vgpr10_vgpr11
                                        ; implicit-def: $vgpr4_vgpr5
	s_and_saveexec_b32 s6, vcc_lo
	s_wait_alu 0xfffe
	s_xor_b32 s6, exec_lo, s6
	s_cbranch_execz .LBB49_8
; %bb.7:
	v_lshlrev_b64_e32 v[4:5], 3, v[6:7]
	s_mov_b32 s9, 0
	s_mov_b32 s4, exec_lo
	s_delay_alu instid0(VALU_DEP_1) | instskip(NEXT) | instid1(VALU_DEP_1)
	v_add_co_u32 v4, vcc_lo, s2, v4
	v_add_co_ci_u32_e64 v5, null, s3, v5, vcc_lo
	global_load_b64 v[4:5], v[4:5], off
	s_wait_loadcnt 0x0
	v_sub_co_u32 v10, vcc_lo, v4, s8
	s_wait_alu 0xfffd
	v_subrev_co_ci_u32_e64 v11, null, 0, v5, vcc_lo
	v_dual_mov_b32 v4, s8 :: v_dual_mov_b32 v5, s9
.LBB49_8:
	s_wait_alu 0xfffe
	s_or_b32 exec_lo, exec_lo, s6
	s_delay_alu instid0(SALU_CYCLE_1)
	s_and_b32 vcc_lo, exec_lo, s5
	s_wait_alu 0xfffe
	s_cbranch_vccnz .LBB49_12
.LBB49_9:
	s_wait_alu 0xfffe
	s_and_b32 exec_lo, exec_lo, s4
	s_cbranch_execnz .LBB49_15
.LBB49_10:
	s_nop 0
	s_sendmsg sendmsg(MSG_DEALLOC_VGPRS)
	s_endpgm
.LBB49_11:
	s_mov_b32 s4, 0
                                        ; implicit-def: $vgpr10_vgpr11
                                        ; implicit-def: $vgpr4_vgpr5
	s_cbranch_execz .LBB49_9
.LBB49_12:
	s_load_b64 s[2:3], s[0:1], 0x0
	s_wait_kmcnt 0x0
	v_cmp_gt_i64_e32 vcc_lo, s[2:3], v[6:7]
	s_and_saveexec_b32 s2, vcc_lo
; %bb.13:
	s_mov_b32 s9, 0
	s_or_b32 s4, s4, exec_lo
; %bb.14:
	s_wait_alu 0xfffe
	s_or_b32 exec_lo, exec_lo, s2
	v_dual_mov_b32 v4, s8 :: v_dual_mov_b32 v5, s9
	v_dual_mov_b32 v11, v7 :: v_dual_mov_b32 v10, v6
	s_and_b32 exec_lo, exec_lo, s4
	s_cbranch_execz .LBB49_10
.LBB49_15:
	s_load_b256 s[4:11], s[0:1], 0x28
	s_delay_alu instid0(VALU_DEP_1) | instskip(SKIP_3) | instid1(VALU_DEP_2)
	v_lshlrev_b64_e32 v[6:7], 3, v[10:11]
	v_and_b32_e32 v34, 63, v0
	s_load_b32 s3, s[0:1], 0x8
	s_wait_kmcnt 0x0
	v_add_co_u32 v12, vcc_lo, s4, v6
	s_wait_alu 0xfffd
	v_add_co_ci_u32_e64 v13, null, s5, v7, vcc_lo
	v_add_co_u32 v1, vcc_lo, s6, v6
	s_wait_alu 0xfffd
	v_add_co_ci_u32_e64 v6, null, s7, v7, vcc_lo
	v_add_co_u32 v14, vcc_lo, v12, 8
	global_load_b64 v[22:23], v[12:13], off
	s_wait_alu 0xfffd
	v_add_co_ci_u32_e64 v7, null, 0, v13, vcc_lo
	s_cmp_eq_u64 s[6:7], 0
	s_load_b64 s[4:5], s[0:1], 0x48
	s_cselect_b32 vcc_lo, -1, 0
	s_cmp_eq_u32 s3, 1
	s_wait_alu 0xfffe
	v_dual_cndmask_b32 v7, v6, v7 :: v_dual_cndmask_b32 v6, v1, v14
	global_load_b64 v[6:7], v[6:7], off
	s_wait_loadcnt 0x1
	v_sub_co_u32 v0, vcc_lo, v22, v4
	s_wait_alu 0xfffd
	v_sub_co_ci_u32_e64 v1, null, v23, v5, vcc_lo
	s_delay_alu instid0(VALU_DEP_2) | instskip(SKIP_1) | instid1(VALU_DEP_2)
	v_add_co_u32 v0, vcc_lo, v0, v34
	s_wait_alu 0xfffd
	v_add_co_ci_u32_e64 v1, null, 0, v1, vcc_lo
	s_delay_alu instid0(VALU_DEP_1) | instskip(SKIP_4) | instid1(VALU_DEP_3)
	v_lshlrev_b64_e32 v[12:13], 7, v[0:1]
	s_wait_loadcnt 0x0
	v_sub_co_u32 v6, vcc_lo, v6, v4
	s_wait_alu 0xfffd
	v_sub_co_ci_u32_e64 v7, null, v7, v5, vcc_lo
	v_add_co_u32 v12, vcc_lo, s10, v12
	s_delay_alu instid0(VALU_DEP_2)
	v_cmp_lt_i64_e64 s2, v[0:1], v[6:7]
	s_wait_alu 0xfffd
	v_add_co_ci_u32_e64 v13, null, s11, v13, vcc_lo
	s_cbranch_scc1 .LBB49_27
; %bb.16:
	v_mov_b32_e32 v14, 0
	v_dual_mov_b32 v20, 0 :: v_dual_mov_b32 v15, 0
	v_dual_mov_b32 v16, 0 :: v_dual_mov_b32 v21, 0
	;; [unrolled: 1-line block ×3, first 2 shown]
	v_mov_b32_e32 v19, 0
	s_and_saveexec_b32 s6, s2
	s_cbranch_execz .LBB49_26
; %bb.17:
	v_or_b32_e32 v14, 64, v34
	v_not_b32_e32 v17, v22
	v_sub_co_u32 v18, s3, v4, v34
	v_not_b32_e32 v16, v23
	s_delay_alu instid0(VALU_DEP_4)
	v_sub_co_u32 v14, vcc_lo, v14, v4
	s_wait_alu 0xfffd
	v_sub_co_ci_u32_e64 v15, null, 0, v5, vcc_lo
	s_wait_alu 0xf1ff
	v_subrev_co_ci_u32_e64 v19, null, 0, v5, s3
	v_add_co_u32 v14, vcc_lo, v14, v22
	s_wait_alu 0xfffd
	v_add_co_ci_u32_e64 v15, null, v15, v23, vcc_lo
	v_dual_mov_b32 v27, v1 :: v_dual_mov_b32 v26, v0
	v_mov_b32_e32 v20, 0
	s_delay_alu instid0(VALU_DEP_3)
	v_cmp_gt_i64_e32 vcc_lo, v[14:15], v[6:7]
	v_mov_b32_e32 v21, 0
	s_wait_alu 0xfffd
	v_dual_cndmask_b32 v15, v7, v15 :: v_dual_cndmask_b32 v14, v6, v14
	v_add_co_u32 v17, vcc_lo, v18, v17
	s_wait_alu 0xfffd
	v_add_co_ci_u32_e64 v16, null, v19, v16, vcc_lo
	v_mov_b32_e32 v18, 0
	s_delay_alu instid0(VALU_DEP_3) | instskip(SKIP_3) | instid1(VALU_DEP_3)
	v_add_co_u32 v28, vcc_lo, v17, v14
	v_mov_b32_e32 v25, 0
	s_wait_alu 0xfffd
	v_add_co_ci_u32_e64 v29, null, v16, v15, vcc_lo
	v_and_b32_e32 v24, 0xc0, v28
	v_dual_mov_b32 v16, 0 :: v_dual_mov_b32 v19, 0
	v_dual_mov_b32 v17, 0 :: v_dual_mov_b32 v14, 0
	s_delay_alu instid0(VALU_DEP_3)
	v_cmp_ne_u64_e32 vcc_lo, 0xc0, v[24:25]
	v_mov_b32_e32 v15, 0
	v_dual_mov_b32 v25, v13 :: v_dual_mov_b32 v24, v12
	s_and_saveexec_b32 s7, vcc_lo
	s_cbranch_execz .LBB49_21
; %bb.18:
	v_lshrrev_b32_e32 v14, 6, v28
	v_lshlrev_b64_e32 v[18:19], 3, v[0:1]
	v_mov_b32_e32 v16, 0
	v_mov_b32_e32 v20, 0
	s_delay_alu instid0(VALU_DEP_4) | instskip(SKIP_3) | instid1(VALU_DEP_4)
	v_dual_mov_b32 v21, 0 :: v_dual_add_nc_u32 v26, 1, v14
	v_dual_mov_b32 v14, 0 :: v_dual_mov_b32 v25, v13
	v_mov_b32_e32 v15, 0
	v_add_co_u32 v30, vcc_lo, s8, v18
	v_and_b32_e32 v26, 3, v26
	s_wait_alu 0xfffd
	v_add_co_ci_u32_e64 v31, null, s9, v19, vcc_lo
	v_mov_b32_e32 v18, 0
	v_dual_mov_b32 v24, v12 :: v_dual_mov_b32 v17, 0
	v_sub_co_u32 v32, s3, 0, v26
	v_mov_b32_e32 v27, v1
	s_wait_alu 0xf1ff
	v_sub_co_ci_u32_e64 v33, null, 0, 0, s3
	v_dual_mov_b32 v19, 0 :: v_dual_mov_b32 v26, v0
	s_mov_b32 s10, 0
.LBB49_19:                              ; =>This Inner Loop Header: Depth=1
	global_load_b64 v[63:64], v[30:31], off
	s_clause 0x6
	global_load_b128 v[35:38], v[24:25], off offset:48
	global_load_b128 v[39:42], v[24:25], off offset:32
	;; [unrolled: 1-line block ×3, first 2 shown]
	global_load_b128 v[47:50], v[24:25], off
	global_load_b128 v[51:54], v[24:25], off offset:112
	global_load_b128 v[55:58], v[24:25], off offset:96
	global_load_b128 v[59:62], v[24:25], off offset:80
	v_add_co_u32 v30, s3, 0x200, v30
	s_wait_alu 0xf1ff
	v_add_co_ci_u32_e64 v31, null, 0, v31, s3
	s_wait_loadcnt 0x7
	v_sub_co_u32 v63, vcc_lo, v63, v4
	s_wait_alu 0xfffd
	v_sub_co_ci_u32_e64 v64, null, v64, v5, vcc_lo
	s_delay_alu instid0(VALU_DEP_1) | instskip(SKIP_1) | instid1(VALU_DEP_1)
	v_lshlrev_b64_e32 v[63:64], 5, v[63:64]
	s_wait_kmcnt 0x0
	v_add_co_u32 v71, vcc_lo, s4, v63
	s_wait_alu 0xfffd
	s_delay_alu instid0(VALU_DEP_2)
	v_add_co_ci_u32_e64 v72, null, s5, v64, vcc_lo
	global_load_b128 v[63:66], v[24:25], off offset:64
	s_clause 0x1
	global_load_b128 v[67:70], v[71:72], off
	global_load_b128 v[71:74], v[71:72], off offset:16
	v_add_co_u32 v24, vcc_lo, 0x2000, v24
	s_wait_alu 0xfffd
	v_add_co_ci_u32_e64 v25, null, 0, v25, vcc_lo
	v_add_co_u32 v32, vcc_lo, v32, 1
	s_wait_alu 0xfffd
	v_add_co_ci_u32_e64 v33, null, 0, v33, vcc_lo
	;; [unrolled: 3-line block ×3, first 2 shown]
	s_delay_alu instid0(VALU_DEP_3)
	v_cmp_eq_u64_e32 vcc_lo, 0, v[32:33]
	s_wait_alu 0xfffe
	s_or_b32 s10, vcc_lo, s10
	s_wait_loadcnt 0x1
	v_fma_f64 v[18:19], v[47:48], v[67:68], v[18:19]
	v_fma_f64 v[20:21], v[39:40], v[67:68], v[20:21]
	;; [unrolled: 1-line block ×4, first 2 shown]
	s_delay_alu instid0(VALU_DEP_4) | instskip(NEXT) | instid1(VALU_DEP_4)
	v_fma_f64 v[18:19], v[49:50], v[69:70], v[18:19]
	v_fma_f64 v[20:21], v[41:42], v[69:70], v[20:21]
	s_delay_alu instid0(VALU_DEP_4) | instskip(NEXT) | instid1(VALU_DEP_4)
	v_fma_f64 v[16:17], v[65:66], v[69:70], v[16:17]
	v_fma_f64 v[14:15], v[57:58], v[69:70], v[14:15]
	s_wait_loadcnt 0x0
	s_delay_alu instid0(VALU_DEP_4) | instskip(NEXT) | instid1(VALU_DEP_4)
	v_fma_f64 v[18:19], v[43:44], v[71:72], v[18:19]
	v_fma_f64 v[20:21], v[35:36], v[71:72], v[20:21]
	s_delay_alu instid0(VALU_DEP_4) | instskip(NEXT) | instid1(VALU_DEP_4)
	v_fma_f64 v[16:17], v[59:60], v[71:72], v[16:17]
	v_fma_f64 v[14:15], v[51:52], v[71:72], v[14:15]
	;; [unrolled: 3-line block ×4, first 2 shown]
	s_wait_alu 0xfffe
	s_and_not1_b32 exec_lo, exec_lo, s10
	s_cbranch_execnz .LBB49_19
; %bb.20:
	s_or_b32 exec_lo, exec_lo, s10
.LBB49_21:
	s_wait_alu 0xfffe
	s_or_b32 exec_lo, exec_lo, s7
	s_delay_alu instid0(SALU_CYCLE_1)
	s_mov_b32 s7, exec_lo
	v_cmpx_lt_u64_e32 0xbf, v[28:29]
	s_cbranch_execz .LBB49_25
; %bb.22:
	v_lshlrev_b64_e32 v[28:29], 3, v[26:27]
	s_mov_b32 s10, 0
	s_delay_alu instid0(VALU_DEP_1) | instskip(SKIP_1) | instid1(VALU_DEP_2)
	v_add_co_u32 v28, vcc_lo, s8, v28
	s_wait_alu 0xfffd
	v_add_co_ci_u32_e64 v29, null, s9, v29, vcc_lo
	s_delay_alu instid0(VALU_DEP_2) | instskip(SKIP_1) | instid1(VALU_DEP_2)
	v_add_co_u32 v28, vcc_lo, 0x400, v28
	s_wait_alu 0xfffd
	v_add_co_ci_u32_e64 v29, null, 0, v29, vcc_lo
.LBB49_23:                              ; =>This Inner Loop Header: Depth=1
	s_clause 0x2
	global_load_b64 v[63:64], v[28:29], off offset:-1024
	global_load_b64 v[99:100], v[28:29], off offset:-512
	global_load_b64 v[139:140], v[28:29], off
	s_clause 0x7
	global_load_b128 v[30:33], v[24:25], off offset:48
	global_load_b128 v[35:38], v[24:25], off offset:32
	;; [unrolled: 1-line block ×3, first 2 shown]
	global_load_b128 v[43:46], v[24:25], off
	global_load_b128 v[47:50], v[24:25], off offset:112
	global_load_b128 v[51:54], v[24:25], off offset:96
	global_load_b128 v[55:58], v[24:25], off offset:80
	global_load_b128 v[59:62], v[24:25], off offset:64
	global_load_b64 v[147:148], v[28:29], off offset:512
	v_add_co_u32 v28, s3, 0x800, v28
	s_wait_alu 0xf1ff
	v_add_co_ci_u32_e64 v29, null, 0, v29, s3
	s_wait_loadcnt 0xb
	v_sub_co_u32 v63, vcc_lo, v63, v4
	s_wait_alu 0xfffd
	v_sub_co_ci_u32_e64 v64, null, v64, v5, vcc_lo
	s_delay_alu instid0(VALU_DEP_1) | instskip(SKIP_1) | instid1(VALU_DEP_1)
	v_lshlrev_b64_e32 v[63:64], 5, v[63:64]
	s_wait_kmcnt 0x0
	v_add_co_u32 v67, vcc_lo, s4, v63
	s_wait_alu 0xfffd
	s_delay_alu instid0(VALU_DEP_2)
	v_add_co_ci_u32_e64 v68, null, s5, v64, vcc_lo
	s_wait_loadcnt 0xa
	v_sub_co_u32 v99, vcc_lo, v99, v4
	s_wait_alu 0xfffd
	v_sub_co_ci_u32_e64 v100, null, v100, v5, vcc_lo
	s_clause 0x1
	global_load_b128 v[63:66], v[67:68], off
	global_load_b128 v[67:70], v[67:68], off offset:16
	s_clause 0x6
	global_load_b128 v[71:74], v[24:25], off offset:8240
	global_load_b128 v[75:78], v[24:25], off offset:8224
	;; [unrolled: 1-line block ×7, first 2 shown]
	v_lshlrev_b64_e32 v[99:100], 5, v[99:100]
	s_delay_alu instid0(VALU_DEP_1) | instskip(SKIP_1) | instid1(VALU_DEP_2)
	v_add_co_u32 v107, vcc_lo, s4, v99
	s_wait_alu 0xfffd
	v_add_co_ci_u32_e64 v108, null, s5, v100, vcc_lo
	global_load_b128 v[99:102], v[24:25], off offset:8256
	s_clause 0x1
	global_load_b128 v[103:106], v[107:108], off
	global_load_b128 v[107:110], v[107:108], off offset:16
	s_clause 0x6
	global_load_b128 v[111:114], v[24:25], off offset:16432
	global_load_b128 v[115:118], v[24:25], off offset:16416
	;; [unrolled: 1-line block ×7, first 2 shown]
	s_wait_loadcnt 0x1c
	v_sub_co_u32 v139, vcc_lo, v139, v4
	s_wait_alu 0xfffd
	v_sub_co_ci_u32_e64 v140, null, v140, v5, vcc_lo
	s_delay_alu instid0(VALU_DEP_1) | instskip(NEXT) | instid1(VALU_DEP_1)
	v_lshlrev_b64_e32 v[139:140], 5, v[139:140]
	v_add_co_u32 v149, vcc_lo, s4, v139
	s_wait_alu 0xfffd
	s_delay_alu instid0(VALU_DEP_2)
	v_add_co_ci_u32_e64 v150, null, s5, v140, vcc_lo
	global_load_b128 v[139:142], v[24:25], off offset:16448
	global_load_b128 v[143:146], v[149:150], off
	s_wait_loadcnt 0x14
	v_fma_f64 v[18:19], v[43:44], v[63:64], v[18:19]
	v_fma_f64 v[20:21], v[35:36], v[63:64], v[20:21]
	;; [unrolled: 1-line block ×4, first 2 shown]
	s_delay_alu instid0(VALU_DEP_4) | instskip(NEXT) | instid1(VALU_DEP_4)
	v_fma_f64 v[18:19], v[45:46], v[65:66], v[18:19]
	v_fma_f64 v[20:21], v[37:38], v[65:66], v[20:21]
	s_delay_alu instid0(VALU_DEP_4) | instskip(NEXT) | instid1(VALU_DEP_4)
	v_fma_f64 v[35:36], v[61:62], v[65:66], v[16:17]
	v_fma_f64 v[37:38], v[53:54], v[65:66], v[14:15]
	global_load_b128 v[14:17], v[149:150], off offset:16
	s_wait_loadcnt 0x14
	v_fma_f64 v[39:40], v[39:40], v[67:68], v[18:19]
	v_fma_f64 v[30:31], v[30:31], v[67:68], v[20:21]
	;; [unrolled: 1-line block ×4, first 2 shown]
	s_clause 0x4
	global_load_b128 v[18:21], v[24:25], off offset:24624
	global_load_b128 v[35:38], v[24:25], off offset:24608
	global_load_b128 v[43:46], v[24:25], off offset:24592
	global_load_b128 v[51:54], v[24:25], off offset:24576
	global_load_b128 v[59:62], v[24:25], off offset:24688
	v_fma_f64 v[63:64], v[41:42], v[69:70], v[39:40]
	v_fma_f64 v[65:66], v[32:33], v[69:70], v[30:31]
	;; [unrolled: 1-line block ×4, first 2 shown]
	v_sub_co_u32 v30, vcc_lo, v147, v4
	s_wait_alu 0xfffd
	v_sub_co_ci_u32_e64 v31, null, v148, v5, vcc_lo
	global_load_b128 v[39:42], v[24:25], off offset:24672
	v_lshlrev_b64_e32 v[30:31], 5, v[30:31]
	s_delay_alu instid0(VALU_DEP_1) | instskip(SKIP_1) | instid1(VALU_DEP_2)
	v_add_co_u32 v67, vcc_lo, s4, v30
	s_wait_alu 0xfffd
	v_add_co_ci_u32_e64 v68, null, s5, v31, vcc_lo
	global_load_b128 v[30:33], v[24:25], off offset:24640
	global_load_b128 v[47:50], v[67:68], off
	v_add_co_u32 v26, vcc_lo, 0x100, v26
	s_wait_alu 0xfffd
	v_add_co_ci_u32_e64 v27, null, 0, v27, vcc_lo
	s_wait_loadcnt 0x13
	v_fma_f64 v[63:64], v[83:84], v[103:104], v[63:64]
	v_fma_f64 v[65:66], v[75:76], v[103:104], v[65:66]
	;; [unrolled: 1-line block ×4, first 2 shown]
	s_delay_alu instid0(VALU_DEP_4) | instskip(NEXT) | instid1(VALU_DEP_4)
	v_fma_f64 v[69:70], v[85:86], v[105:106], v[63:64]
	v_fma_f64 v[75:76], v[77:78], v[105:106], v[65:66]
	s_delay_alu instid0(VALU_DEP_4) | instskip(NEXT) | instid1(VALU_DEP_4)
	v_fma_f64 v[77:78], v[101:102], v[105:106], v[55:56]
	v_fma_f64 v[83:84], v[93:94], v[105:106], v[57:58]
	global_load_b128 v[55:58], v[24:25], off offset:24656
	global_load_b128 v[63:66], v[67:68], off offset:16
	v_add_co_u32 v24, vcc_lo, 0x8000, v24
	s_wait_alu 0xfffd
	v_add_co_ci_u32_e64 v25, null, 0, v25, vcc_lo
	v_cmp_ge_i64_e32 vcc_lo, v[26:27], v[6:7]
	s_wait_alu 0xfffe
	s_or_b32 s10, vcc_lo, s10
	s_wait_loadcnt 0x14
	v_fma_f64 v[67:68], v[79:80], v[107:108], v[69:70]
	v_fma_f64 v[69:70], v[71:72], v[107:108], v[75:76]
	;; [unrolled: 1-line block ×4, first 2 shown]
	s_delay_alu instid0(VALU_DEP_4) | instskip(NEXT) | instid1(VALU_DEP_4)
	v_fma_f64 v[67:68], v[81:82], v[109:110], v[67:68]
	v_fma_f64 v[69:70], v[73:74], v[109:110], v[69:70]
	s_delay_alu instid0(VALU_DEP_4) | instskip(NEXT) | instid1(VALU_DEP_4)
	v_fma_f64 v[71:72], v[97:98], v[109:110], v[71:72]
	v_fma_f64 v[73:74], v[89:90], v[109:110], v[75:76]
	s_wait_loadcnt 0xb
	s_delay_alu instid0(VALU_DEP_4) | instskip(NEXT) | instid1(VALU_DEP_4)
	v_fma_f64 v[67:68], v[123:124], v[143:144], v[67:68]
	v_fma_f64 v[69:70], v[115:116], v[143:144], v[69:70]
	s_delay_alu instid0(VALU_DEP_4) | instskip(NEXT) | instid1(VALU_DEP_4)
	v_fma_f64 v[71:72], v[139:140], v[143:144], v[71:72]
	v_fma_f64 v[73:74], v[131:132], v[143:144], v[73:74]
	s_delay_alu instid0(VALU_DEP_4) | instskip(NEXT) | instid1(VALU_DEP_4)
	v_fma_f64 v[67:68], v[125:126], v[145:146], v[67:68]
	v_fma_f64 v[69:70], v[117:118], v[145:146], v[69:70]
	s_delay_alu instid0(VALU_DEP_4) | instskip(NEXT) | instid1(VALU_DEP_4)
	v_fma_f64 v[71:72], v[141:142], v[145:146], v[71:72]
	v_fma_f64 v[73:74], v[133:134], v[145:146], v[73:74]
	s_wait_loadcnt 0xa
	s_delay_alu instid0(VALU_DEP_4) | instskip(NEXT) | instid1(VALU_DEP_4)
	v_fma_f64 v[67:68], v[119:120], v[14:15], v[67:68]
	v_fma_f64 v[69:70], v[111:112], v[14:15], v[69:70]
	s_delay_alu instid0(VALU_DEP_4) | instskip(NEXT) | instid1(VALU_DEP_4)
	v_fma_f64 v[71:72], v[135:136], v[14:15], v[71:72]
	v_fma_f64 v[14:15], v[127:128], v[14:15], v[73:74]
	;; [unrolled: 13-line block ×4, first 2 shown]
	s_delay_alu instid0(VALU_DEP_4) | instskip(NEXT) | instid1(VALU_DEP_4)
	v_fma_f64 v[18:19], v[45:46], v[65:66], v[16:17]
	v_fma_f64 v[20:21], v[20:21], v[65:66], v[32:33]
	s_delay_alu instid0(VALU_DEP_4) | instskip(NEXT) | instid1(VALU_DEP_4)
	v_fma_f64 v[16:17], v[57:58], v[65:66], v[30:31]
	v_fma_f64 v[14:15], v[61:62], v[65:66], v[14:15]
	s_wait_alu 0xfffe
	s_and_not1_b32 exec_lo, exec_lo, s10
	s_cbranch_execnz .LBB49_23
; %bb.24:
	s_or_b32 exec_lo, exec_lo, s10
.LBB49_25:
	s_wait_alu 0xfffe
	s_or_b32 exec_lo, exec_lo, s7
.LBB49_26:
	s_wait_alu 0xfffe
	s_or_b32 exec_lo, exec_lo, s6
	s_cbranch_execz .LBB49_28
	s_branch .LBB49_39
.LBB49_27:
                                        ; implicit-def: $vgpr14_vgpr15
                                        ; implicit-def: $vgpr16_vgpr17
                                        ; implicit-def: $vgpr20_vgpr21
                                        ; implicit-def: $vgpr18_vgpr19
.LBB49_28:
	v_mov_b32_e32 v14, 0
	v_dual_mov_b32 v20, 0 :: v_dual_mov_b32 v15, 0
	v_dual_mov_b32 v16, 0 :: v_dual_mov_b32 v21, 0
	;; [unrolled: 1-line block ×3, first 2 shown]
	v_mov_b32_e32 v19, 0
	s_and_saveexec_b32 s3, s2
	s_cbranch_execz .LBB49_38
; %bb.29:
	v_or_b32_e32 v14, 64, v34
	v_not_b32_e32 v17, v22
	v_sub_co_u32 v18, s2, v4, v34
	v_not_b32_e32 v16, v23
	s_delay_alu instid0(VALU_DEP_4)
	v_sub_co_u32 v14, vcc_lo, v14, v4
	s_wait_alu 0xfffd
	v_sub_co_ci_u32_e64 v15, null, 0, v5, vcc_lo
	s_wait_alu 0xf1ff
	v_subrev_co_ci_u32_e64 v19, null, 0, v5, s2
	v_add_co_u32 v14, vcc_lo, v14, v22
	s_wait_alu 0xfffd
	v_add_co_ci_u32_e64 v15, null, v15, v23, vcc_lo
	s_delay_alu instid0(VALU_DEP_1)
	v_cmp_gt_i64_e32 vcc_lo, v[14:15], v[6:7]
	s_wait_alu 0xfffd
	v_cndmask_b32_e32 v20, v7, v15, vcc_lo
	v_cndmask_b32_e32 v14, v6, v14, vcc_lo
	v_add_co_u32 v15, vcc_lo, v18, v17
	s_wait_alu 0xfffd
	v_add_co_ci_u32_e64 v16, null, v19, v16, vcc_lo
	v_mov_b32_e32 v18, 0
	v_mov_b32_e32 v19, 0
	v_add_co_u32 v22, vcc_lo, v15, v14
	v_mov_b32_e32 v15, 0
	s_wait_alu 0xfffd
	v_add_co_ci_u32_e64 v23, null, v16, v20, vcc_lo
	s_delay_alu instid0(VALU_DEP_3) | instskip(SKIP_3) | instid1(VALU_DEP_4)
	v_and_b32_e32 v14, 0xc0, v22
	v_mov_b32_e32 v20, 0
	v_dual_mov_b32 v21, 0 :: v_dual_mov_b32 v16, 0
	v_mov_b32_e32 v17, 0
	v_cmp_ne_u64_e32 vcc_lo, 0xc0, v[14:15]
	v_mov_b32_e32 v14, 0
	v_mov_b32_e32 v15, 0
	s_and_saveexec_b32 s6, vcc_lo
	s_cbranch_execz .LBB49_33
; %bb.30:
	v_lshrrev_b32_e32 v14, 6, v22
	v_lshlrev_b64_e32 v[24:25], 3, v[0:1]
	v_mov_b32_e32 v16, 0
	v_mov_b32_e32 v20, 0
	;; [unrolled: 1-line block ×3, first 2 shown]
	v_add_nc_u32_e32 v26, 1, v14
	v_dual_mov_b32 v14, 0 :: v_dual_mov_b32 v17, 0
	v_mov_b32_e32 v15, 0
	v_add_co_u32 v24, vcc_lo, s8, v24
	s_delay_alu instid0(VALU_DEP_4) | instskip(SKIP_3) | instid1(VALU_DEP_3)
	v_dual_mov_b32 v21, 0 :: v_dual_and_b32 v26, 3, v26
	v_mov_b32_e32 v19, 0
	s_wait_alu 0xfffd
	v_add_co_ci_u32_e64 v25, null, s9, v25, vcc_lo
	v_sub_co_u32 v26, s2, 0, v26
	s_wait_alu 0xf1ff
	v_sub_co_ci_u32_e64 v27, null, 0, 0, s2
	s_mov_b32 s7, 0
.LBB49_31:                              ; =>This Inner Loop Header: Depth=1
	global_load_b64 v[32:33], v[24:25], off
	global_load_b128 v[28:31], v[12:13], off offset:16
	v_add_co_u32 v24, s2, 0x200, v24
	s_wait_alu 0xf1ff
	v_add_co_ci_u32_e64 v25, null, 0, v25, s2
	s_wait_loadcnt 0x1
	v_sub_co_u32 v32, vcc_lo, v32, v4
	s_wait_alu 0xfffd
	v_sub_co_ci_u32_e64 v33, null, v33, v5, vcc_lo
	s_delay_alu instid0(VALU_DEP_1) | instskip(SKIP_1) | instid1(VALU_DEP_1)
	v_lshlrev_b64_e32 v[32:33], 5, v[32:33]
	s_wait_kmcnt 0x0
	v_add_co_u32 v32, vcc_lo, s4, v32
	s_wait_alu 0xfffd
	s_delay_alu instid0(VALU_DEP_2)
	v_add_co_ci_u32_e64 v33, null, s5, v33, vcc_lo
	global_load_b128 v[35:38], v[12:13], off
	s_clause 0x1
	global_load_b128 v[39:42], v[32:33], off
	global_load_b128 v[43:46], v[32:33], off offset:16
	s_clause 0x5
	global_load_b128 v[47:50], v[12:13], off offset:32
	global_load_b128 v[51:54], v[12:13], off offset:48
	;; [unrolled: 1-line block ×6, first 2 shown]
	v_add_co_u32 v12, vcc_lo, 0x2000, v12
	s_wait_alu 0xfffd
	v_add_co_ci_u32_e64 v13, null, 0, v13, vcc_lo
	v_add_co_u32 v26, vcc_lo, v26, 1
	s_wait_alu 0xfffd
	v_add_co_ci_u32_e64 v27, null, 0, v27, vcc_lo
	;; [unrolled: 3-line block ×3, first 2 shown]
	s_delay_alu instid0(VALU_DEP_3)
	v_cmp_eq_u64_e32 vcc_lo, 0, v[26:27]
	s_wait_alu 0xfffe
	s_or_b32 s7, vcc_lo, s7
	s_wait_loadcnt 0x7
	v_fma_f64 v[18:19], v[35:36], v[39:40], v[18:19]
	v_fma_f64 v[20:21], v[37:38], v[39:40], v[20:21]
	v_fma_f64 v[16:17], v[28:29], v[39:40], v[16:17]
	v_fma_f64 v[14:15], v[30:31], v[39:40], v[14:15]
	s_wait_loadcnt 0x5
	s_delay_alu instid0(VALU_DEP_4) | instskip(NEXT) | instid1(VALU_DEP_4)
	v_fma_f64 v[18:19], v[47:48], v[41:42], v[18:19]
	v_fma_f64 v[20:21], v[49:50], v[41:42], v[20:21]
	s_wait_loadcnt 0x4
	s_delay_alu instid0(VALU_DEP_4) | instskip(NEXT) | instid1(VALU_DEP_4)
	v_fma_f64 v[16:17], v[51:52], v[41:42], v[16:17]
	v_fma_f64 v[14:15], v[53:54], v[41:42], v[14:15]
	;; [unrolled: 4-line block ×6, first 2 shown]
	s_wait_alu 0xfffe
	s_and_not1_b32 exec_lo, exec_lo, s7
	s_cbranch_execnz .LBB49_31
; %bb.32:
	s_or_b32 exec_lo, exec_lo, s7
.LBB49_33:
	s_wait_alu 0xfffe
	s_or_b32 exec_lo, exec_lo, s6
	s_delay_alu instid0(SALU_CYCLE_1)
	s_mov_b32 s6, exec_lo
	v_cmpx_lt_u64_e32 0xbf, v[22:23]
	s_cbranch_execz .LBB49_37
; %bb.34:
	v_lshlrev_b64_e32 v[22:23], 3, v[0:1]
	s_mov_b32 s7, 0
	s_delay_alu instid0(VALU_DEP_1) | instskip(SKIP_1) | instid1(VALU_DEP_2)
	v_add_co_u32 v22, vcc_lo, s8, v22
	s_wait_alu 0xfffd
	v_add_co_ci_u32_e64 v23, null, s9, v23, vcc_lo
	s_delay_alu instid0(VALU_DEP_2) | instskip(SKIP_1) | instid1(VALU_DEP_2)
	v_add_co_u32 v22, vcc_lo, 0x400, v22
	s_wait_alu 0xfffd
	v_add_co_ci_u32_e64 v23, null, 0, v23, vcc_lo
.LBB49_35:                              ; =>This Inner Loop Header: Depth=1
	s_clause 0x2
	global_load_b64 v[32:33], v[22:23], off offset:-1024
	global_load_b64 v[71:72], v[22:23], off offset:-512
	global_load_b64 v[111:112], v[22:23], off
	s_clause 0x1
	global_load_b128 v[24:27], v[12:13], off offset:16
	global_load_b128 v[28:31], v[12:13], off
	global_load_b64 v[119:120], v[22:23], off offset:512
	v_add_co_u32 v22, s2, 0x800, v22
	s_wait_alu 0xf1ff
	v_add_co_ci_u32_e64 v23, null, 0, v23, s2
	s_wait_loadcnt 0x5
	v_sub_co_u32 v32, vcc_lo, v32, v4
	s_wait_alu 0xfffd
	v_sub_co_ci_u32_e64 v33, null, v33, v5, vcc_lo
	s_delay_alu instid0(VALU_DEP_1) | instskip(SKIP_1) | instid1(VALU_DEP_1)
	v_lshlrev_b64_e32 v[32:33], 5, v[32:33]
	s_wait_kmcnt 0x0
	v_add_co_u32 v32, vcc_lo, s4, v32
	s_wait_alu 0xfffd
	s_delay_alu instid0(VALU_DEP_2)
	v_add_co_ci_u32_e64 v33, null, s5, v33, vcc_lo
	global_load_b128 v[35:38], v[32:33], off
	s_clause 0x3
	global_load_b128 v[39:42], v[12:13], off offset:32
	global_load_b128 v[43:46], v[12:13], off offset:48
	;; [unrolled: 1-line block ×5, first 2 shown]
	s_clause 0x2
	global_load_b128 v[59:62], v[12:13], off offset:96
	global_load_b128 v[63:66], v[12:13], off offset:112
	;; [unrolled: 1-line block ×3, first 2 shown]
	s_wait_loadcnt 0xd
	v_sub_co_u32 v32, vcc_lo, v71, v4
	s_wait_alu 0xfffd
	v_sub_co_ci_u32_e64 v33, null, v72, v5, vcc_lo
	s_delay_alu instid0(VALU_DEP_1) | instskip(NEXT) | instid1(VALU_DEP_1)
	v_lshlrev_b64_e32 v[32:33], 5, v[32:33]
	v_add_co_u32 v32, vcc_lo, s4, v32
	s_wait_alu 0xfffd
	s_delay_alu instid0(VALU_DEP_2)
	v_add_co_ci_u32_e64 v33, null, s5, v33, vcc_lo
	global_load_b128 v[71:74], v[12:13], off offset:8192
	global_load_b128 v[75:78], v[32:33], off
	s_clause 0x3
	global_load_b128 v[79:82], v[12:13], off offset:8224
	global_load_b128 v[83:86], v[12:13], off offset:8240
	;; [unrolled: 1-line block ×5, first 2 shown]
	s_clause 0x2
	global_load_b128 v[99:102], v[12:13], off offset:8288
	global_load_b128 v[103:106], v[12:13], off offset:8304
	;; [unrolled: 1-line block ×3, first 2 shown]
	s_wait_loadcnt 0x16
	v_sub_co_u32 v32, vcc_lo, v111, v4
	s_wait_alu 0xfffd
	v_sub_co_ci_u32_e64 v33, null, v112, v5, vcc_lo
	s_delay_alu instid0(VALU_DEP_1) | instskip(NEXT) | instid1(VALU_DEP_1)
	v_lshlrev_b64_e32 v[32:33], 5, v[32:33]
	v_add_co_u32 v32, vcc_lo, s4, v32
	s_wait_alu 0xfffd
	s_delay_alu instid0(VALU_DEP_2)
	v_add_co_ci_u32_e64 v33, null, s5, v33, vcc_lo
	global_load_b128 v[111:114], v[12:13], off offset:16384
	global_load_b128 v[115:118], v[32:33], off
	s_wait_loadcnt 0x14
	v_fma_f64 v[28:29], v[28:29], v[35:36], v[18:19]
	v_fma_f64 v[30:31], v[30:31], v[35:36], v[20:21]
	v_fma_f64 v[24:25], v[24:25], v[35:36], v[16:17]
	v_fma_f64 v[26:27], v[26:27], v[35:36], v[14:15]
	s_clause 0x1
	global_load_b128 v[14:17], v[12:13], off offset:16416
	global_load_b128 v[18:21], v[12:13], off offset:16432
	s_wait_loadcnt 0x15
	v_fma_f64 v[39:40], v[39:40], v[37:38], v[28:29]
	v_fma_f64 v[41:42], v[41:42], v[37:38], v[30:31]
	s_wait_loadcnt 0x14
	v_fma_f64 v[43:44], v[43:44], v[37:38], v[24:25]
	v_fma_f64 v[45:46], v[45:46], v[37:38], v[26:27]
	s_clause 0x1
	global_load_b128 v[24:27], v[12:13], off offset:16464
	global_load_b128 v[28:31], v[12:13], off offset:16448
	;; [unrolled: 1-line block ×3, first 2 shown]
	s_wait_loadcnt 0x14
	v_fma_f64 v[32:33], v[47:48], v[55:56], v[39:40]
	v_fma_f64 v[121:122], v[49:50], v[55:56], v[41:42]
	;; [unrolled: 1-line block ×4, first 2 shown]
	s_clause 0x2
	global_load_b128 v[39:42], v[12:13], off offset:16480
	global_load_b128 v[43:46], v[12:13], off offset:16496
	global_load_b128 v[47:50], v[12:13], off offset:24592
	v_sub_co_u32 v55, vcc_lo, v119, v4
	s_wait_alu 0xfffd
	v_sub_co_ci_u32_e64 v56, null, v120, v5, vcc_lo
	s_wait_loadcnt 0x16
	v_fma_f64 v[32:33], v[59:60], v[57:58], v[32:33]
	v_fma_f64 v[59:60], v[61:62], v[57:58], v[121:122]
	s_wait_loadcnt 0x15
	v_fma_f64 v[61:62], v[63:64], v[57:58], v[51:52]
	v_fma_f64 v[63:64], v[65:66], v[57:58], v[53:54]
	v_lshlrev_b64_e32 v[51:52], 5, v[55:56]
	s_delay_alu instid0(VALU_DEP_1) | instskip(SKIP_1) | instid1(VALU_DEP_2)
	v_add_co_u32 v119, vcc_lo, s4, v51
	s_wait_alu 0xfffd
	v_add_co_ci_u32_e64 v120, null, s5, v52, vcc_lo
	global_load_b128 v[51:54], v[12:13], off offset:24576
	global_load_b128 v[55:58], v[119:120], off
	v_add_co_u32 v0, vcc_lo, 0x100, v0
	s_wait_alu 0xfffd
	v_add_co_ci_u32_e64 v1, null, 0, v1, vcc_lo
	s_wait_loadcnt 0x14
	v_fma_f64 v[32:33], v[71:72], v[75:76], v[32:33]
	v_fma_f64 v[71:72], v[73:74], v[75:76], v[59:60]
	;; [unrolled: 1-line block ×4, first 2 shown]
	s_clause 0x1
	global_load_b128 v[59:62], v[12:13], off offset:24608
	global_load_b128 v[63:66], v[12:13], off offset:24624
	s_wait_loadcnt 0x15
	v_fma_f64 v[32:33], v[79:80], v[77:78], v[32:33]
	v_fma_f64 v[79:80], v[81:82], v[77:78], v[71:72]
	s_wait_loadcnt 0x14
	v_fma_f64 v[81:82], v[83:84], v[77:78], v[67:68]
	v_fma_f64 v[83:84], v[85:86], v[77:78], v[69:70]
	s_clause 0x1
	global_load_b128 v[67:70], v[12:13], off offset:24640
	global_load_b128 v[71:74], v[12:13], off offset:24656
	;; [unrolled: 1-line block ×3, first 2 shown]
	s_wait_loadcnt 0x14
	v_fma_f64 v[32:33], v[87:88], v[95:96], v[32:33]
	v_fma_f64 v[87:88], v[89:90], v[95:96], v[79:80]
	;; [unrolled: 1-line block ×4, first 2 shown]
	s_clause 0x1
	global_load_b128 v[79:82], v[12:13], off offset:24672
	global_load_b128 v[83:86], v[12:13], off offset:24688
	v_add_co_u32 v12, vcc_lo, 0x8000, v12
	s_wait_alu 0xfffd
	v_add_co_ci_u32_e64 v13, null, 0, v13, vcc_lo
	v_cmp_ge_i64_e32 vcc_lo, v[0:1], v[6:7]
	s_wait_alu 0xfffe
	s_or_b32 s7, vcc_lo, s7
	s_wait_loadcnt 0x15
	v_fma_f64 v[32:33], v[99:100], v[97:98], v[32:33]
	v_fma_f64 v[87:88], v[101:102], v[97:98], v[87:88]
	s_wait_loadcnt 0x14
	v_fma_f64 v[89:90], v[103:104], v[97:98], v[89:90]
	v_fma_f64 v[91:92], v[105:106], v[97:98], v[91:92]
	s_wait_loadcnt 0x11
	s_delay_alu instid0(VALU_DEP_4) | instskip(NEXT) | instid1(VALU_DEP_4)
	v_fma_f64 v[32:33], v[111:112], v[115:116], v[32:33]
	v_fma_f64 v[87:88], v[113:114], v[115:116], v[87:88]
	s_delay_alu instid0(VALU_DEP_4) | instskip(NEXT) | instid1(VALU_DEP_4)
	v_fma_f64 v[89:90], v[107:108], v[115:116], v[89:90]
	v_fma_f64 v[91:92], v[109:110], v[115:116], v[91:92]
	s_wait_loadcnt 0x10
	s_delay_alu instid0(VALU_DEP_4) | instskip(NEXT) | instid1(VALU_DEP_4)
	v_fma_f64 v[14:15], v[14:15], v[117:118], v[32:33]
	v_fma_f64 v[16:17], v[16:17], v[117:118], v[87:88]
	s_wait_loadcnt 0xf
	s_delay_alu instid0(VALU_DEP_4) | instskip(NEXT) | instid1(VALU_DEP_4)
	v_fma_f64 v[18:19], v[18:19], v[117:118], v[89:90]
	v_fma_f64 v[20:21], v[20:21], v[117:118], v[91:92]
	s_wait_loadcnt 0xc
	s_delay_alu instid0(VALU_DEP_4) | instskip(NEXT) | instid1(VALU_DEP_4)
	v_fma_f64 v[14:15], v[28:29], v[35:36], v[14:15]
	v_fma_f64 v[16:17], v[30:31], v[35:36], v[16:17]
	s_delay_alu instid0(VALU_DEP_4) | instskip(NEXT) | instid1(VALU_DEP_4)
	v_fma_f64 v[18:19], v[24:25], v[35:36], v[18:19]
	v_fma_f64 v[20:21], v[26:27], v[35:36], v[20:21]
	s_wait_loadcnt 0xb
	s_delay_alu instid0(VALU_DEP_4) | instskip(NEXT) | instid1(VALU_DEP_4)
	v_fma_f64 v[14:15], v[39:40], v[37:38], v[14:15]
	v_fma_f64 v[16:17], v[41:42], v[37:38], v[16:17]
	s_wait_loadcnt 0xa
	s_delay_alu instid0(VALU_DEP_4) | instskip(NEXT) | instid1(VALU_DEP_4)
	;; [unrolled: 15-line block ×4, first 2 shown]
	v_fma_f64 v[16:17], v[83:84], v[77:78], v[24:25]
	v_fma_f64 v[14:15], v[85:86], v[77:78], v[26:27]
	s_wait_alu 0xfffe
	s_and_not1_b32 exec_lo, exec_lo, s7
	s_cbranch_execnz .LBB49_35
; %bb.36:
	s_or_b32 exec_lo, exec_lo, s7
.LBB49_37:
	s_wait_alu 0xfffe
	s_or_b32 exec_lo, exec_lo, s6
.LBB49_38:
	s_wait_alu 0xfffe
	s_or_b32 exec_lo, exec_lo, s3
.LBB49_39:
	v_mbcnt_lo_u32_b32 v24, -1, 0
	s_delay_alu instid0(VALU_DEP_1) | instskip(NEXT) | instid1(VALU_DEP_1)
	v_or_b32_e32 v0, 32, v24
	v_cmp_gt_i32_e32 vcc_lo, 32, v0
	s_wait_alu 0xfffd
	v_cndmask_b32_e32 v0, v24, v0, vcc_lo
	s_delay_alu instid0(VALU_DEP_1)
	v_lshlrev_b32_e32 v13, 2, v0
	ds_bpermute_b32 v0, v13, v18
	ds_bpermute_b32 v1, v13, v19
	;; [unrolled: 1-line block ×8, first 2 shown]
	s_wait_dscnt 0x6
	v_add_f64_e32 v[0:1], v[18:19], v[0:1]
	s_wait_dscnt 0x4
	v_add_f64_e32 v[4:5], v[20:21], v[4:5]
	;; [unrolled: 2-line block ×4, first 2 shown]
	v_xor_b32_e32 v14, 16, v24
	s_delay_alu instid0(VALU_DEP_1) | instskip(SKIP_2) | instid1(VALU_DEP_1)
	v_cmp_gt_i32_e32 vcc_lo, 32, v14
	s_wait_alu 0xfffd
	v_cndmask_b32_e32 v14, v24, v14, vcc_lo
	v_lshlrev_b32_e32 v21, 2, v14
	ds_bpermute_b32 v14, v21, v0
	ds_bpermute_b32 v15, v21, v1
	;; [unrolled: 1-line block ×8, first 2 shown]
	s_wait_dscnt 0x6
	v_add_f64_e32 v[0:1], v[0:1], v[14:15]
	v_xor_b32_e32 v14, 8, v24
	s_wait_dscnt 0x4
	v_add_f64_e32 v[4:5], v[4:5], v[16:17]
	s_wait_dscnt 0x2
	v_add_f64_e32 v[6:7], v[6:7], v[18:19]
	;; [unrolled: 2-line block ×3, first 2 shown]
	v_cmp_gt_i32_e32 vcc_lo, 32, v14
	s_wait_alu 0xfffd
	v_cndmask_b32_e32 v14, v24, v14, vcc_lo
	s_delay_alu instid0(VALU_DEP_1)
	v_lshlrev_b32_e32 v21, 2, v14
	ds_bpermute_b32 v14, v21, v0
	ds_bpermute_b32 v15, v21, v1
	;; [unrolled: 1-line block ×8, first 2 shown]
	s_wait_dscnt 0x6
	v_add_f64_e32 v[0:1], v[0:1], v[14:15]
	v_xor_b32_e32 v14, 4, v24
	s_wait_dscnt 0x4
	v_add_f64_e32 v[4:5], v[4:5], v[16:17]
	s_wait_dscnt 0x2
	v_add_f64_e32 v[6:7], v[6:7], v[18:19]
	;; [unrolled: 2-line block ×3, first 2 shown]
	v_cmp_gt_i32_e32 vcc_lo, 32, v14
	s_wait_alu 0xfffd
	v_cndmask_b32_e32 v14, v24, v14, vcc_lo
	s_delay_alu instid0(VALU_DEP_1)
	v_lshlrev_b32_e32 v21, 2, v14
	ds_bpermute_b32 v14, v21, v0
	ds_bpermute_b32 v15, v21, v1
	;; [unrolled: 1-line block ×8, first 2 shown]
	s_wait_dscnt 0x6
	v_add_f64_e32 v[0:1], v[0:1], v[14:15]
	s_wait_dscnt 0x4
	v_add_f64_e32 v[4:5], v[4:5], v[16:17]
	;; [unrolled: 2-line block ×3, first 2 shown]
	v_xor_b32_e32 v6, 2, v24
	s_wait_dscnt 0x0
	v_add_f64_e32 v[16:17], v[12:13], v[20:21]
	s_delay_alu instid0(VALU_DEP_2) | instskip(SKIP_2) | instid1(VALU_DEP_1)
	v_cmp_gt_i32_e32 vcc_lo, 32, v6
	s_wait_alu 0xfffd
	v_cndmask_b32_e32 v6, v24, v6, vcc_lo
	v_lshlrev_b32_e32 v12, 2, v6
	ds_bpermute_b32 v6, v12, v0
	ds_bpermute_b32 v7, v12, v1
	;; [unrolled: 1-line block ×8, first 2 shown]
	s_wait_dscnt 0x6
	v_add_f64_e32 v[12:13], v[0:1], v[6:7]
	s_wait_dscnt 0x4
	v_add_f64_e32 v[6:7], v[4:5], v[18:19]
	;; [unrolled: 2-line block ×3, first 2 shown]
	v_xor_b32_e32 v14, 1, v24
	s_wait_dscnt 0x0
	v_add_f64_e32 v[4:5], v[16:17], v[22:23]
	s_delay_alu instid0(VALU_DEP_2) | instskip(SKIP_3) | instid1(VALU_DEP_2)
	v_cmp_gt_i32_e32 vcc_lo, 32, v14
	s_wait_alu 0xfffd
	v_cndmask_b32_e32 v14, v24, v14, vcc_lo
	v_cmp_eq_u32_e32 vcc_lo, 63, v34
	v_lshlrev_b32_e32 v15, 2, v14
	ds_bpermute_b32 v20, v15, v12
	ds_bpermute_b32 v21, v15, v13
	;; [unrolled: 1-line block ×8, first 2 shown]
	s_and_b32 exec_lo, exec_lo, vcc_lo
	s_cbranch_execz .LBB49_10
; %bb.40:
	s_wait_dscnt 0x6
	v_add_f64_e32 v[12:13], v[12:13], v[20:21]
	s_wait_dscnt 0x4
	v_add_f64_e32 v[6:7], v[6:7], v[18:19]
	;; [unrolled: 2-line block ×4, first 2 shown]
	s_load_b64 s[0:1], s[0:1], 0x58
	v_lshlrev_b64_e32 v[10:11], 5, v[10:11]
	s_mov_b32 s2, exec_lo
	v_mul_f64_e32 v[4:5], v[2:3], v[12:13]
	v_mul_f64_e32 v[6:7], v[2:3], v[6:7]
	;; [unrolled: 1-line block ×4, first 2 shown]
	v_cmpx_eq_f64_e32 0, v[8:9]
	s_wait_alu 0xfffe
	s_xor_b32 s2, exec_lo, s2
	s_cbranch_execz .LBB49_42
; %bb.41:
	s_wait_kmcnt 0x0
	v_add_co_u32 v8, vcc_lo, s0, v10
	s_wait_alu 0xfffd
	v_add_co_ci_u32_e64 v9, null, s1, v11, vcc_lo
                                        ; implicit-def: $vgpr10_vgpr11
	s_clause 0x1
	global_store_b128 v[8:9], v[4:7], off
	global_store_b128 v[8:9], v[0:3], off offset:16
                                        ; implicit-def: $vgpr8_vgpr9
                                        ; implicit-def: $vgpr4_vgpr5
                                        ; implicit-def: $vgpr0_vgpr1
.LBB49_42:
	s_wait_alu 0xfffe
	s_and_not1_saveexec_b32 s2, s2
	s_cbranch_execz .LBB49_10
; %bb.43:
	s_wait_kmcnt 0x0
	v_add_co_u32 v18, vcc_lo, s0, v10
	s_wait_alu 0xfffd
	v_add_co_ci_u32_e64 v19, null, s1, v11, vcc_lo
	s_clause 0x1
	global_load_b128 v[10:13], v[18:19], off
	global_load_b128 v[14:17], v[18:19], off offset:16
	s_wait_loadcnt 0x1
	v_fma_f64 v[4:5], v[8:9], v[10:11], v[4:5]
	v_fma_f64 v[6:7], v[8:9], v[12:13], v[6:7]
	s_wait_loadcnt 0x0
	v_fma_f64 v[0:1], v[8:9], v[14:15], v[0:1]
	v_fma_f64 v[2:3], v[8:9], v[16:17], v[2:3]
	s_clause 0x1
	global_store_b128 v[18:19], v[4:7], off
	global_store_b128 v[18:19], v[0:3], off offset:16
	s_nop 0
	s_sendmsg sendmsg(MSG_DEALLOC_VGPRS)
	s_endpgm
	.section	.rodata,"a",@progbits
	.p2align	6, 0x0
	.amdhsa_kernel _ZN9rocsparseL18bsrxmvn_4x4_kernelILj128ELj64EdlldddEEvT3_20rocsparse_direction_NS_24const_host_device_scalarIT1_EES1_PKS1_PKT2_SA_S7_PKT4_PKT5_S5_PT6_21rocsparse_index_base_b
		.amdhsa_group_segment_fixed_size 0
		.amdhsa_private_segment_fixed_size 0
		.amdhsa_kernarg_size 104
		.amdhsa_user_sgpr_count 2
		.amdhsa_user_sgpr_dispatch_ptr 0
		.amdhsa_user_sgpr_queue_ptr 0
		.amdhsa_user_sgpr_kernarg_segment_ptr 1
		.amdhsa_user_sgpr_dispatch_id 0
		.amdhsa_user_sgpr_private_segment_size 0
		.amdhsa_wavefront_size32 1
		.amdhsa_uses_dynamic_stack 0
		.amdhsa_enable_private_segment 0
		.amdhsa_system_sgpr_workgroup_id_x 1
		.amdhsa_system_sgpr_workgroup_id_y 0
		.amdhsa_system_sgpr_workgroup_id_z 0
		.amdhsa_system_sgpr_workgroup_info 0
		.amdhsa_system_vgpr_workitem_id 0
		.amdhsa_next_free_vgpr 151
		.amdhsa_next_free_sgpr 12
		.amdhsa_reserve_vcc 1
		.amdhsa_float_round_mode_32 0
		.amdhsa_float_round_mode_16_64 0
		.amdhsa_float_denorm_mode_32 3
		.amdhsa_float_denorm_mode_16_64 3
		.amdhsa_fp16_overflow 0
		.amdhsa_workgroup_processor_mode 1
		.amdhsa_memory_ordered 1
		.amdhsa_forward_progress 1
		.amdhsa_inst_pref_size 52
		.amdhsa_round_robin_scheduling 0
		.amdhsa_exception_fp_ieee_invalid_op 0
		.amdhsa_exception_fp_denorm_src 0
		.amdhsa_exception_fp_ieee_div_zero 0
		.amdhsa_exception_fp_ieee_overflow 0
		.amdhsa_exception_fp_ieee_underflow 0
		.amdhsa_exception_fp_ieee_inexact 0
		.amdhsa_exception_int_div_zero 0
	.end_amdhsa_kernel
	.section	.text._ZN9rocsparseL18bsrxmvn_4x4_kernelILj128ELj64EdlldddEEvT3_20rocsparse_direction_NS_24const_host_device_scalarIT1_EES1_PKS1_PKT2_SA_S7_PKT4_PKT5_S5_PT6_21rocsparse_index_base_b,"axG",@progbits,_ZN9rocsparseL18bsrxmvn_4x4_kernelILj128ELj64EdlldddEEvT3_20rocsparse_direction_NS_24const_host_device_scalarIT1_EES1_PKS1_PKT2_SA_S7_PKT4_PKT5_S5_PT6_21rocsparse_index_base_b,comdat
.Lfunc_end49:
	.size	_ZN9rocsparseL18bsrxmvn_4x4_kernelILj128ELj64EdlldddEEvT3_20rocsparse_direction_NS_24const_host_device_scalarIT1_EES1_PKS1_PKT2_SA_S7_PKT4_PKT5_S5_PT6_21rocsparse_index_base_b, .Lfunc_end49-_ZN9rocsparseL18bsrxmvn_4x4_kernelILj128ELj64EdlldddEEvT3_20rocsparse_direction_NS_24const_host_device_scalarIT1_EES1_PKS1_PKT2_SA_S7_PKT4_PKT5_S5_PT6_21rocsparse_index_base_b
                                        ; -- End function
	.set _ZN9rocsparseL18bsrxmvn_4x4_kernelILj128ELj64EdlldddEEvT3_20rocsparse_direction_NS_24const_host_device_scalarIT1_EES1_PKS1_PKT2_SA_S7_PKT4_PKT5_S5_PT6_21rocsparse_index_base_b.num_vgpr, 151
	.set _ZN9rocsparseL18bsrxmvn_4x4_kernelILj128ELj64EdlldddEEvT3_20rocsparse_direction_NS_24const_host_device_scalarIT1_EES1_PKS1_PKT2_SA_S7_PKT4_PKT5_S5_PT6_21rocsparse_index_base_b.num_agpr, 0
	.set _ZN9rocsparseL18bsrxmvn_4x4_kernelILj128ELj64EdlldddEEvT3_20rocsparse_direction_NS_24const_host_device_scalarIT1_EES1_PKS1_PKT2_SA_S7_PKT4_PKT5_S5_PT6_21rocsparse_index_base_b.numbered_sgpr, 12
	.set _ZN9rocsparseL18bsrxmvn_4x4_kernelILj128ELj64EdlldddEEvT3_20rocsparse_direction_NS_24const_host_device_scalarIT1_EES1_PKS1_PKT2_SA_S7_PKT4_PKT5_S5_PT6_21rocsparse_index_base_b.num_named_barrier, 0
	.set _ZN9rocsparseL18bsrxmvn_4x4_kernelILj128ELj64EdlldddEEvT3_20rocsparse_direction_NS_24const_host_device_scalarIT1_EES1_PKS1_PKT2_SA_S7_PKT4_PKT5_S5_PT6_21rocsparse_index_base_b.private_seg_size, 0
	.set _ZN9rocsparseL18bsrxmvn_4x4_kernelILj128ELj64EdlldddEEvT3_20rocsparse_direction_NS_24const_host_device_scalarIT1_EES1_PKS1_PKT2_SA_S7_PKT4_PKT5_S5_PT6_21rocsparse_index_base_b.uses_vcc, 1
	.set _ZN9rocsparseL18bsrxmvn_4x4_kernelILj128ELj64EdlldddEEvT3_20rocsparse_direction_NS_24const_host_device_scalarIT1_EES1_PKS1_PKT2_SA_S7_PKT4_PKT5_S5_PT6_21rocsparse_index_base_b.uses_flat_scratch, 0
	.set _ZN9rocsparseL18bsrxmvn_4x4_kernelILj128ELj64EdlldddEEvT3_20rocsparse_direction_NS_24const_host_device_scalarIT1_EES1_PKS1_PKT2_SA_S7_PKT4_PKT5_S5_PT6_21rocsparse_index_base_b.has_dyn_sized_stack, 0
	.set _ZN9rocsparseL18bsrxmvn_4x4_kernelILj128ELj64EdlldddEEvT3_20rocsparse_direction_NS_24const_host_device_scalarIT1_EES1_PKS1_PKT2_SA_S7_PKT4_PKT5_S5_PT6_21rocsparse_index_base_b.has_recursion, 0
	.set _ZN9rocsparseL18bsrxmvn_4x4_kernelILj128ELj64EdlldddEEvT3_20rocsparse_direction_NS_24const_host_device_scalarIT1_EES1_PKS1_PKT2_SA_S7_PKT4_PKT5_S5_PT6_21rocsparse_index_base_b.has_indirect_call, 0
	.section	.AMDGPU.csdata,"",@progbits
; Kernel info:
; codeLenInByte = 6644
; TotalNumSgprs: 14
; NumVgprs: 151
; ScratchSize: 0
; MemoryBound: 1
; FloatMode: 240
; IeeeMode: 1
; LDSByteSize: 0 bytes/workgroup (compile time only)
; SGPRBlocks: 0
; VGPRBlocks: 18
; NumSGPRsForWavesPerEU: 14
; NumVGPRsForWavesPerEU: 151
; Occupancy: 9
; WaveLimiterHint : 1
; COMPUTE_PGM_RSRC2:SCRATCH_EN: 0
; COMPUTE_PGM_RSRC2:USER_SGPR: 2
; COMPUTE_PGM_RSRC2:TRAP_HANDLER: 0
; COMPUTE_PGM_RSRC2:TGID_X_EN: 1
; COMPUTE_PGM_RSRC2:TGID_Y_EN: 0
; COMPUTE_PGM_RSRC2:TGID_Z_EN: 0
; COMPUTE_PGM_RSRC2:TIDIG_COMP_CNT: 0
	.section	.text._ZN9rocsparseL18bsrxmvn_4x4_kernelILj128ELj4E21rocsparse_complex_numIfEllS2_S2_S2_EEvT3_20rocsparse_direction_NS_24const_host_device_scalarIT1_EES3_PKS3_PKT2_SC_S9_PKT4_PKT5_S7_PT6_21rocsparse_index_base_b,"axG",@progbits,_ZN9rocsparseL18bsrxmvn_4x4_kernelILj128ELj4E21rocsparse_complex_numIfEllS2_S2_S2_EEvT3_20rocsparse_direction_NS_24const_host_device_scalarIT1_EES3_PKS3_PKT2_SC_S9_PKT4_PKT5_S7_PT6_21rocsparse_index_base_b,comdat
	.globl	_ZN9rocsparseL18bsrxmvn_4x4_kernelILj128ELj4E21rocsparse_complex_numIfEllS2_S2_S2_EEvT3_20rocsparse_direction_NS_24const_host_device_scalarIT1_EES3_PKS3_PKT2_SC_S9_PKT4_PKT5_S7_PT6_21rocsparse_index_base_b ; -- Begin function _ZN9rocsparseL18bsrxmvn_4x4_kernelILj128ELj4E21rocsparse_complex_numIfEllS2_S2_S2_EEvT3_20rocsparse_direction_NS_24const_host_device_scalarIT1_EES3_PKS3_PKT2_SC_S9_PKT4_PKT5_S7_PT6_21rocsparse_index_base_b
	.p2align	8
	.type	_ZN9rocsparseL18bsrxmvn_4x4_kernelILj128ELj4E21rocsparse_complex_numIfEllS2_S2_S2_EEvT3_20rocsparse_direction_NS_24const_host_device_scalarIT1_EES3_PKS3_PKT2_SC_S9_PKT4_PKT5_S7_PT6_21rocsparse_index_base_b,@function
_ZN9rocsparseL18bsrxmvn_4x4_kernelILj128ELj4E21rocsparse_complex_numIfEllS2_S2_S2_EEvT3_20rocsparse_direction_NS_24const_host_device_scalarIT1_EES3_PKS3_PKT2_SC_S9_PKT4_PKT5_S7_PT6_21rocsparse_index_base_b: ; @_ZN9rocsparseL18bsrxmvn_4x4_kernelILj128ELj4E21rocsparse_complex_numIfEllS2_S2_S2_EEvT3_20rocsparse_direction_NS_24const_host_device_scalarIT1_EES3_PKS3_PKT2_SC_S9_PKT4_PKT5_S7_PT6_21rocsparse_index_base_b
; %bb.0:
	s_clause 0x2
	s_load_b64 s[8:9], s[0:1], 0x60
	s_load_b128 s[4:7], s[0:1], 0x10
	s_load_b64 s[2:3], s[0:1], 0x50
	s_add_nc_u64 s[10:11], s[0:1], 16
	s_wait_kmcnt 0x0
	s_bitcmp1_b32 s9, 0
	s_cselect_b32 s4, s10, s4
	s_cselect_b32 s5, s11, s5
	s_delay_alu instid0(SALU_CYCLE_1)
	v_dual_mov_b32 v1, s4 :: v_dual_mov_b32 v2, s5
	s_add_nc_u64 s[4:5], s[0:1], 0x50
	s_wait_alu 0xfffe
	s_cselect_b32 s2, s4, s2
	s_cselect_b32 s3, s5, s3
	flat_load_b64 v[58:59], v[1:2]
	v_dual_mov_b32 v1, s2 :: v_dual_mov_b32 v2, s3
	flat_load_b64 v[56:57], v[1:2]
	s_wait_loadcnt_dscnt 0x101
	v_cmp_eq_f32_e32 vcc_lo, 0, v58
	v_cmp_eq_f32_e64 s2, 0, v59
	s_and_b32 s4, vcc_lo, s2
	s_mov_b32 s2, -1
	s_wait_alu 0xfffe
	s_and_saveexec_b32 s3, s4
	s_cbranch_execz .LBB50_2
; %bb.1:
	s_wait_loadcnt_dscnt 0x0
	v_cmp_neq_f32_e32 vcc_lo, 1.0, v56
	v_cmp_neq_f32_e64 s2, 0, v57
	s_or_b32 s2, vcc_lo, s2
	s_wait_alu 0xfffe
	s_or_not1_b32 s2, s2, exec_lo
.LBB50_2:
	s_wait_alu 0xfffe
	s_or_b32 exec_lo, exec_lo, s3
	s_and_saveexec_b32 s3, s2
	s_cbranch_execz .LBB50_8
; %bb.3:
	s_load_b64 s[2:3], s[0:1], 0x20
	v_lshrrev_b32_e32 v1, 2, v0
	v_mov_b32_e32 v2, 0
	s_delay_alu instid0(VALU_DEP_2)
	v_lshl_or_b32 v1, ttmp9, 5, v1
	s_wait_kmcnt 0x0
	s_cmp_lg_u64 s[2:3], 0
	s_cbranch_scc0 .LBB50_9
; %bb.4:
	s_delay_alu instid0(VALU_DEP_1)
	v_cmp_gt_i64_e32 vcc_lo, s[6:7], v[1:2]
	s_mov_b32 s5, 0
	s_mov_b32 s4, 0
                                        ; implicit-def: $vgpr60_vgpr61
                                        ; implicit-def: $vgpr62_vgpr63
	s_and_saveexec_b32 s6, vcc_lo
	s_wait_alu 0xfffe
	s_xor_b32 s6, exec_lo, s6
	s_cbranch_execz .LBB50_6
; %bb.5:
	v_lshlrev_b64_e32 v[3:4], 3, v[1:2]
	s_mov_b32 s9, 0
	s_mov_b32 s4, exec_lo
	v_dual_mov_b32 v63, s9 :: v_dual_mov_b32 v62, s8
	s_delay_alu instid0(VALU_DEP_2) | instskip(NEXT) | instid1(VALU_DEP_1)
	v_add_co_u32 v3, vcc_lo, s2, v3
	v_add_co_ci_u32_e64 v4, null, s3, v4, vcc_lo
	global_load_b64 v[3:4], v[3:4], off
	s_wait_loadcnt 0x0
	v_sub_co_u32 v60, vcc_lo, v3, s8
	s_wait_alu 0xfffd
	v_subrev_co_ci_u32_e64 v61, null, 0, v4, vcc_lo
.LBB50_6:
	s_wait_alu 0xfffe
	s_or_b32 exec_lo, exec_lo, s6
	s_delay_alu instid0(SALU_CYCLE_1)
	s_and_b32 vcc_lo, exec_lo, s5
	s_wait_alu 0xfffe
	s_cbranch_vccnz .LBB50_10
.LBB50_7:
	s_wait_alu 0xfffe
	s_and_b32 exec_lo, exec_lo, s4
	s_cbranch_execnz .LBB50_13
.LBB50_8:
	s_nop 0
	s_sendmsg sendmsg(MSG_DEALLOC_VGPRS)
	s_endpgm
.LBB50_9:
	s_mov_b32 s4, 0
                                        ; implicit-def: $vgpr60_vgpr61
                                        ; implicit-def: $vgpr62_vgpr63
	s_cbranch_execz .LBB50_7
.LBB50_10:
	s_load_b64 s[2:3], s[0:1], 0x0
	s_wait_kmcnt 0x0
	v_cmp_gt_i64_e32 vcc_lo, s[2:3], v[1:2]
	s_and_saveexec_b32 s2, vcc_lo
; %bb.11:
	s_mov_b32 s9, 0
	s_or_b32 s4, s4, exec_lo
; %bb.12:
	s_wait_alu 0xfffe
	s_or_b32 exec_lo, exec_lo, s2
	v_dual_mov_b32 v63, s9 :: v_dual_mov_b32 v62, s8
	v_dual_mov_b32 v61, v2 :: v_dual_mov_b32 v60, v1
	s_and_b32 exec_lo, exec_lo, s4
	s_cbranch_execz .LBB50_8
.LBB50_13:
	s_load_b256 s[4:11], s[0:1], 0x28
	s_delay_alu instid0(VALU_DEP_1) | instskip(SKIP_3) | instid1(VALU_DEP_2)
	v_lshlrev_b64_e32 v[1:2], 3, v[60:61]
	v_dual_mov_b32 v77, 0 :: v_dual_and_b32 v76, 3, v0
	s_load_b32 s3, s[0:1], 0x8
	s_wait_kmcnt 0x0
	v_add_co_u32 v3, vcc_lo, s4, v1
	s_wait_alu 0xfffd
	v_add_co_ci_u32_e64 v4, null, s5, v2, vcc_lo
	v_add_co_u32 v1, vcc_lo, s6, v1
	s_wait_alu 0xfffd
	v_add_co_ci_u32_e64 v2, null, s7, v2, vcc_lo
	v_add_co_u32 v5, vcc_lo, v3, 8
	global_load_b64 v[24:25], v[3:4], off
	s_wait_alu 0xfffd
	v_add_co_ci_u32_e64 v6, null, 0, v4, vcc_lo
	s_cmp_eq_u64 s[6:7], 0
	s_load_b64 s[4:5], s[0:1], 0x48
	s_cselect_b32 vcc_lo, -1, 0
	s_cmp_eq_u32 s3, 1
	s_wait_alu 0xfffe
	v_dual_cndmask_b32 v2, v2, v6 :: v_dual_cndmask_b32 v1, v1, v5
	global_load_b64 v[1:2], v[1:2], off
	s_wait_loadcnt 0x1
	v_sub_co_u32 v0, vcc_lo, v24, v62
	s_wait_alu 0xfffd
	v_sub_co_ci_u32_e64 v3, null, v25, v63, vcc_lo
	s_delay_alu instid0(VALU_DEP_2) | instskip(SKIP_1) | instid1(VALU_DEP_2)
	v_add_co_u32 v64, vcc_lo, v0, v76
	s_wait_alu 0xfffd
	v_add_co_ci_u32_e64 v65, null, 0, v3, vcc_lo
	s_wait_loadcnt 0x0
	v_sub_co_u32 v66, vcc_lo, v1, v62
	s_delay_alu instid0(VALU_DEP_2) | instskip(SKIP_2) | instid1(VALU_DEP_2)
	v_lshlrev_b64_e32 v[0:1], 7, v[64:65]
	s_wait_alu 0xfffd
	v_sub_co_ci_u32_e64 v67, null, v2, v63, vcc_lo
	v_add_co_u32 v68, vcc_lo, s10, v0
	s_delay_alu instid0(VALU_DEP_2)
	v_cmp_lt_i64_e64 s2, v[64:65], v[66:67]
	s_wait_alu 0xfffd
	v_add_co_ci_u32_e64 v69, null, s11, v1, vcc_lo
	s_cbranch_scc1 .LBB50_25
; %bb.14:
	v_dual_mov_b32 v82, 0 :: v_dual_mov_b32 v81, 0
	v_dual_mov_b32 v80, 0 :: v_dual_mov_b32 v79, 0
	;; [unrolled: 1-line block ×3, first 2 shown]
	v_mov_b32_e32 v71, 0
	s_and_saveexec_b32 s6, s2
	s_cbranch_execz .LBB50_24
; %bb.15:
	v_or_b32_e32 v0, 4, v76
	v_not_b32_e32 v3, v24
	v_sub_co_u32 v4, s3, v62, v76
	v_not_b32_e32 v2, v25
	s_delay_alu instid0(VALU_DEP_4)
	v_sub_co_u32 v0, vcc_lo, v0, v62
	s_wait_alu 0xfffd
	v_sub_co_ci_u32_e64 v1, null, 0, v63, vcc_lo
	s_wait_alu 0xf1ff
	v_subrev_co_ci_u32_e64 v5, null, 0, v63, s3
	v_add_co_u32 v0, vcc_lo, v0, v24
	s_wait_alu 0xfffd
	v_add_co_ci_u32_e64 v1, null, v1, v25, vcc_lo
	s_mov_b32 s3, exec_lo
	v_dual_mov_b32 v26, v68 :: v_dual_mov_b32 v27, v69
	v_mov_b32_e32 v28, v64
	v_cmp_gt_i64_e32 vcc_lo, v[0:1], v[66:67]
	v_mov_b32_e32 v71, 0
	v_mov_b32_e32 v29, v65
	s_wait_alu 0xfffd
	v_dual_cndmask_b32 v1, v67, v1 :: v_dual_cndmask_b32 v0, v66, v0
	v_add_co_u32 v3, vcc_lo, v4, v3
	s_wait_alu 0xfffd
	v_add_co_ci_u32_e64 v2, null, v5, v2, vcc_lo
	v_mov_b32_e32 v77, v71
	s_delay_alu instid0(VALU_DEP_3) | instskip(SKIP_3) | instid1(VALU_DEP_4)
	v_add_co_u32 v0, vcc_lo, v3, v0
	v_dual_mov_b32 v83, v71 :: v_dual_mov_b32 v78, v71
	v_dual_mov_b32 v79, v71 :: v_dual_mov_b32 v80, v71
	v_dual_mov_b32 v81, v71 :: v_dual_mov_b32 v82, v71
	v_and_b32_e32 v70, 12, v0
	s_wait_alu 0xfffd
	v_add_co_ci_u32_e64 v1, null, v2, v1, vcc_lo
	s_delay_alu instid0(VALU_DEP_2)
	v_cmpx_ne_u64_e32 12, v[70:71]
	s_cbranch_execz .LBB50_19
; %bb.16:
	v_lshrrev_b32_e32 v2, 2, v0
	v_dual_mov_b32 v77, 0 :: v_dual_mov_b32 v28, v64
	v_dual_mov_b32 v29, v65 :: v_dual_mov_b32 v26, v68
	s_delay_alu instid0(VALU_DEP_3) | instskip(SKIP_2) | instid1(VALU_DEP_3)
	v_dual_mov_b32 v27, v69 :: v_dual_add_nc_u32 v4, 1, v2
	v_lshlrev_b64_e32 v[2:3], 3, v[64:65]
	v_dual_mov_b32 v82, 0 :: v_dual_mov_b32 v81, 0
	v_dual_mov_b32 v79, 0 :: v_dual_and_b32 v4, 3, v4
	v_dual_mov_b32 v80, 0 :: v_dual_mov_b32 v83, 0
	s_delay_alu instid0(VALU_DEP_4) | instskip(NEXT) | instid1(VALU_DEP_3)
	v_add_co_u32 v2, vcc_lo, s8, v2
	v_sub_co_u32 v4, s7, 0, v4
	s_wait_alu 0xfffd
	v_add_co_ci_u32_e64 v3, null, s9, v3, vcc_lo
	s_wait_alu 0xf1ff
	v_sub_co_ci_u32_e64 v5, null, 0, 0, s7
	v_dual_mov_b32 v78, 0 :: v_dual_mov_b32 v71, 0
	s_mov_b32 s7, 0
.LBB50_17:                              ; =>This Inner Loop Header: Depth=1
	global_load_b64 v[22:23], v[2:3], off
	s_clause 0x7
	global_load_b128 v[6:9], v[26:27], off offset:48
	global_load_b128 v[10:13], v[26:27], off offset:32
	;; [unrolled: 1-line block ×3, first 2 shown]
	global_load_b128 v[18:21], v[26:27], off
	global_load_b128 v[30:33], v[26:27], off offset:112
	global_load_b128 v[34:37], v[26:27], off offset:96
	;; [unrolled: 1-line block ×4, first 2 shown]
	s_wait_loadcnt 0x8
	v_sub_co_u32 v22, vcc_lo, v22, v62
	s_wait_alu 0xfffd
	v_sub_co_ci_u32_e64 v23, null, v23, v63, vcc_lo
	s_delay_alu instid0(VALU_DEP_1) | instskip(SKIP_1) | instid1(VALU_DEP_1)
	v_lshlrev_b64_e32 v[22:23], 5, v[22:23]
	s_wait_kmcnt 0x0
	v_add_co_u32 v22, vcc_lo, s4, v22
	s_wait_alu 0xfffd
	s_delay_alu instid0(VALU_DEP_2)
	v_add_co_ci_u32_e64 v23, null, s5, v23, vcc_lo
	v_add_co_u32 v26, vcc_lo, 0x200, v26
	s_wait_alu 0xfffd
	v_add_co_ci_u32_e64 v27, null, 0, v27, vcc_lo
	s_clause 0x1
	global_load_b128 v[46:49], v[22:23], off
	global_load_b128 v[50:53], v[22:23], off offset:16
	v_add_co_u32 v28, vcc_lo, v28, 4
	s_wait_alu 0xfffd
	v_add_co_ci_u32_e64 v29, null, 0, v29, vcc_lo
	v_add_co_u32 v4, vcc_lo, v4, 1
	s_wait_alu 0xfffd
	v_add_co_ci_u32_e64 v5, null, 0, v5, vcc_lo
	;; [unrolled: 3-line block ×3, first 2 shown]
	s_delay_alu instid0(VALU_DEP_3)
	v_cmp_eq_u64_e32 vcc_lo, 0, v[4:5]
	s_wait_alu 0xfffe
	s_or_b32 s7, vcc_lo, s7
	s_wait_loadcnt 0x1
	v_fmac_f32_e32 v78, v35, v46
	v_fmac_f32_e32 v77, v19, v46
	;; [unrolled: 1-line block ×4, first 2 shown]
	s_delay_alu instid0(VALU_DEP_4) | instskip(NEXT) | instid1(VALU_DEP_4)
	v_fmac_f32_e32 v78, v34, v47
	v_fmac_f32_e32 v77, v18, v47
	;; [unrolled: 1-line block ×4, first 2 shown]
	v_fma_f32 v19, -v19, v47, v82
	v_fmac_f32_e32 v78, v37, v48
	v_fmac_f32_e32 v77, v21, v48
	v_fma_f32 v18, -v35, v47, v80
	v_fmac_f32_e32 v71, v11, v46
	s_delay_alu instid0(VALU_DEP_4) | instskip(SKIP_1) | instid1(VALU_DEP_3)
	v_dual_fmac_f32 v79, v43, v46 :: v_dual_fmac_f32 v78, v36, v49
	v_fmac_f32_e32 v19, v20, v48
	v_dual_fmac_f32 v18, v36, v48 :: v_dual_fmac_f32 v71, v10, v47
	v_fma_f32 v10, -v43, v47, v81
	s_wait_loadcnt 0x0
	v_fmac_f32_e32 v78, v31, v50
	v_fma_f32 v19, -v21, v49, v19
	v_fmac_f32_e32 v71, v13, v48
	v_fmac_f32_e32 v10, v44, v48
	v_fma_f32 v11, -v11, v47, v83
	v_dual_fmac_f32 v78, v30, v51 :: v_dual_fmac_f32 v77, v20, v49
	s_delay_alu instid0(VALU_DEP_4) | instskip(NEXT) | instid1(VALU_DEP_4)
	v_fmac_f32_e32 v71, v12, v49
	v_fma_f32 v10, -v45, v49, v10
	s_delay_alu instid0(VALU_DEP_4) | instskip(SKIP_1) | instid1(VALU_DEP_4)
	v_fmac_f32_e32 v11, v12, v48
	v_fma_f32 v12, -v37, v49, v18
	v_dual_fmac_f32 v78, v33, v52 :: v_dual_fmac_f32 v71, v7, v50
	s_delay_alu instid0(VALU_DEP_4) | instskip(NEXT) | instid1(VALU_DEP_4)
	v_fmac_f32_e32 v10, v38, v50
	v_fma_f32 v11, -v13, v49, v11
	s_delay_alu instid0(VALU_DEP_4) | instskip(NEXT) | instid1(VALU_DEP_4)
	v_fmac_f32_e32 v12, v30, v50
	v_dual_fmac_f32 v77, v15, v50 :: v_dual_fmac_f32 v78, v32, v53
	v_fmac_f32_e32 v71, v6, v51
	s_delay_alu instid0(VALU_DEP_4) | instskip(SKIP_4) | instid1(VALU_DEP_4)
	v_fmac_f32_e32 v11, v6, v50
	v_fma_f32 v6, -v39, v51, v10
	v_fmac_f32_e32 v79, v42, v47
	v_fma_f32 v10, -v31, v51, v12
	v_fmac_f32_e32 v19, v14, v50
	v_dual_fmac_f32 v77, v14, v51 :: v_dual_fmac_f32 v6, v40, v52
	s_delay_alu instid0(VALU_DEP_4)
	v_fmac_f32_e32 v79, v45, v48
	v_fma_f32 v7, -v7, v51, v11
	v_fmac_f32_e32 v10, v32, v52
	v_fma_f32 v13, -v15, v51, v19
	v_fmac_f32_e32 v71, v9, v52
	v_fmac_f32_e32 v79, v44, v49
	;; [unrolled: 1-line block ×7, first 2 shown]
	v_fma_f32 v83, -v9, v53, v7
	v_fmac_f32_e32 v77, v16, v53
	v_fma_f32 v82, -v17, v53, v13
	v_fma_f32 v81, -v41, v53, v6
	v_fmac_f32_e32 v79, v38, v51
	v_fma_f32 v80, -v33, v53, v10
	s_delay_alu instid0(VALU_DEP_2) | instskip(NEXT) | instid1(VALU_DEP_1)
	v_fmac_f32_e32 v79, v41, v52
	v_fmac_f32_e32 v79, v40, v53
	s_wait_alu 0xfffe
	s_and_not1_b32 exec_lo, exec_lo, s7
	s_cbranch_execnz .LBB50_17
; %bb.18:
	s_or_b32 exec_lo, exec_lo, s7
.LBB50_19:
	s_wait_alu 0xfffe
	s_or_b32 exec_lo, exec_lo, s3
	s_delay_alu instid0(SALU_CYCLE_1)
	s_mov_b32 s3, exec_lo
	v_cmpx_lt_u64_e32 11, v[0:1]
	s_cbranch_execz .LBB50_23
; %bb.20:
	v_lshlrev_b64_e32 v[0:1], 3, v[28:29]
	s_mov_b32 s7, 0
	s_delay_alu instid0(VALU_DEP_1) | instskip(SKIP_1) | instid1(VALU_DEP_2)
	v_add_co_u32 v0, vcc_lo, s8, v0
	s_wait_alu 0xfffd
	v_add_co_ci_u32_e64 v1, null, s9, v1, vcc_lo
	s_delay_alu instid0(VALU_DEP_2) | instskip(SKIP_1) | instid1(VALU_DEP_2)
	v_add_co_u32 v30, vcc_lo, v0, 64
	s_wait_alu 0xfffd
	v_add_co_ci_u32_e64 v31, null, 0, v1, vcc_lo
.LBB50_21:                              ; =>This Inner Loop Header: Depth=1
	s_clause 0x3
	global_load_b64 v[32:33], v[30:31], off offset:-64
	global_load_b64 v[54:55], v[30:31], off offset:-32
	global_load_b64 v[164:165], v[30:31], off
	global_load_b64 v[166:167], v[30:31], off offset:32
	s_clause 0x1f
	global_load_b128 v[34:37], v[26:27], off offset:48
	global_load_b128 v[38:41], v[26:27], off offset:32
	;; [unrolled: 1-line block ×3, first 2 shown]
	global_load_b128 v[46:49], v[26:27], off
	global_load_b128 v[50:53], v[26:27], off offset:112
	global_load_b128 v[72:75], v[26:27], off offset:96
	;; [unrolled: 1-line block ×28, first 2 shown]
	s_wait_loadcnt 0x23
	v_sub_co_u32 v32, vcc_lo, v32, v62
	s_wait_alu 0xfffd
	v_sub_co_ci_u32_e64 v33, null, v33, v63, vcc_lo
	s_wait_loadcnt 0x22
	v_sub_co_u32 v54, vcc_lo, v54, v62
	s_wait_alu 0xfffd
	v_sub_co_ci_u32_e64 v55, null, v55, v63, vcc_lo
	s_wait_loadcnt 0x21
	v_sub_co_u32 v164, vcc_lo, v164, v62
	s_wait_alu 0xfffd
	v_sub_co_ci_u32_e64 v165, null, v165, v63, vcc_lo
	s_wait_loadcnt 0x20
	v_sub_co_u32 v166, vcc_lo, v166, v62
	v_lshlrev_b64_e32 v[32:33], 5, v[32:33]
	s_wait_alu 0xfffd
	v_sub_co_ci_u32_e64 v167, null, v167, v63, vcc_lo
	v_lshlrev_b64_e32 v[54:55], 5, v[54:55]
	v_lshlrev_b64_e32 v[164:165], 5, v[164:165]
	s_delay_alu instid0(VALU_DEP_3)
	v_lshlrev_b64_e32 v[166:167], 5, v[166:167]
	s_wait_kmcnt 0x0
	v_add_co_u32 v32, vcc_lo, s4, v32
	s_wait_alu 0xfffd
	v_add_co_ci_u32_e64 v33, null, s5, v33, vcc_lo
	v_add_co_u32 v54, vcc_lo, s4, v54
	s_wait_alu 0xfffd
	v_add_co_ci_u32_e64 v55, null, s5, v55, vcc_lo
	;; [unrolled: 3-line block ×4, first 2 shown]
	s_clause 0x1
	global_load_b128 v[164:167], v[32:33], off
	global_load_b128 v[168:171], v[32:33], off offset:16
	v_add_co_u32 v28, vcc_lo, v28, 16
	s_wait_alu 0xfffd
	v_add_co_ci_u32_e64 v29, null, 0, v29, vcc_lo
	v_add_co_u32 v26, vcc_lo, 0x800, v26
	s_wait_alu 0xfffd
	v_add_co_ci_u32_e64 v27, null, 0, v27, vcc_lo
	;; [unrolled: 3-line block ×3, first 2 shown]
	v_cmp_ge_i64_e32 vcc_lo, v[28:29], v[66:67]
	s_wait_alu 0xfffe
	s_or_b32 s7, vcc_lo, s7
	s_wait_loadcnt 0x1
	v_fmac_f32_e32 v77, v47, v164
	s_delay_alu instid0(VALU_DEP_1) | instskip(NEXT) | instid1(VALU_DEP_1)
	v_dual_fmac_f32 v80, v72, v164 :: v_dual_fmac_f32 v77, v46, v165
	v_dual_fmac_f32 v82, v46, v164 :: v_dual_fmac_f32 v77, v49, v166
	s_delay_alu instid0(VALU_DEP_1) | instskip(NEXT) | instid1(VALU_DEP_2)
	v_fma_f32 v32, -v47, v165, v82
	v_fmac_f32_e32 v77, v48, v167
	s_delay_alu instid0(VALU_DEP_2) | instskip(NEXT) | instid1(VALU_DEP_1)
	v_fmac_f32_e32 v32, v48, v166
	v_fma_f32 v32, -v49, v167, v32
	s_clause 0x1
	global_load_b128 v[46:49], v[54:55], off
	global_load_b128 v[172:175], v[54:55], off offset:16
	v_fma_f32 v55, -v73, v165, v80
	v_fmac_f32_e32 v78, v73, v164
	s_wait_loadcnt 0x2
	v_fmac_f32_e32 v32, v42, v168
	s_delay_alu instid0(VALU_DEP_3) | instskip(NEXT) | instid1(VALU_DEP_3)
	v_fmac_f32_e32 v55, v74, v166
	v_dual_fmac_f32 v83, v38, v164 :: v_dual_fmac_f32 v78, v72, v165
	v_fmac_f32_e32 v81, v88, v164
	s_delay_alu instid0(VALU_DEP_4) | instskip(SKIP_1) | instid1(VALU_DEP_4)
	v_fma_f32 v32, -v43, v169, v32
	v_fmac_f32_e32 v79, v89, v164
	v_fma_f32 v33, -v39, v165, v83
	v_fmac_f32_e32 v78, v75, v166
	v_fma_f32 v54, -v89, v165, v81
	v_dual_fmac_f32 v71, v39, v164 :: v_dual_fmac_f32 v32, v44, v170
	s_delay_alu instid0(VALU_DEP_3) | instskip(NEXT) | instid1(VALU_DEP_3)
	v_dual_fmac_f32 v33, v40, v166 :: v_dual_fmac_f32 v78, v74, v167
	v_fmac_f32_e32 v54, v90, v166
	v_fma_f32 v55, -v75, v167, v55
	s_delay_alu instid0(VALU_DEP_4) | instskip(NEXT) | instid1(VALU_DEP_4)
	v_fma_f32 v32, -v45, v171, v32
	v_fma_f32 v33, -v41, v167, v33
	v_fmac_f32_e32 v78, v51, v168
	v_fma_f32 v54, -v91, v167, v54
	v_fmac_f32_e32 v71, v38, v165
	s_delay_alu instid0(VALU_DEP_4) | instskip(NEXT) | instid1(VALU_DEP_4)
	v_fmac_f32_e32 v33, v34, v168
	v_fmac_f32_e32 v78, v50, v169
	s_delay_alu instid0(VALU_DEP_3) | instskip(NEXT) | instid1(VALU_DEP_2)
	v_dual_fmac_f32 v54, v84, v168 :: v_dual_fmac_f32 v71, v41, v166
	v_dual_fmac_f32 v77, v43, v168 :: v_dual_fmac_f32 v78, v53, v170
	s_delay_alu instid0(VALU_DEP_2) | instskip(SKIP_2) | instid1(VALU_DEP_1)
	v_fmac_f32_e32 v71, v40, v167
	global_load_b128 v[38:41], v[176:177], off
	v_dual_fmac_f32 v78, v52, v171 :: v_dual_fmac_f32 v71, v35, v168
	v_fmac_f32_e32 v71, v34, v169
	v_fma_f32 v34, -v85, v169, v54
	s_delay_alu instid0(VALU_DEP_1) | instskip(NEXT) | instid1(VALU_DEP_1)
	v_dual_fmac_f32 v79, v88, v165 :: v_dual_fmac_f32 v34, v86, v170
	v_fmac_f32_e32 v79, v91, v166
	s_delay_alu instid0(VALU_DEP_2) | instskip(NEXT) | instid1(VALU_DEP_2)
	v_fma_f32 v34, -v87, v171, v34
	v_fmac_f32_e32 v79, v90, v167
	s_clause 0x2
	global_load_b128 v[88:91], v[176:177], off offset:16
	global_load_b128 v[72:75], v[178:179], off
	global_load_b128 v[164:167], v[178:179], off offset:16
	s_wait_loadcnt 0x5
	v_fmac_f32_e32 v32, v104, v46
	v_fmac_f32_e32 v34, v120, v46
	v_fmac_f32_e32 v78, v113, v46
	v_fmac_f32_e32 v79, v85, v168
	v_fma_f32 v33, -v35, v169, v33
	v_fma_f32 v32, -v105, v47, v32
	;; [unrolled: 1-line block ×3, first 2 shown]
	v_dual_fmac_f32 v78, v112, v47 :: v_dual_fmac_f32 v77, v42, v169
	s_delay_alu instid0(VALU_DEP_3) | instskip(NEXT) | instid1(VALU_DEP_3)
	v_dual_fmac_f32 v79, v84, v169 :: v_dual_fmac_f32 v32, v106, v48
	v_fmac_f32_e32 v34, v122, v48
	s_delay_alu instid0(VALU_DEP_3) | instskip(SKIP_1) | instid1(VALU_DEP_4)
	v_dual_fmac_f32 v78, v115, v48 :: v_dual_fmac_f32 v77, v45, v170
	v_fmac_f32_e32 v33, v36, v170
	v_fma_f32 v32, -v107, v49, v32
	s_delay_alu instid0(VALU_DEP_4) | instskip(NEXT) | instid1(VALU_DEP_4)
	v_fma_f32 v34, -v123, v49, v34
	v_dual_fmac_f32 v78, v114, v49 :: v_dual_fmac_f32 v79, v87, v170
	s_delay_alu instid0(VALU_DEP_4)
	v_fma_f32 v33, -v37, v171, v33
	s_wait_loadcnt 0x4
	v_dual_fmac_f32 v32, v100, v172 :: v_dual_fmac_f32 v71, v37, v170
	v_fmac_f32_e32 v34, v116, v172
	v_fmac_f32_e32 v78, v109, v172
	;; [unrolled: 1-line block ×3, first 2 shown]
	s_delay_alu instid0(VALU_DEP_4)
	v_fma_f32 v32, -v101, v173, v32
	v_fmac_f32_e32 v77, v44, v171
	v_fma_f32 v34, -v117, v173, v34
	v_fmac_f32_e32 v71, v36, v171
	v_fmac_f32_e32 v78, v108, v173
	v_fma_f32 v35, -v51, v169, v55
	v_fmac_f32_e32 v79, v86, v171
	v_fmac_f32_e32 v34, v118, v174
	;; [unrolled: 1-line block ×5, first 2 shown]
	s_delay_alu instid0(VALU_DEP_4) | instskip(NEXT) | instid1(VALU_DEP_4)
	v_fma_f32 v34, -v119, v175, v34
	v_fma_f32 v32, -v103, v175, v32
	s_delay_alu instid0(VALU_DEP_4) | instskip(NEXT) | instid1(VALU_DEP_4)
	v_fmac_f32_e32 v78, v110, v175
	v_fma_f32 v35, -v53, v171, v35
	s_wait_loadcnt 0x3
	v_fmac_f32_e32 v34, v140, v38
	v_fmac_f32_e32 v32, v128, v38
	;; [unrolled: 1-line block ×4, first 2 shown]
	s_delay_alu instid0(VALU_DEP_4) | instskip(NEXT) | instid1(VALU_DEP_3)
	v_fma_f32 v34, -v141, v39, v34
	v_dual_fmac_f32 v71, v97, v46 :: v_dual_fmac_f32 v78, v132, v39
	v_fmac_f32_e32 v79, v121, v46
	v_fma_f32 v32, -v129, v39, v32
	s_delay_alu instid0(VALU_DEP_3) | instskip(NEXT) | instid1(VALU_DEP_4)
	v_dual_fmac_f32 v34, v142, v40 :: v_dual_fmac_f32 v71, v96, v47
	v_dual_fmac_f32 v78, v135, v40 :: v_dual_fmac_f32 v35, v112, v46
	s_delay_alu instid0(VALU_DEP_3) | instskip(NEXT) | instid1(VALU_DEP_3)
	v_dual_fmac_f32 v33, v96, v46 :: v_dual_fmac_f32 v32, v130, v40
	v_fma_f32 v34, -v143, v41, v34
	s_delay_alu instid0(VALU_DEP_3) | instskip(NEXT) | instid1(VALU_DEP_3)
	v_dual_fmac_f32 v78, v134, v41 :: v_dual_fmac_f32 v77, v104, v47
	v_fma_f32 v33, -v97, v47, v33
	v_fma_f32 v35, -v113, v47, v35
	;; [unrolled: 1-line block ×3, first 2 shown]
	s_wait_loadcnt 0x2
	v_fmac_f32_e32 v78, v13, v88
	v_fmac_f32_e32 v77, v107, v48
	v_fmac_f32_e32 v33, v98, v48
	v_fmac_f32_e32 v34, v136, v88
	v_fmac_f32_e32 v32, v16, v88
	v_dual_fmac_f32 v78, v12, v89 :: v_dual_fmac_f32 v35, v114, v48
	s_delay_alu instid0(VALU_DEP_4) | instskip(NEXT) | instid1(VALU_DEP_2)
	v_fma_f32 v33, -v99, v49, v33
	v_dual_fmac_f32 v77, v106, v49 :: v_dual_fmac_f32 v78, v15, v90
	v_fmac_f32_e32 v71, v99, v48
	s_delay_alu instid0(VALU_DEP_3) | instskip(SKIP_1) | instid1(VALU_DEP_4)
	v_fmac_f32_e32 v33, v92, v172
	v_fma_f32 v35, -v115, v49, v35
	v_fmac_f32_e32 v78, v14, v91
	s_delay_alu instid0(VALU_DEP_4) | instskip(NEXT) | instid1(VALU_DEP_4)
	v_fmac_f32_e32 v71, v98, v49
	v_fma_f32 v33, -v93, v173, v33
	s_wait_loadcnt 0x1
	s_delay_alu instid0(VALU_DEP_3) | instskip(NEXT) | instid1(VALU_DEP_3)
	v_fmac_f32_e32 v78, v153, v72
	v_fmac_f32_e32 v71, v93, v172
	s_delay_alu instid0(VALU_DEP_2) | instskip(NEXT) | instid1(VALU_DEP_2)
	v_dual_fmac_f32 v33, v94, v174 :: v_dual_fmac_f32 v78, v152, v73
	v_fmac_f32_e32 v71, v92, v173
	s_delay_alu instid0(VALU_DEP_2) | instskip(NEXT) | instid1(VALU_DEP_3)
	v_fma_f32 v33, -v95, v175, v33
	v_fmac_f32_e32 v78, v155, v74
	s_delay_alu instid0(VALU_DEP_3) | instskip(NEXT) | instid1(VALU_DEP_2)
	v_fmac_f32_e32 v71, v95, v174
	v_dual_fmac_f32 v33, v124, v38 :: v_dual_fmac_f32 v78, v154, v75
	s_delay_alu instid0(VALU_DEP_2) | instskip(NEXT) | instid1(VALU_DEP_2)
	v_fmac_f32_e32 v71, v94, v175
	v_fma_f32 v33, -v125, v39, v33
	s_wait_loadcnt 0x0
	s_delay_alu instid0(VALU_DEP_3) | instskip(NEXT) | instid1(VALU_DEP_3)
	v_fmac_f32_e32 v78, v149, v164
	v_fmac_f32_e32 v71, v125, v38
	s_delay_alu instid0(VALU_DEP_2) | instskip(NEXT) | instid1(VALU_DEP_2)
	v_dual_fmac_f32 v33, v126, v40 :: v_dual_fmac_f32 v78, v148, v165
	v_fmac_f32_e32 v71, v124, v39
	s_delay_alu instid0(VALU_DEP_2) | instskip(NEXT) | instid1(VALU_DEP_3)
	v_fma_f32 v33, -v127, v41, v33
	v_fmac_f32_e32 v78, v151, v166
	s_delay_alu instid0(VALU_DEP_3) | instskip(NEXT) | instid1(VALU_DEP_2)
	v_fmac_f32_e32 v71, v127, v40
	v_dual_fmac_f32 v33, v8, v88 :: v_dual_fmac_f32 v78, v150, v167
	s_delay_alu instid0(VALU_DEP_2) | instskip(NEXT) | instid1(VALU_DEP_1)
	v_fmac_f32_e32 v71, v126, v41
	v_fmac_f32_e32 v71, v9, v88
	s_delay_alu instid0(VALU_DEP_3) | instskip(NEXT) | instid1(VALU_DEP_2)
	v_fma_f32 v9, -v9, v89, v33
	v_fmac_f32_e32 v71, v8, v89
	v_fma_f32 v8, -v137, v89, v34
	v_fmac_f32_e32 v79, v120, v47
	s_delay_alu instid0(VALU_DEP_4) | instskip(NEXT) | instid1(VALU_DEP_4)
	v_fmac_f32_e32 v9, v10, v90
	v_fmac_f32_e32 v71, v11, v90
	s_delay_alu instid0(VALU_DEP_3) | instskip(NEXT) | instid1(VALU_DEP_3)
	v_dual_fmac_f32 v8, v138, v90 :: v_dual_fmac_f32 v79, v123, v48
	v_fma_f32 v9, -v11, v91, v9
	s_delay_alu instid0(VALU_DEP_3) | instskip(NEXT) | instid1(VALU_DEP_3)
	v_fmac_f32_e32 v71, v10, v91
	v_fma_f32 v8, -v139, v91, v8
	s_delay_alu instid0(VALU_DEP_3) | instskip(NEXT) | instid1(VALU_DEP_3)
	v_fmac_f32_e32 v9, v20, v72
	v_fmac_f32_e32 v71, v21, v72
	s_delay_alu instid0(VALU_DEP_3) | instskip(NEXT) | instid1(VALU_DEP_3)
	v_fmac_f32_e32 v8, v160, v72
	v_fma_f32 v9, -v21, v73, v9
	s_delay_alu instid0(VALU_DEP_3) | instskip(NEXT) | instid1(VALU_DEP_3)
	v_fmac_f32_e32 v71, v20, v73
	v_fma_f32 v8, -v161, v73, v8
	v_fmac_f32_e32 v77, v101, v172
	s_delay_alu instid0(VALU_DEP_4) | instskip(NEXT) | instid1(VALU_DEP_4)
	v_fmac_f32_e32 v9, v22, v74
	v_fmac_f32_e32 v71, v23, v74
	s_delay_alu instid0(VALU_DEP_3) | instskip(NEXT) | instid1(VALU_DEP_3)
	v_dual_fmac_f32 v8, v162, v74 :: v_dual_fmac_f32 v77, v100, v173
	v_fma_f32 v9, -v23, v75, v9
	s_delay_alu instid0(VALU_DEP_3) | instskip(NEXT) | instid1(VALU_DEP_3)
	v_fmac_f32_e32 v71, v22, v75
	v_fma_f32 v8, -v163, v75, v8
	s_delay_alu instid0(VALU_DEP_3) | instskip(NEXT) | instid1(VALU_DEP_3)
	v_fmac_f32_e32 v9, v0, v164
	v_fmac_f32_e32 v71, v1, v164
	s_delay_alu instid0(VALU_DEP_3) | instskip(NEXT) | instid1(VALU_DEP_3)
	v_fmac_f32_e32 v8, v156, v164
	v_fma_f32 v1, -v1, v165, v9
	s_delay_alu instid0(VALU_DEP_3) | instskip(NEXT) | instid1(VALU_DEP_3)
	v_fmac_f32_e32 v71, v0, v165
	v_fma_f32 v0, -v157, v165, v8
	v_fmac_f32_e32 v35, v108, v172
	s_delay_alu instid0(VALU_DEP_4) | instskip(NEXT) | instid1(VALU_DEP_4)
	v_fmac_f32_e32 v1, v2, v166
	v_fmac_f32_e32 v71, v3, v166
	s_delay_alu instid0(VALU_DEP_4) | instskip(NEXT) | instid1(VALU_DEP_4)
	v_fmac_f32_e32 v0, v158, v166
	v_fma_f32 v35, -v109, v173, v35
	s_delay_alu instid0(VALU_DEP_4) | instskip(NEXT) | instid1(VALU_DEP_4)
	v_fma_f32 v83, -v3, v167, v1
	v_fmac_f32_e32 v71, v2, v167
	s_delay_alu instid0(VALU_DEP_4) | instskip(NEXT) | instid1(VALU_DEP_4)
	v_fma_f32 v81, -v159, v167, v0
	v_fmac_f32_e32 v35, v110, v174
	s_delay_alu instid0(VALU_DEP_1) | instskip(NEXT) | instid1(VALU_DEP_1)
	v_fma_f32 v35, -v111, v175, v35
	v_fmac_f32_e32 v35, v132, v38
	s_delay_alu instid0(VALU_DEP_1) | instskip(NEXT) | instid1(VALU_DEP_1)
	;; [unrolled: 3-line block ×5, first 2 shown]
	v_fma_f32 v10, -v15, v91, v13
	v_dual_fmac_f32 v77, v103, v174 :: v_dual_fmac_f32 v10, v152, v72
	s_delay_alu instid0(VALU_DEP_1) | instskip(NEXT) | instid1(VALU_DEP_2)
	v_fmac_f32_e32 v77, v102, v175
	v_fma_f32 v10, -v153, v73, v10
	s_delay_alu instid0(VALU_DEP_2) | instskip(NEXT) | instid1(VALU_DEP_1)
	v_fmac_f32_e32 v77, v129, v38
	v_dual_fmac_f32 v10, v154, v74 :: v_dual_fmac_f32 v77, v128, v39
	s_delay_alu instid0(VALU_DEP_1) | instskip(NEXT) | instid1(VALU_DEP_2)
	v_fma_f32 v10, -v155, v75, v10
	v_fmac_f32_e32 v77, v131, v40
	s_delay_alu instid0(VALU_DEP_1) | instskip(NEXT) | instid1(VALU_DEP_1)
	v_dual_fmac_f32 v10, v148, v164 :: v_dual_fmac_f32 v77, v130, v41
	v_fmac_f32_e32 v77, v17, v88
	v_fma_f32 v17, -v17, v89, v32
	s_delay_alu instid0(VALU_DEP_2) | instskip(NEXT) | instid1(VALU_DEP_2)
	v_fmac_f32_e32 v77, v16, v89
	v_fmac_f32_e32 v17, v18, v90
	s_delay_alu instid0(VALU_DEP_2) | instskip(NEXT) | instid1(VALU_DEP_2)
	v_fmac_f32_e32 v77, v19, v90
	v_fma_f32 v12, -v19, v91, v17
	v_fmac_f32_e32 v79, v122, v49
	s_delay_alu instid0(VALU_DEP_2) | instskip(NEXT) | instid1(VALU_DEP_2)
	v_dual_fmac_f32 v77, v18, v91 :: v_dual_fmac_f32 v12, v144, v72
	v_fmac_f32_e32 v79, v117, v172
	s_delay_alu instid0(VALU_DEP_2) | instskip(NEXT) | instid1(VALU_DEP_3)
	v_fmac_f32_e32 v77, v145, v72
	v_fma_f32 v11, -v145, v73, v12
	s_delay_alu instid0(VALU_DEP_2) | instskip(NEXT) | instid1(VALU_DEP_2)
	v_fmac_f32_e32 v77, v144, v73
	v_fmac_f32_e32 v11, v146, v74
	s_delay_alu instid0(VALU_DEP_2) | instskip(NEXT) | instid1(VALU_DEP_2)
	v_fmac_f32_e32 v77, v147, v74
	v_fma_f32 v11, -v147, v75, v11
	s_delay_alu instid0(VALU_DEP_2) | instskip(NEXT) | instid1(VALU_DEP_2)
	v_fmac_f32_e32 v77, v146, v75
	v_fmac_f32_e32 v11, v4, v164
	s_delay_alu instid0(VALU_DEP_2) | instskip(NEXT) | instid1(VALU_DEP_2)
	v_fmac_f32_e32 v77, v5, v164
	v_fma_f32 v5, -v5, v165, v11
	s_delay_alu instid0(VALU_DEP_2) | instskip(SKIP_2) | instid1(VALU_DEP_4)
	v_fmac_f32_e32 v77, v4, v165
	v_fma_f32 v4, -v149, v165, v10
	v_fmac_f32_e32 v79, v116, v173
	v_fmac_f32_e32 v5, v6, v166
	s_delay_alu instid0(VALU_DEP_4) | instskip(NEXT) | instid1(VALU_DEP_4)
	v_fmac_f32_e32 v77, v7, v166
	v_fmac_f32_e32 v4, v150, v166
	s_delay_alu instid0(VALU_DEP_4) | instskip(NEXT) | instid1(VALU_DEP_4)
	v_fmac_f32_e32 v79, v119, v174
	v_fma_f32 v82, -v7, v167, v5
	s_delay_alu instid0(VALU_DEP_4) | instskip(NEXT) | instid1(VALU_DEP_4)
	v_fmac_f32_e32 v77, v6, v167
	v_fma_f32 v80, -v151, v167, v4
	s_delay_alu instid0(VALU_DEP_4) | instskip(NEXT) | instid1(VALU_DEP_1)
	v_fmac_f32_e32 v79, v118, v175
	v_fmac_f32_e32 v79, v141, v38
	s_delay_alu instid0(VALU_DEP_1) | instskip(NEXT) | instid1(VALU_DEP_1)
	v_fmac_f32_e32 v79, v140, v39
	v_fmac_f32_e32 v79, v143, v40
	s_delay_alu instid0(VALU_DEP_1) | instskip(NEXT) | instid1(VALU_DEP_1)
	;; [unrolled: 3-line block ×7, first 2 shown]
	v_fmac_f32_e32 v79, v156, v165
	v_fmac_f32_e32 v79, v159, v166
	s_delay_alu instid0(VALU_DEP_1)
	v_fmac_f32_e32 v79, v158, v167
	s_wait_alu 0xfffe
	s_and_not1_b32 exec_lo, exec_lo, s7
	s_cbranch_execnz .LBB50_21
; %bb.22:
	s_or_b32 exec_lo, exec_lo, s7
.LBB50_23:
	s_wait_alu 0xfffe
	s_or_b32 exec_lo, exec_lo, s3
.LBB50_24:
	s_wait_alu 0xfffe
	s_or_b32 exec_lo, exec_lo, s6
	s_cbranch_execz .LBB50_26
	s_branch .LBB50_37
.LBB50_25:
                                        ; implicit-def: $vgpr77
                                        ; implicit-def: $vgpr82
                                        ; implicit-def: $vgpr80
                                        ; implicit-def: $vgpr78
                                        ; implicit-def: $vgpr81
                                        ; implicit-def: $vgpr79
                                        ; implicit-def: $vgpr83
                                        ; implicit-def: $vgpr71
.LBB50_26:
	v_dual_mov_b32 v77, 0 :: v_dual_mov_b32 v82, 0
	v_dual_mov_b32 v80, 0 :: v_dual_mov_b32 v81, 0
	;; [unrolled: 1-line block ×3, first 2 shown]
	v_mov_b32_e32 v83, 0
	v_mov_b32_e32 v71, 0
	s_and_saveexec_b32 s3, s2
	s_cbranch_execz .LBB50_36
; %bb.27:
	v_or_b32_e32 v0, 4, v76
	v_not_b32_e32 v3, v24
	v_not_b32_e32 v2, v25
	s_delay_alu instid0(VALU_DEP_3) | instskip(SKIP_2) | instid1(VALU_DEP_2)
	v_sub_co_u32 v0, vcc_lo, v0, v62
	s_wait_alu 0xfffd
	v_sub_co_ci_u32_e64 v1, null, 0, v63, vcc_lo
	v_add_co_u32 v0, vcc_lo, v0, v24
	s_wait_alu 0xfffd
	s_delay_alu instid0(VALU_DEP_2) | instskip(SKIP_3) | instid1(VALU_DEP_3)
	v_add_co_ci_u32_e64 v1, null, v1, v25, vcc_lo
	v_sub_co_u32 v4, vcc_lo, v62, v76
	s_wait_alu 0xfffd
	v_subrev_co_ci_u32_e64 v5, null, 0, v63, vcc_lo
	v_cmp_gt_i64_e64 s2, v[0:1], v[66:67]
	s_delay_alu instid0(VALU_DEP_3) | instskip(SKIP_1) | instid1(VALU_DEP_3)
	v_add_co_u32 v3, vcc_lo, v4, v3
	s_wait_alu 0xfffd
	v_add_co_ci_u32_e64 v2, null, v5, v2, vcc_lo
	s_wait_alu 0xf1ff
	s_delay_alu instid0(VALU_DEP_3) | instskip(SKIP_2) | instid1(VALU_DEP_2)
	v_cndmask_b32_e64 v0, v66, v0, s2
	v_cndmask_b32_e64 v1, v67, v1, s2
	s_mov_b32 s2, exec_lo
	v_add_co_u32 v0, vcc_lo, v3, v0
	v_mov_b32_e32 v71, 0
	s_wait_alu 0xfffd
	v_add_co_ci_u32_e64 v1, null, v2, v1, vcc_lo
	s_delay_alu instid0(VALU_DEP_2) | instskip(SKIP_3) | instid1(VALU_DEP_4)
	v_dual_mov_b32 v83, v71 :: v_dual_and_b32 v70, 12, v0
	v_dual_mov_b32 v78, v71 :: v_dual_mov_b32 v79, v71
	v_dual_mov_b32 v80, v71 :: v_dual_mov_b32 v81, v71
	;; [unrolled: 1-line block ×3, first 2 shown]
	v_cmpx_ne_u64_e32 12, v[70:71]
	s_cbranch_execz .LBB50_31
; %bb.28:
	v_lshrrev_b32_e32 v2, 2, v0
	v_dual_mov_b32 v77, 0 :: v_dual_mov_b32 v82, 0
	v_dual_mov_b32 v81, 0 :: v_dual_mov_b32 v80, 0
	s_delay_alu instid0(VALU_DEP_3) | instskip(SKIP_2) | instid1(VALU_DEP_3)
	v_dual_mov_b32 v79, 0 :: v_dual_add_nc_u32 v4, 1, v2
	v_lshlrev_b64_e32 v[2:3], 3, v[64:65]
	v_dual_mov_b32 v78, 0 :: v_dual_mov_b32 v83, 0
	v_dual_mov_b32 v71, 0 :: v_dual_and_b32 v4, 3, v4
	s_delay_alu instid0(VALU_DEP_3) | instskip(SKIP_1) | instid1(VALU_DEP_4)
	v_add_co_u32 v2, vcc_lo, s8, v2
	s_wait_alu 0xfffd
	v_add_co_ci_u32_e64 v3, null, s9, v3, vcc_lo
	s_delay_alu instid0(VALU_DEP_3)
	v_sub_co_u32 v4, s6, 0, v4
	s_wait_alu 0xf1ff
	v_sub_co_ci_u32_e64 v5, null, 0, 0, s6
	s_mov_b32 s6, 0
.LBB50_29:                              ; =>This Inner Loop Header: Depth=1
	global_load_b64 v[18:19], v[2:3], off
	s_clause 0x2
	global_load_b128 v[6:9], v[68:69], off offset:32
	global_load_b128 v[10:13], v[68:69], off offset:16
	global_load_b128 v[14:17], v[68:69], off
	s_wait_loadcnt 0x3
	v_sub_co_u32 v18, vcc_lo, v18, v62
	s_wait_alu 0xfffd
	v_sub_co_ci_u32_e64 v19, null, v19, v63, vcc_lo
	s_delay_alu instid0(VALU_DEP_1) | instskip(SKIP_1) | instid1(VALU_DEP_1)
	v_lshlrev_b64_e32 v[18:19], 5, v[18:19]
	s_wait_kmcnt 0x0
	v_add_co_u32 v22, vcc_lo, s4, v18
	s_wait_alu 0xfffd
	s_delay_alu instid0(VALU_DEP_2)
	v_add_co_ci_u32_e64 v23, null, s5, v19, vcc_lo
	s_clause 0x1
	global_load_b128 v[18:21], v[22:23], off
	global_load_b128 v[22:25], v[22:23], off offset:16
	s_clause 0x4
	global_load_b128 v[26:29], v[68:69], off offset:48
	global_load_b128 v[30:33], v[68:69], off offset:64
	global_load_b128 v[34:37], v[68:69], off offset:80
	global_load_b128 v[38:41], v[68:69], off offset:96
	global_load_b128 v[42:45], v[68:69], off offset:112
	v_add_co_u32 v68, vcc_lo, 0x200, v68
	s_wait_alu 0xfffd
	v_add_co_ci_u32_e64 v69, null, 0, v69, vcc_lo
	v_add_co_u32 v64, vcc_lo, v64, 4
	s_wait_alu 0xfffd
	v_add_co_ci_u32_e64 v65, null, 0, v65, vcc_lo
	;; [unrolled: 3-line block ×4, first 2 shown]
	s_delay_alu instid0(VALU_DEP_3)
	v_cmp_eq_u64_e32 vcc_lo, 0, v[4:5]
	s_wait_alu 0xfffe
	s_or_b32 s6, vcc_lo, s6
	s_wait_loadcnt 0x6
	v_fmac_f32_e32 v78, v13, v18
	v_fmac_f32_e32 v77, v15, v18
	;; [unrolled: 1-line block ×4, first 2 shown]
	s_delay_alu instid0(VALU_DEP_4) | instskip(SKIP_3) | instid1(VALU_DEP_3)
	v_dual_fmac_f32 v81, v10, v18 :: v_dual_fmac_f32 v78, v12, v19
	v_fmac_f32_e32 v83, v16, v18
	v_dual_fmac_f32 v80, v12, v18 :: v_dual_fmac_f32 v77, v14, v19
	s_wait_loadcnt 0x4
	v_dual_fmac_f32 v78, v29, v20 :: v_dual_fmac_f32 v79, v11, v18
	s_delay_alu instid0(VALU_DEP_3) | instskip(NEXT) | instid1(VALU_DEP_2)
	v_fma_f32 v14, -v17, v19, v83
	v_dual_fmac_f32 v78, v28, v21 :: v_dual_fmac_f32 v79, v10, v19
	v_fma_f32 v10, -v13, v19, v80
	s_delay_alu instid0(VALU_DEP_3)
	v_fmac_f32_e32 v14, v8, v20
	v_fmac_f32_e32 v71, v16, v19
	v_fma_f32 v15, -v15, v19, v82
	s_wait_loadcnt 0x2
	v_fmac_f32_e32 v78, v37, v22
	v_fmac_f32_e32 v10, v28, v20
	v_fma_f32 v11, -v11, v19, v81
	v_fmac_f32_e32 v71, v9, v20
	s_delay_alu instid0(VALU_DEP_4) | instskip(NEXT) | instid1(VALU_DEP_3)
	v_dual_fmac_f32 v15, v6, v20 :: v_dual_fmac_f32 v78, v36, v23
	v_fmac_f32_e32 v11, v26, v20
	s_wait_loadcnt 0x0
	s_delay_alu instid0(VALU_DEP_2) | instskip(SKIP_1) | instid1(VALU_DEP_3)
	v_dual_fmac_f32 v71, v8, v21 :: v_dual_fmac_f32 v78, v45, v24
	v_fmac_f32_e32 v79, v27, v20
	v_fma_f32 v8, -v27, v21, v11
	s_delay_alu instid0(VALU_DEP_3) | instskip(NEXT) | instid1(VALU_DEP_3)
	v_dual_fmac_f32 v77, v7, v20 :: v_dual_fmac_f32 v78, v44, v25
	v_fmac_f32_e32 v79, v26, v21
	s_delay_alu instid0(VALU_DEP_3) | instskip(NEXT) | instid1(VALU_DEP_3)
	v_fmac_f32_e32 v8, v34, v22
	v_fmac_f32_e32 v77, v6, v21
	v_fma_f32 v6, -v9, v21, v14
	v_fma_f32 v9, -v29, v21, v10
	v_fmac_f32_e32 v79, v35, v22
	v_fma_f32 v8, -v35, v23, v8
	s_delay_alu instid0(VALU_DEP_4) | instskip(SKIP_1) | instid1(VALU_DEP_3)
	v_fmac_f32_e32 v6, v32, v22
	v_fma_f32 v7, -v7, v21, v15
	v_dual_fmac_f32 v9, v36, v22 :: v_dual_fmac_f32 v8, v42, v24
	v_fmac_f32_e32 v71, v33, v22
	s_delay_alu instid0(VALU_DEP_4) | instskip(NEXT) | instid1(VALU_DEP_4)
	v_fma_f32 v6, -v33, v23, v6
	v_fmac_f32_e32 v7, v30, v22
	s_delay_alu instid0(VALU_DEP_4)
	v_fma_f32 v9, -v37, v23, v9
	v_fma_f32 v81, -v43, v25, v8
	v_fmac_f32_e32 v71, v32, v23
	v_dual_fmac_f32 v6, v40, v24 :: v_dual_fmac_f32 v77, v31, v22
	v_fma_f32 v7, -v31, v23, v7
	v_fmac_f32_e32 v9, v44, v24
	s_delay_alu instid0(VALU_DEP_4)
	v_fmac_f32_e32 v71, v41, v24
	v_fmac_f32_e32 v79, v34, v23
	v_fmac_f32_e32 v77, v30, v23
	v_fmac_f32_e32 v7, v38, v24
	v_fma_f32 v83, -v41, v25, v6
	v_fmac_f32_e32 v71, v40, v25
	v_fmac_f32_e32 v79, v43, v24
	;; [unrolled: 1-line block ×3, first 2 shown]
	v_fma_f32 v82, -v39, v25, v7
	v_fma_f32 v80, -v45, v25, v9
	s_delay_alu instid0(VALU_DEP_4) | instskip(NEXT) | instid1(VALU_DEP_4)
	v_fmac_f32_e32 v79, v42, v25
	v_fmac_f32_e32 v77, v38, v25
	s_wait_alu 0xfffe
	s_and_not1_b32 exec_lo, exec_lo, s6
	s_cbranch_execnz .LBB50_29
; %bb.30:
	s_or_b32 exec_lo, exec_lo, s6
.LBB50_31:
	s_wait_alu 0xfffe
	s_or_b32 exec_lo, exec_lo, s2
	s_delay_alu instid0(SALU_CYCLE_1)
	s_mov_b32 s2, exec_lo
	v_cmpx_lt_u64_e32 11, v[0:1]
	s_cbranch_execz .LBB50_35
; %bb.32:
	v_lshlrev_b64_e32 v[0:1], 3, v[64:65]
	s_mov_b32 s6, 0
	s_delay_alu instid0(VALU_DEP_1) | instskip(SKIP_1) | instid1(VALU_DEP_2)
	v_add_co_u32 v0, vcc_lo, s8, v0
	s_wait_alu 0xfffd
	v_add_co_ci_u32_e64 v1, null, s9, v1, vcc_lo
	s_delay_alu instid0(VALU_DEP_2) | instskip(SKIP_1) | instid1(VALU_DEP_2)
	v_add_co_u32 v72, vcc_lo, v0, 64
	s_wait_alu 0xfffd
	v_add_co_ci_u32_e64 v73, null, 0, v1, vcc_lo
.LBB50_33:                              ; =>This Inner Loop Header: Depth=1
	global_load_b64 v[74:75], v[72:73], off offset:-64
	s_clause 0xd
	global_load_b128 v[16:19], v[68:69], off offset:48
	global_load_b128 v[44:47], v[68:69], off offset:32
	;; [unrolled: 1-line block ×3, first 2 shown]
	global_load_b128 v[52:55], v[68:69], off
	global_load_b128 v[28:31], v[68:69], off offset:112
	global_load_b128 v[32:35], v[68:69], off offset:96
	;; [unrolled: 1-line block ×10, first 2 shown]
	s_clause 0x2
	global_load_b64 v[140:141], v[72:73], off offset:-32
	global_load_b64 v[142:143], v[72:73], off
	global_load_b64 v[144:145], v[72:73], off offset:32
	s_clause 0xb
	global_load_b128 v[84:87], v[68:69], off offset:592
	global_load_b128 v[88:91], v[68:69], off offset:576
	;; [unrolled: 1-line block ×12, first 2 shown]
	s_wait_loadcnt 0x1d
	v_sub_co_u32 v74, vcc_lo, v74, v62
	s_wait_alu 0xfffd
	v_sub_co_ci_u32_e64 v75, null, v75, v63, vcc_lo
	s_delay_alu instid0(VALU_DEP_1) | instskip(SKIP_1) | instid1(VALU_DEP_1)
	v_lshlrev_b64_e32 v[74:75], 5, v[74:75]
	s_wait_kmcnt 0x0
	v_add_co_u32 v74, vcc_lo, s4, v74
	s_wait_alu 0xfffd
	s_delay_alu instid0(VALU_DEP_2)
	v_add_co_ci_u32_e64 v75, null, s5, v75, vcc_lo
	s_clause 0x1
	global_load_b128 v[132:135], v[74:75], off
	global_load_b128 v[136:139], v[74:75], off offset:16
	s_wait_loadcnt 0x1
	v_fmac_f32_e32 v71, v55, v132
	v_fmac_f32_e32 v82, v52, v132
	;; [unrolled: 1-line block ×6, first 2 shown]
	v_fma_f32 v70, -v53, v133, v82
	v_fmac_f32_e32 v83, v54, v132
	v_fmac_f32_e32 v80, v50, v132
	;; [unrolled: 1-line block ×5, first 2 shown]
	v_fma_f32 v74, -v55, v133, v83
	v_fma_f32 v146, -v51, v133, v80
	v_fmac_f32_e32 v81, v48, v132
	global_load_b128 v[52:55], v[68:69], off offset:1552
	v_fma_f32 v70, -v45, v135, v70
	v_fmac_f32_e32 v74, v46, v134
	v_fmac_f32_e32 v146, v18, v134
	v_fma_f32 v132, -v49, v133, v81
	s_wait_loadcnt 0x1
	v_dual_fmac_f32 v71, v47, v134 :: v_dual_fmac_f32 v70, v40, v136
	v_fma_f32 v147, -v47, v135, v74
	v_sub_co_u32 v74, vcc_lo, v140, v62
	s_wait_alu 0xfffd
	v_sub_co_ci_u32_e64 v75, null, v141, v63, vcc_lo
	v_sub_co_u32 v80, vcc_lo, v142, v62
	s_wait_alu 0xfffd
	v_sub_co_ci_u32_e64 v81, null, v143, v63, vcc_lo
	;; [unrolled: 3-line block ×3, first 2 shown]
	v_lshlrev_b64_e32 v[74:75], 5, v[74:75]
	v_lshlrev_b64_e32 v[80:81], 5, v[80:81]
	v_dual_fmac_f32 v71, v46, v135 :: v_dual_fmac_f32 v78, v19, v134
	v_fmac_f32_e32 v132, v16, v134
	v_fmac_f32_e32 v79, v48, v133
	v_lshlrev_b64_e32 v[82:83], 5, v[82:83]
	v_add_co_u32 v74, vcc_lo, s4, v74
	v_dual_fmac_f32 v77, v45, v134 :: v_dual_fmac_f32 v78, v18, v135
	s_wait_alu 0xfffd
	v_add_co_ci_u32_e64 v75, null, s5, v75, vcc_lo
	v_add_co_u32 v140, vcc_lo, s4, v80
	v_fma_f32 v144, -v17, v135, v132
	v_fmac_f32_e32 v79, v17, v134
	s_wait_alu 0xfffd
	v_add_co_ci_u32_e64 v141, null, s5, v81, vcc_lo
	v_add_co_u32 v142, vcc_lo, s4, v82
	global_load_b128 v[48:51], v[68:69], off offset:1536
	v_dual_fmac_f32 v77, v44, v135 :: v_dual_fmac_f32 v78, v39, v136
	global_load_b128 v[44:47], v[68:69], off offset:1616
	s_wait_alu 0xfffd
	v_add_co_ci_u32_e64 v143, null, s5, v83, vcc_lo
	v_fma_f32 v145, -v19, v135, v146
	v_fmac_f32_e32 v144, v36, v136
	v_dual_fmac_f32 v79, v16, v135 :: v_dual_fmac_f32 v78, v38, v137
	s_clause 0x2
	global_load_b128 v[16:19], v[74:75], off
	global_load_b128 v[80:83], v[74:75], off offset:16
	global_load_b128 v[132:135], v[140:141], off
	v_fmac_f32_e32 v147, v42, v136
	v_fma_f32 v70, -v41, v137, v70
	v_dual_fmac_f32 v77, v41, v136 :: v_dual_fmac_f32 v78, v31, v138
	v_fmac_f32_e32 v79, v37, v136
	s_delay_alu instid0(VALU_DEP_4)
	v_fma_f32 v74, -v43, v137, v147
	v_fmac_f32_e32 v71, v43, v136
	v_fma_f32 v75, -v37, v137, v144
	v_fmac_f32_e32 v70, v32, v138
	v_fmac_f32_e32 v78, v30, v139
	;; [unrolled: 1-line block ×3, first 2 shown]
	s_delay_alu instid0(VALU_DEP_4) | instskip(NEXT) | instid1(VALU_DEP_4)
	v_fmac_f32_e32 v75, v28, v138
	v_fma_f32 v70, -v33, v139, v70
	v_fmac_f32_e32 v71, v42, v137
	s_delay_alu instid0(VALU_DEP_4) | instskip(SKIP_1) | instid1(VALU_DEP_1)
	v_fma_f32 v74, -v35, v139, v74
	s_wait_loadcnt 0x2
	v_dual_fmac_f32 v79, v36, v137 :: v_dual_fmac_f32 v74, v14, v16
	v_fmac_f32_e32 v78, v11, v16
	v_dual_fmac_f32 v70, v12, v16 :: v_dual_fmac_f32 v71, v35, v138
	v_fma_f32 v75, -v29, v139, v75
	s_delay_alu instid0(VALU_DEP_3) | instskip(SKIP_1) | instid1(VALU_DEP_2)
	v_fmac_f32_e32 v78, v10, v17
	v_fmac_f32_e32 v145, v38, v136
	v_dual_fmac_f32 v75, v8, v16 :: v_dual_fmac_f32 v78, v3, v18
	s_delay_alu instid0(VALU_DEP_2)
	v_fma_f32 v136, -v39, v137, v145
	v_fmac_f32_e32 v77, v40, v137
	s_clause 0x1
	global_load_b128 v[40:43], v[140:141], off offset:16
	global_load_b128 v[36:39], v[142:143], off
	v_dual_fmac_f32 v79, v29, v138 :: v_dual_fmac_f32 v78, v2, v19
	v_fmac_f32_e32 v136, v30, v138
	v_fmac_f32_e32 v71, v34, v139
	s_wait_loadcnt 0x3
	s_delay_alu instid0(VALU_DEP_3) | instskip(NEXT) | instid1(VALU_DEP_3)
	v_dual_fmac_f32 v79, v28, v139 :: v_dual_fmac_f32 v78, v87, v80
	v_fma_f32 v144, -v31, v139, v136
	s_delay_alu instid0(VALU_DEP_2) | instskip(NEXT) | instid1(VALU_DEP_1)
	v_dual_fmac_f32 v77, v33, v138 :: v_dual_fmac_f32 v78, v86, v81
	v_dual_fmac_f32 v144, v10, v16 :: v_dual_fmac_f32 v77, v32, v139
	global_load_b128 v[32:35], v[68:69], off offset:1600
	global_load_b128 v[140:143], v[142:143], off offset:16
	s_clause 0x1
	global_load_b128 v[28:31], v[68:69], off offset:1632
	global_load_b128 v[136:139], v[68:69], off offset:1648
	v_dual_fmac_f32 v79, v9, v16 :: v_dual_fmac_f32 v78, v23, v82
	v_fmac_f32_e32 v77, v13, v16
	v_fma_f32 v13, -v13, v17, v70
	v_fma_f32 v9, -v9, v17, v75
	s_delay_alu instid0(VALU_DEP_4) | instskip(SKIP_1) | instid1(VALU_DEP_4)
	v_fmac_f32_e32 v79, v8, v17
	v_fma_f32 v8, -v11, v17, v144
	v_dual_fmac_f32 v78, v22, v83 :: v_dual_fmac_f32 v13, v4, v18
	s_delay_alu instid0(VALU_DEP_4) | instskip(NEXT) | instid1(VALU_DEP_4)
	v_fmac_f32_e32 v9, v0, v18
	v_fmac_f32_e32 v79, v1, v18
	s_delay_alu instid0(VALU_DEP_4) | instskip(SKIP_2) | instid1(VALU_DEP_3)
	v_dual_fmac_f32 v8, v2, v18 :: v_dual_fmac_f32 v77, v12, v17
	v_fma_f32 v12, -v15, v17, v74
	s_wait_loadcnt 0x6
	v_dual_fmac_f32 v78, v103, v132 :: v_dual_fmac_f32 v79, v0, v19
	s_delay_alu instid0(VALU_DEP_3) | instskip(SKIP_3) | instid1(VALU_DEP_4)
	v_fma_f32 v0, -v3, v19, v8
	v_fma_f32 v1, -v1, v19, v9
	v_fmac_f32_e32 v12, v6, v18
	v_add_co_u32 v68, vcc_lo, 0x800, v68
	v_fmac_f32_e32 v0, v86, v80
	s_wait_alu 0xfffd
	v_add_co_ci_u32_e64 v69, null, 0, v69, vcc_lo
	v_add_co_u32 v64, vcc_lo, v64, 16
	s_delay_alu instid0(VALU_DEP_3) | instskip(SKIP_3) | instid1(VALU_DEP_3)
	v_fma_f32 v0, -v87, v81, v0
	s_wait_alu 0xfffd
	v_add_co_ci_u32_e64 v65, null, 0, v65, vcc_lo
	v_add_co_u32 v72, vcc_lo, 0x80, v72
	v_fmac_f32_e32 v0, v22, v82
	v_fmac_f32_e32 v78, v102, v133
	s_wait_alu 0xfffd
	v_add_co_ci_u32_e64 v73, null, 0, v73, vcc_lo
	v_cmp_ge_i64_e32 vcc_lo, v[64:65], v[66:67]
	v_fma_f32 v0, -v23, v83, v0
	v_fmac_f32_e32 v77, v5, v18
	v_fma_f32 v5, -v5, v19, v13
	v_fmac_f32_e32 v78, v95, v134
	s_delay_alu instid0(VALU_DEP_4) | instskip(SKIP_2) | instid1(VALU_DEP_2)
	v_fmac_f32_e32 v0, v102, v132
	s_wait_alu 0xfffe
	s_or_b32 s6, vcc_lo, s6
	v_dual_fmac_f32 v5, v88, v80 :: v_dual_fmac_f32 v78, v94, v135
	s_delay_alu instid0(VALU_DEP_2) | instskip(SKIP_1) | instid1(VALU_DEP_3)
	v_fma_f32 v0, -v103, v133, v0
	v_fmac_f32_e32 v77, v4, v19
	v_fma_f32 v2, -v89, v81, v5
	v_fmac_f32_e32 v71, v15, v16
	;; [unrolled: 2-line block ×3, first 2 shown]
	s_delay_alu instid0(VALU_DEP_4) | instskip(NEXT) | instid1(VALU_DEP_3)
	v_fmac_f32_e32 v2, v24, v82
	v_fmac_f32_e32 v4, v90, v80
	s_delay_alu instid0(VALU_DEP_3) | instskip(NEXT) | instid1(VALU_DEP_3)
	v_fma_f32 v0, -v95, v135, v0
	v_fma_f32 v2, -v25, v83, v2
	v_fmac_f32_e32 v71, v14, v17
	s_delay_alu instid0(VALU_DEP_4) | instskip(NEXT) | instid1(VALU_DEP_2)
	v_fma_f32 v3, -v91, v81, v4
	v_dual_fmac_f32 v2, v104, v132 :: v_dual_fmac_f32 v71, v7, v18
	s_delay_alu instid0(VALU_DEP_1) | instskip(NEXT) | instid1(VALU_DEP_1)
	v_fma_f32 v2, -v105, v133, v2
	v_dual_fmac_f32 v71, v6, v19 :: v_dual_fmac_f32 v2, v96, v134
	s_delay_alu instid0(VALU_DEP_1) | instskip(SKIP_1) | instid1(VALU_DEP_1)
	v_fma_f32 v2, -v97, v135, v2
	s_wait_loadcnt 0x5
	v_dual_fmac_f32 v3, v26, v82 :: v_dual_fmac_f32 v2, v120, v40
	v_fmac_f32_e32 v0, v118, v40
	v_fmac_f32_e32 v78, v119, v40
	s_delay_alu instid0(VALU_DEP_3) | instskip(NEXT) | instid1(VALU_DEP_4)
	v_fma_f32 v3, -v27, v83, v3
	v_fma_f32 v2, -v121, v41, v2
	v_fmac_f32_e32 v77, v89, v80
	v_fma_f32 v0, -v119, v41, v0
	v_dual_fmac_f32 v71, v91, v80 :: v_dual_fmac_f32 v78, v118, v41
	s_delay_alu instid0(VALU_DEP_4) | instskip(NEXT) | instid1(VALU_DEP_3)
	v_fmac_f32_e32 v2, v112, v42
	v_dual_fmac_f32 v77, v88, v81 :: v_dual_fmac_f32 v0, v110, v42
	s_delay_alu instid0(VALU_DEP_3) | instskip(NEXT) | instid1(VALU_DEP_4)
	v_fmac_f32_e32 v71, v90, v81
	v_dual_fmac_f32 v1, v84, v80 :: v_dual_fmac_f32 v78, v111, v42
	v_fmac_f32_e32 v79, v85, v80
	s_delay_alu instid0(VALU_DEP_4) | instskip(SKIP_1) | instid1(VALU_DEP_4)
	v_fma_f32 v0, -v111, v43, v0
	v_fma_f32 v2, -v113, v43, v2
	v_fma_f32 v1, -v85, v81, v1
	s_delay_alu instid0(VALU_DEP_4) | instskip(SKIP_3) | instid1(VALU_DEP_3)
	v_dual_fmac_f32 v78, v110, v43 :: v_dual_fmac_f32 v79, v84, v81
	s_wait_loadcnt 0x4
	v_dual_fmac_f32 v0, v54, v36 :: v_dual_fmac_f32 v77, v25, v82
	v_fmac_f32_e32 v2, v48, v36
	v_dual_fmac_f32 v1, v20, v82 :: v_dual_fmac_f32 v78, v55, v36
	v_fmac_f32_e32 v71, v27, v82
	s_delay_alu instid0(VALU_DEP_4) | instskip(SKIP_4) | instid1(VALU_DEP_4)
	v_fma_f32 v0, -v55, v37, v0
	v_fmac_f32_e32 v77, v24, v83
	v_fma_f32 v2, -v49, v37, v2
	v_fmac_f32_e32 v78, v54, v37
	v_fmac_f32_e32 v71, v26, v83
	v_dual_fmac_f32 v0, v126, v38 :: v_dual_fmac_f32 v77, v105, v132
	s_delay_alu instid0(VALU_DEP_4) | instskip(NEXT) | instid1(VALU_DEP_4)
	v_fmac_f32_e32 v2, v128, v38
	v_fmac_f32_e32 v78, v127, v38
	v_fmac_f32_e32 v79, v21, v82
	s_delay_alu instid0(VALU_DEP_4)
	v_fma_f32 v0, -v127, v39, v0
	v_fma_f32 v1, -v21, v83, v1
	;; [unrolled: 1-line block ×3, first 2 shown]
	v_dual_fmac_f32 v78, v126, v39 :: v_dual_fmac_f32 v77, v104, v133
	s_wait_loadcnt 0x2
	v_dual_fmac_f32 v79, v20, v83 :: v_dual_fmac_f32 v0, v46, v140
	s_delay_alu instid0(VALU_DEP_3) | instskip(NEXT) | instid1(VALU_DEP_3)
	v_fmac_f32_e32 v2, v32, v140
	v_fmac_f32_e32 v78, v47, v140
	;; [unrolled: 1-line block ×4, first 2 shown]
	v_fma_f32 v0, -v47, v141, v0
	s_delay_alu instid0(VALU_DEP_4) | instskip(NEXT) | instid1(VALU_DEP_4)
	v_dual_fmac_f32 v1, v100, v132 :: v_dual_fmac_f32 v78, v46, v141
	v_fmac_f32_e32 v71, v106, v133
	v_fmac_f32_e32 v79, v101, v132
	v_fma_f32 v2, -v33, v141, v2
	v_fmac_f32_e32 v3, v106, v132
	s_wait_loadcnt 0x0
	v_fmac_f32_e32 v0, v138, v142
	v_fma_f32 v1, -v101, v133, v1
	v_dual_fmac_f32 v78, v139, v142 :: v_dual_fmac_f32 v79, v100, v133
	v_fmac_f32_e32 v2, v28, v142
	v_fma_f32 v3, -v107, v133, v3
	v_fmac_f32_e32 v71, v99, v134
	s_delay_alu instid0(VALU_DEP_4) | instskip(SKIP_1) | instid1(VALU_DEP_4)
	v_dual_fmac_f32 v1, v92, v134 :: v_dual_fmac_f32 v78, v138, v143
	v_fmac_f32_e32 v79, v93, v134
	v_fmac_f32_e32 v3, v98, v134
	v_fmac_f32_e32 v77, v96, v135
	v_fmac_f32_e32 v71, v98, v135
	v_fma_f32 v1, -v93, v135, v1
	v_fmac_f32_e32 v79, v92, v135
	v_fma_f32 v3, -v99, v135, v3
	v_fmac_f32_e32 v77, v121, v40
	v_fmac_f32_e32 v71, v123, v40
	v_fmac_f32_e32 v1, v116, v40
	v_fmac_f32_e32 v79, v117, v40
	v_fmac_f32_e32 v3, v122, v40
	v_fmac_f32_e32 v77, v120, v41
	v_fmac_f32_e32 v71, v122, v41
	v_fma_f32 v1, -v117, v41, v1
	v_fmac_f32_e32 v79, v116, v41
	v_fma_f32 v3, -v123, v41, v3
	v_fmac_f32_e32 v77, v113, v42
	v_fmac_f32_e32 v71, v115, v42
	v_fmac_f32_e32 v1, v108, v42
	;; [unrolled: 10-line block ×6, first 2 shown]
	v_fmac_f32_e32 v79, v137, v142
	v_fmac_f32_e32 v3, v30, v142
	v_fma_f32 v82, -v29, v143, v2
	v_fmac_f32_e32 v77, v28, v143
	v_fmac_f32_e32 v71, v30, v143
	v_fma_f32 v81, -v137, v143, v1
	v_fma_f32 v83, -v31, v143, v3
	v_fmac_f32_e32 v79, v136, v143
	v_fma_f32 v80, -v139, v143, v0
	s_wait_alu 0xfffe
	s_and_not1_b32 exec_lo, exec_lo, s6
	s_cbranch_execnz .LBB50_33
; %bb.34:
	s_or_b32 exec_lo, exec_lo, s6
.LBB50_35:
	s_wait_alu 0xfffe
	s_or_b32 exec_lo, exec_lo, s2
.LBB50_36:
	s_wait_alu 0xfffe
	s_or_b32 exec_lo, exec_lo, s3
.LBB50_37:
	v_mbcnt_lo_u32_b32 v0, -1, 0
	s_delay_alu instid0(VALU_DEP_1) | instskip(NEXT) | instid1(VALU_DEP_1)
	v_xor_b32_e32 v1, 2, v0
	v_cmp_gt_i32_e32 vcc_lo, 32, v1
	s_wait_alu 0xfffd
	v_cndmask_b32_e32 v1, v0, v1, vcc_lo
	s_delay_alu instid0(VALU_DEP_1)
	v_lshlrev_b32_e32 v1, 2, v1
	ds_bpermute_b32 v2, v1, v82
	ds_bpermute_b32 v3, v1, v77
	;; [unrolled: 1-line block ×8, first 2 shown]
	v_xor_b32_e32 v1, 1, v0
	s_delay_alu instid0(VALU_DEP_1)
	v_cmp_gt_i32_e32 vcc_lo, 32, v1
	s_wait_alu 0xfffd
	v_cndmask_b32_e32 v0, v0, v1, vcc_lo
	v_cmp_eq_u32_e32 vcc_lo, 3, v76
	s_wait_dscnt 0x6
	v_add_f32_e32 v1, v77, v3
	s_delay_alu instid0(VALU_DEP_3)
	v_dual_add_f32 v0, v82, v2 :: v_dual_lshlrev_b32 v15, 2, v0
	s_wait_dscnt 0x5
	v_add_f32_e32 v2, v83, v4
	s_wait_dscnt 0x3
	v_dual_add_f32 v3, v71, v5 :: v_dual_add_f32 v4, v81, v6
	s_wait_dscnt 0x1
	v_dual_add_f32 v5, v79, v7 :: v_dual_add_f32 v6, v80, v8
	s_wait_dscnt 0x0
	v_add_f32_e32 v7, v78, v9
	ds_bpermute_b32 v8, v15, v0
	ds_bpermute_b32 v9, v15, v1
	;; [unrolled: 1-line block ×8, first 2 shown]
	s_and_b32 exec_lo, exec_lo, vcc_lo
	s_cbranch_execz .LBB50_8
; %bb.38:
	s_load_b64 s[2:3], s[0:1], 0x58
	s_wait_dscnt 0x7
	v_add_f32_e32 v8, v0, v8
	s_wait_dscnt 0x6
	v_add_f32_e32 v0, v1, v9
	s_wait_dscnt 0x4
	v_dual_add_f32 v10, v2, v10 :: v_dual_add_f32 v1, v3, v11
	s_wait_dscnt 0x2
	v_dual_add_f32 v11, v4, v12 :: v_dual_add_f32 v2, v5, v13
	v_mul_f32_e32 v5, v58, v0
	s_wait_dscnt 0x0
	v_add_f32_e32 v3, v7, v15
	v_mul_f32_e64 v4, v0, -v59
	v_add_f32_e32 v12, v6, v14
	v_mul_f32_e64 v6, v1, -v59
	v_mul_f32_e32 v7, v58, v1
	v_mul_f32_e64 v0, v2, -v59
	v_mul_f32_e32 v1, v58, v2
	;; [unrolled: 2-line block ×3, first 2 shown]
	v_cmp_eq_f32_e32 vcc_lo, 0, v56
	v_cmp_eq_f32_e64 s0, 0, v57
	v_dual_fmac_f32 v4, v58, v8 :: v_dual_fmac_f32 v7, v59, v10
	v_fmac_f32_e32 v5, v59, v8
	v_lshlrev_b64_e32 v[8:9], 5, v[60:61]
	v_dual_fmac_f32 v6, v58, v10 :: v_dual_fmac_f32 v1, v59, v11
	v_dual_fmac_f32 v0, v58, v11 :: v_dual_fmac_f32 v3, v59, v12
	v_fmac_f32_e32 v2, v58, v12
	s_and_b32 s0, vcc_lo, s0
	s_wait_alu 0xfffe
	s_and_saveexec_b32 s1, s0
	s_wait_alu 0xfffe
	s_xor_b32 s0, exec_lo, s1
	s_cbranch_execz .LBB50_40
; %bb.39:
	s_wait_kmcnt 0x0
	v_add_co_u32 v8, vcc_lo, s2, v8
	s_wait_alu 0xfffd
	v_add_co_ci_u32_e64 v9, null, s3, v9, vcc_lo
                                        ; implicit-def: $vgpr56_vgpr57
	s_clause 0x1
	global_store_b128 v[8:9], v[4:7], off
	global_store_b128 v[8:9], v[0:3], off offset:16
                                        ; implicit-def: $vgpr4
                                        ; implicit-def: $vgpr8_vgpr9
                                        ; implicit-def: $vgpr0
.LBB50_40:
	s_wait_alu 0xfffe
	s_and_not1_saveexec_b32 s0, s0
	s_cbranch_execz .LBB50_8
; %bb.41:
	s_wait_kmcnt 0x0
	v_add_co_u32 v16, vcc_lo, s2, v8
	s_wait_alu 0xfffd
	v_add_co_ci_u32_e64 v17, null, s3, v9, vcc_lo
	s_clause 0x1
	global_load_b128 v[8:11], v[16:17], off
	global_load_b128 v[12:15], v[16:17], off offset:16
	s_wait_loadcnt 0x1
	v_dual_fmac_f32 v4, v56, v8 :: v_dual_fmac_f32 v7, v57, v10
	v_dual_fmac_f32 v5, v57, v8 :: v_dual_fmac_f32 v6, v56, v10
	s_wait_loadcnt 0x0
	v_dual_fmac_f32 v0, v56, v12 :: v_dual_fmac_f32 v3, v57, v14
	v_dual_fmac_f32 v1, v57, v12 :: v_dual_fmac_f32 v2, v56, v14
	v_fma_f32 v4, -v57, v9, v4
	v_fmac_f32_e32 v5, v56, v9
	v_fma_f32 v6, -v57, v11, v6
	v_fmac_f32_e32 v7, v56, v11
	;; [unrolled: 2-line block ×4, first 2 shown]
	s_clause 0x1
	global_store_b128 v[16:17], v[4:7], off
	global_store_b128 v[16:17], v[0:3], off offset:16
	s_nop 0
	s_sendmsg sendmsg(MSG_DEALLOC_VGPRS)
	s_endpgm
	.section	.rodata,"a",@progbits
	.p2align	6, 0x0
	.amdhsa_kernel _ZN9rocsparseL18bsrxmvn_4x4_kernelILj128ELj4E21rocsparse_complex_numIfEllS2_S2_S2_EEvT3_20rocsparse_direction_NS_24const_host_device_scalarIT1_EES3_PKS3_PKT2_SC_S9_PKT4_PKT5_S7_PT6_21rocsparse_index_base_b
		.amdhsa_group_segment_fixed_size 0
		.amdhsa_private_segment_fixed_size 0
		.amdhsa_kernarg_size 104
		.amdhsa_user_sgpr_count 2
		.amdhsa_user_sgpr_dispatch_ptr 0
		.amdhsa_user_sgpr_queue_ptr 0
		.amdhsa_user_sgpr_kernarg_segment_ptr 1
		.amdhsa_user_sgpr_dispatch_id 0
		.amdhsa_user_sgpr_private_segment_size 0
		.amdhsa_wavefront_size32 1
		.amdhsa_uses_dynamic_stack 0
		.amdhsa_enable_private_segment 0
		.amdhsa_system_sgpr_workgroup_id_x 1
		.amdhsa_system_sgpr_workgroup_id_y 0
		.amdhsa_system_sgpr_workgroup_id_z 0
		.amdhsa_system_sgpr_workgroup_info 0
		.amdhsa_system_vgpr_workitem_id 0
		.amdhsa_next_free_vgpr 180
		.amdhsa_next_free_sgpr 12
		.amdhsa_reserve_vcc 1
		.amdhsa_float_round_mode_32 0
		.amdhsa_float_round_mode_16_64 0
		.amdhsa_float_denorm_mode_32 3
		.amdhsa_float_denorm_mode_16_64 3
		.amdhsa_fp16_overflow 0
		.amdhsa_workgroup_processor_mode 1
		.amdhsa_memory_ordered 1
		.amdhsa_forward_progress 1
		.amdhsa_inst_pref_size 67
		.amdhsa_round_robin_scheduling 0
		.amdhsa_exception_fp_ieee_invalid_op 0
		.amdhsa_exception_fp_denorm_src 0
		.amdhsa_exception_fp_ieee_div_zero 0
		.amdhsa_exception_fp_ieee_overflow 0
		.amdhsa_exception_fp_ieee_underflow 0
		.amdhsa_exception_fp_ieee_inexact 0
		.amdhsa_exception_int_div_zero 0
	.end_amdhsa_kernel
	.section	.text._ZN9rocsparseL18bsrxmvn_4x4_kernelILj128ELj4E21rocsparse_complex_numIfEllS2_S2_S2_EEvT3_20rocsparse_direction_NS_24const_host_device_scalarIT1_EES3_PKS3_PKT2_SC_S9_PKT4_PKT5_S7_PT6_21rocsparse_index_base_b,"axG",@progbits,_ZN9rocsparseL18bsrxmvn_4x4_kernelILj128ELj4E21rocsparse_complex_numIfEllS2_S2_S2_EEvT3_20rocsparse_direction_NS_24const_host_device_scalarIT1_EES3_PKS3_PKT2_SC_S9_PKT4_PKT5_S7_PT6_21rocsparse_index_base_b,comdat
.Lfunc_end50:
	.size	_ZN9rocsparseL18bsrxmvn_4x4_kernelILj128ELj4E21rocsparse_complex_numIfEllS2_S2_S2_EEvT3_20rocsparse_direction_NS_24const_host_device_scalarIT1_EES3_PKS3_PKT2_SC_S9_PKT4_PKT5_S7_PT6_21rocsparse_index_base_b, .Lfunc_end50-_ZN9rocsparseL18bsrxmvn_4x4_kernelILj128ELj4E21rocsparse_complex_numIfEllS2_S2_S2_EEvT3_20rocsparse_direction_NS_24const_host_device_scalarIT1_EES3_PKS3_PKT2_SC_S9_PKT4_PKT5_S7_PT6_21rocsparse_index_base_b
                                        ; -- End function
	.set _ZN9rocsparseL18bsrxmvn_4x4_kernelILj128ELj4E21rocsparse_complex_numIfEllS2_S2_S2_EEvT3_20rocsparse_direction_NS_24const_host_device_scalarIT1_EES3_PKS3_PKT2_SC_S9_PKT4_PKT5_S7_PT6_21rocsparse_index_base_b.num_vgpr, 180
	.set _ZN9rocsparseL18bsrxmvn_4x4_kernelILj128ELj4E21rocsparse_complex_numIfEllS2_S2_S2_EEvT3_20rocsparse_direction_NS_24const_host_device_scalarIT1_EES3_PKS3_PKT2_SC_S9_PKT4_PKT5_S7_PT6_21rocsparse_index_base_b.num_agpr, 0
	.set _ZN9rocsparseL18bsrxmvn_4x4_kernelILj128ELj4E21rocsparse_complex_numIfEllS2_S2_S2_EEvT3_20rocsparse_direction_NS_24const_host_device_scalarIT1_EES3_PKS3_PKT2_SC_S9_PKT4_PKT5_S7_PT6_21rocsparse_index_base_b.numbered_sgpr, 12
	.set _ZN9rocsparseL18bsrxmvn_4x4_kernelILj128ELj4E21rocsparse_complex_numIfEllS2_S2_S2_EEvT3_20rocsparse_direction_NS_24const_host_device_scalarIT1_EES3_PKS3_PKT2_SC_S9_PKT4_PKT5_S7_PT6_21rocsparse_index_base_b.num_named_barrier, 0
	.set _ZN9rocsparseL18bsrxmvn_4x4_kernelILj128ELj4E21rocsparse_complex_numIfEllS2_S2_S2_EEvT3_20rocsparse_direction_NS_24const_host_device_scalarIT1_EES3_PKS3_PKT2_SC_S9_PKT4_PKT5_S7_PT6_21rocsparse_index_base_b.private_seg_size, 0
	.set _ZN9rocsparseL18bsrxmvn_4x4_kernelILj128ELj4E21rocsparse_complex_numIfEllS2_S2_S2_EEvT3_20rocsparse_direction_NS_24const_host_device_scalarIT1_EES3_PKS3_PKT2_SC_S9_PKT4_PKT5_S7_PT6_21rocsparse_index_base_b.uses_vcc, 1
	.set _ZN9rocsparseL18bsrxmvn_4x4_kernelILj128ELj4E21rocsparse_complex_numIfEllS2_S2_S2_EEvT3_20rocsparse_direction_NS_24const_host_device_scalarIT1_EES3_PKS3_PKT2_SC_S9_PKT4_PKT5_S7_PT6_21rocsparse_index_base_b.uses_flat_scratch, 0
	.set _ZN9rocsparseL18bsrxmvn_4x4_kernelILj128ELj4E21rocsparse_complex_numIfEllS2_S2_S2_EEvT3_20rocsparse_direction_NS_24const_host_device_scalarIT1_EES3_PKS3_PKT2_SC_S9_PKT4_PKT5_S7_PT6_21rocsparse_index_base_b.has_dyn_sized_stack, 0
	.set _ZN9rocsparseL18bsrxmvn_4x4_kernelILj128ELj4E21rocsparse_complex_numIfEllS2_S2_S2_EEvT3_20rocsparse_direction_NS_24const_host_device_scalarIT1_EES3_PKS3_PKT2_SC_S9_PKT4_PKT5_S7_PT6_21rocsparse_index_base_b.has_recursion, 0
	.set _ZN9rocsparseL18bsrxmvn_4x4_kernelILj128ELj4E21rocsparse_complex_numIfEllS2_S2_S2_EEvT3_20rocsparse_direction_NS_24const_host_device_scalarIT1_EES3_PKS3_PKT2_SC_S9_PKT4_PKT5_S7_PT6_21rocsparse_index_base_b.has_indirect_call, 0
	.section	.AMDGPU.csdata,"",@progbits
; Kernel info:
; codeLenInByte = 8464
; TotalNumSgprs: 14
; NumVgprs: 180
; ScratchSize: 0
; MemoryBound: 0
; FloatMode: 240
; IeeeMode: 1
; LDSByteSize: 0 bytes/workgroup (compile time only)
; SGPRBlocks: 0
; VGPRBlocks: 22
; NumSGPRsForWavesPerEU: 14
; NumVGPRsForWavesPerEU: 180
; Occupancy: 8
; WaveLimiterHint : 1
; COMPUTE_PGM_RSRC2:SCRATCH_EN: 0
; COMPUTE_PGM_RSRC2:USER_SGPR: 2
; COMPUTE_PGM_RSRC2:TRAP_HANDLER: 0
; COMPUTE_PGM_RSRC2:TGID_X_EN: 1
; COMPUTE_PGM_RSRC2:TGID_Y_EN: 0
; COMPUTE_PGM_RSRC2:TGID_Z_EN: 0
; COMPUTE_PGM_RSRC2:TIDIG_COMP_CNT: 0
	.section	.text._ZN9rocsparseL18bsrxmvn_4x4_kernelILj128ELj8E21rocsparse_complex_numIfEllS2_S2_S2_EEvT3_20rocsparse_direction_NS_24const_host_device_scalarIT1_EES3_PKS3_PKT2_SC_S9_PKT4_PKT5_S7_PT6_21rocsparse_index_base_b,"axG",@progbits,_ZN9rocsparseL18bsrxmvn_4x4_kernelILj128ELj8E21rocsparse_complex_numIfEllS2_S2_S2_EEvT3_20rocsparse_direction_NS_24const_host_device_scalarIT1_EES3_PKS3_PKT2_SC_S9_PKT4_PKT5_S7_PT6_21rocsparse_index_base_b,comdat
	.globl	_ZN9rocsparseL18bsrxmvn_4x4_kernelILj128ELj8E21rocsparse_complex_numIfEllS2_S2_S2_EEvT3_20rocsparse_direction_NS_24const_host_device_scalarIT1_EES3_PKS3_PKT2_SC_S9_PKT4_PKT5_S7_PT6_21rocsparse_index_base_b ; -- Begin function _ZN9rocsparseL18bsrxmvn_4x4_kernelILj128ELj8E21rocsparse_complex_numIfEllS2_S2_S2_EEvT3_20rocsparse_direction_NS_24const_host_device_scalarIT1_EES3_PKS3_PKT2_SC_S9_PKT4_PKT5_S7_PT6_21rocsparse_index_base_b
	.p2align	8
	.type	_ZN9rocsparseL18bsrxmvn_4x4_kernelILj128ELj8E21rocsparse_complex_numIfEllS2_S2_S2_EEvT3_20rocsparse_direction_NS_24const_host_device_scalarIT1_EES3_PKS3_PKT2_SC_S9_PKT4_PKT5_S7_PT6_21rocsparse_index_base_b,@function
_ZN9rocsparseL18bsrxmvn_4x4_kernelILj128ELj8E21rocsparse_complex_numIfEllS2_S2_S2_EEvT3_20rocsparse_direction_NS_24const_host_device_scalarIT1_EES3_PKS3_PKT2_SC_S9_PKT4_PKT5_S7_PT6_21rocsparse_index_base_b: ; @_ZN9rocsparseL18bsrxmvn_4x4_kernelILj128ELj8E21rocsparse_complex_numIfEllS2_S2_S2_EEvT3_20rocsparse_direction_NS_24const_host_device_scalarIT1_EES3_PKS3_PKT2_SC_S9_PKT4_PKT5_S7_PT6_21rocsparse_index_base_b
; %bb.0:
	s_clause 0x2
	s_load_b64 s[8:9], s[0:1], 0x60
	s_load_b128 s[4:7], s[0:1], 0x10
	s_load_b64 s[2:3], s[0:1], 0x50
	s_add_nc_u64 s[10:11], s[0:1], 16
	s_wait_kmcnt 0x0
	s_bitcmp1_b32 s9, 0
	s_cselect_b32 s4, s10, s4
	s_cselect_b32 s5, s11, s5
	s_delay_alu instid0(SALU_CYCLE_1)
	v_dual_mov_b32 v1, s4 :: v_dual_mov_b32 v2, s5
	s_add_nc_u64 s[4:5], s[0:1], 0x50
	s_wait_alu 0xfffe
	s_cselect_b32 s2, s4, s2
	s_cselect_b32 s3, s5, s3
	flat_load_b64 v[58:59], v[1:2]
	v_dual_mov_b32 v1, s2 :: v_dual_mov_b32 v2, s3
	flat_load_b64 v[56:57], v[1:2]
	s_wait_loadcnt_dscnt 0x101
	v_cmp_eq_f32_e32 vcc_lo, 0, v58
	v_cmp_eq_f32_e64 s2, 0, v59
	s_and_b32 s4, vcc_lo, s2
	s_mov_b32 s2, -1
	s_wait_alu 0xfffe
	s_and_saveexec_b32 s3, s4
	s_cbranch_execz .LBB51_2
; %bb.1:
	s_wait_loadcnt_dscnt 0x0
	v_cmp_neq_f32_e32 vcc_lo, 1.0, v56
	v_cmp_neq_f32_e64 s2, 0, v57
	s_or_b32 s2, vcc_lo, s2
	s_wait_alu 0xfffe
	s_or_not1_b32 s2, s2, exec_lo
.LBB51_2:
	s_wait_alu 0xfffe
	s_or_b32 exec_lo, exec_lo, s3
	s_and_saveexec_b32 s3, s2
	s_cbranch_execz .LBB51_8
; %bb.3:
	s_load_b64 s[2:3], s[0:1], 0x20
	v_lshrrev_b32_e32 v1, 3, v0
	v_mov_b32_e32 v2, 0
	s_delay_alu instid0(VALU_DEP_2)
	v_lshl_or_b32 v1, ttmp9, 4, v1
	s_wait_kmcnt 0x0
	s_cmp_lg_u64 s[2:3], 0
	s_cbranch_scc0 .LBB51_9
; %bb.4:
	s_delay_alu instid0(VALU_DEP_1)
	v_cmp_gt_i64_e32 vcc_lo, s[6:7], v[1:2]
	s_mov_b32 s5, 0
	s_mov_b32 s4, 0
                                        ; implicit-def: $vgpr60_vgpr61
                                        ; implicit-def: $vgpr62_vgpr63
	s_and_saveexec_b32 s6, vcc_lo
	s_wait_alu 0xfffe
	s_xor_b32 s6, exec_lo, s6
	s_cbranch_execz .LBB51_6
; %bb.5:
	v_lshlrev_b64_e32 v[3:4], 3, v[1:2]
	s_mov_b32 s9, 0
	s_mov_b32 s4, exec_lo
	v_dual_mov_b32 v63, s9 :: v_dual_mov_b32 v62, s8
	s_delay_alu instid0(VALU_DEP_2) | instskip(NEXT) | instid1(VALU_DEP_1)
	v_add_co_u32 v3, vcc_lo, s2, v3
	v_add_co_ci_u32_e64 v4, null, s3, v4, vcc_lo
	global_load_b64 v[3:4], v[3:4], off
	s_wait_loadcnt 0x0
	v_sub_co_u32 v60, vcc_lo, v3, s8
	s_wait_alu 0xfffd
	v_subrev_co_ci_u32_e64 v61, null, 0, v4, vcc_lo
.LBB51_6:
	s_wait_alu 0xfffe
	s_or_b32 exec_lo, exec_lo, s6
	s_delay_alu instid0(SALU_CYCLE_1)
	s_and_b32 vcc_lo, exec_lo, s5
	s_wait_alu 0xfffe
	s_cbranch_vccnz .LBB51_10
.LBB51_7:
	s_wait_alu 0xfffe
	s_and_b32 exec_lo, exec_lo, s4
	s_cbranch_execnz .LBB51_13
.LBB51_8:
	s_nop 0
	s_sendmsg sendmsg(MSG_DEALLOC_VGPRS)
	s_endpgm
.LBB51_9:
	s_mov_b32 s4, 0
                                        ; implicit-def: $vgpr60_vgpr61
                                        ; implicit-def: $vgpr62_vgpr63
	s_cbranch_execz .LBB51_7
.LBB51_10:
	s_load_b64 s[2:3], s[0:1], 0x0
	s_wait_kmcnt 0x0
	v_cmp_gt_i64_e32 vcc_lo, s[2:3], v[1:2]
	s_and_saveexec_b32 s2, vcc_lo
; %bb.11:
	s_mov_b32 s9, 0
	s_or_b32 s4, s4, exec_lo
; %bb.12:
	s_wait_alu 0xfffe
	s_or_b32 exec_lo, exec_lo, s2
	v_dual_mov_b32 v63, s9 :: v_dual_mov_b32 v62, s8
	v_dual_mov_b32 v61, v2 :: v_dual_mov_b32 v60, v1
	s_and_b32 exec_lo, exec_lo, s4
	s_cbranch_execz .LBB51_8
.LBB51_13:
	s_load_b256 s[4:11], s[0:1], 0x28
	s_delay_alu instid0(VALU_DEP_1) | instskip(SKIP_3) | instid1(VALU_DEP_2)
	v_lshlrev_b64_e32 v[1:2], 3, v[60:61]
	v_dual_mov_b32 v77, 0 :: v_dual_and_b32 v76, 7, v0
	s_load_b32 s3, s[0:1], 0x8
	s_wait_kmcnt 0x0
	v_add_co_u32 v3, vcc_lo, s4, v1
	s_wait_alu 0xfffd
	v_add_co_ci_u32_e64 v4, null, s5, v2, vcc_lo
	v_add_co_u32 v1, vcc_lo, s6, v1
	s_wait_alu 0xfffd
	v_add_co_ci_u32_e64 v2, null, s7, v2, vcc_lo
	v_add_co_u32 v5, vcc_lo, v3, 8
	global_load_b64 v[24:25], v[3:4], off
	s_wait_alu 0xfffd
	v_add_co_ci_u32_e64 v6, null, 0, v4, vcc_lo
	s_cmp_eq_u64 s[6:7], 0
	s_load_b64 s[4:5], s[0:1], 0x48
	s_cselect_b32 vcc_lo, -1, 0
	s_cmp_eq_u32 s3, 1
	s_wait_alu 0xfffe
	v_dual_cndmask_b32 v2, v2, v6 :: v_dual_cndmask_b32 v1, v1, v5
	global_load_b64 v[1:2], v[1:2], off
	s_wait_loadcnt 0x1
	v_sub_co_u32 v0, vcc_lo, v24, v62
	s_wait_alu 0xfffd
	v_sub_co_ci_u32_e64 v3, null, v25, v63, vcc_lo
	s_delay_alu instid0(VALU_DEP_2) | instskip(SKIP_1) | instid1(VALU_DEP_2)
	v_add_co_u32 v64, vcc_lo, v0, v76
	s_wait_alu 0xfffd
	v_add_co_ci_u32_e64 v65, null, 0, v3, vcc_lo
	s_wait_loadcnt 0x0
	v_sub_co_u32 v66, vcc_lo, v1, v62
	s_delay_alu instid0(VALU_DEP_2) | instskip(SKIP_2) | instid1(VALU_DEP_2)
	v_lshlrev_b64_e32 v[0:1], 7, v[64:65]
	s_wait_alu 0xfffd
	v_sub_co_ci_u32_e64 v67, null, v2, v63, vcc_lo
	v_add_co_u32 v68, vcc_lo, s10, v0
	s_delay_alu instid0(VALU_DEP_2)
	v_cmp_lt_i64_e64 s2, v[64:65], v[66:67]
	s_wait_alu 0xfffd
	v_add_co_ci_u32_e64 v69, null, s11, v1, vcc_lo
	s_cbranch_scc1 .LBB51_25
; %bb.14:
	v_dual_mov_b32 v82, 0 :: v_dual_mov_b32 v81, 0
	v_dual_mov_b32 v80, 0 :: v_dual_mov_b32 v79, 0
	;; [unrolled: 1-line block ×3, first 2 shown]
	v_mov_b32_e32 v71, 0
	s_and_saveexec_b32 s6, s2
	s_cbranch_execz .LBB51_24
; %bb.15:
	v_or_b32_e32 v0, 8, v76
	v_not_b32_e32 v3, v24
	v_sub_co_u32 v4, s3, v62, v76
	v_not_b32_e32 v2, v25
	s_delay_alu instid0(VALU_DEP_4)
	v_sub_co_u32 v0, vcc_lo, v0, v62
	s_wait_alu 0xfffd
	v_sub_co_ci_u32_e64 v1, null, 0, v63, vcc_lo
	s_wait_alu 0xf1ff
	v_subrev_co_ci_u32_e64 v5, null, 0, v63, s3
	v_add_co_u32 v0, vcc_lo, v0, v24
	s_wait_alu 0xfffd
	v_add_co_ci_u32_e64 v1, null, v1, v25, vcc_lo
	s_mov_b32 s3, exec_lo
	v_dual_mov_b32 v26, v68 :: v_dual_mov_b32 v27, v69
	v_mov_b32_e32 v28, v64
	v_cmp_gt_i64_e32 vcc_lo, v[0:1], v[66:67]
	v_mov_b32_e32 v71, 0
	v_mov_b32_e32 v29, v65
	s_wait_alu 0xfffd
	v_dual_cndmask_b32 v1, v67, v1 :: v_dual_cndmask_b32 v0, v66, v0
	v_add_co_u32 v3, vcc_lo, v4, v3
	s_wait_alu 0xfffd
	v_add_co_ci_u32_e64 v2, null, v5, v2, vcc_lo
	v_mov_b32_e32 v77, v71
	s_delay_alu instid0(VALU_DEP_3) | instskip(SKIP_3) | instid1(VALU_DEP_4)
	v_add_co_u32 v0, vcc_lo, v3, v0
	v_dual_mov_b32 v83, v71 :: v_dual_mov_b32 v78, v71
	v_dual_mov_b32 v79, v71 :: v_dual_mov_b32 v80, v71
	;; [unrolled: 1-line block ×3, first 2 shown]
	v_and_b32_e32 v70, 24, v0
	s_wait_alu 0xfffd
	v_add_co_ci_u32_e64 v1, null, v2, v1, vcc_lo
	s_delay_alu instid0(VALU_DEP_2)
	v_cmpx_ne_u64_e32 24, v[70:71]
	s_cbranch_execz .LBB51_19
; %bb.16:
	v_lshrrev_b32_e32 v2, 3, v0
	v_dual_mov_b32 v77, 0 :: v_dual_mov_b32 v28, v64
	v_dual_mov_b32 v29, v65 :: v_dual_mov_b32 v26, v68
	s_delay_alu instid0(VALU_DEP_3) | instskip(SKIP_2) | instid1(VALU_DEP_3)
	v_dual_mov_b32 v27, v69 :: v_dual_add_nc_u32 v4, 1, v2
	v_lshlrev_b64_e32 v[2:3], 3, v[64:65]
	v_dual_mov_b32 v82, 0 :: v_dual_mov_b32 v81, 0
	v_dual_mov_b32 v79, 0 :: v_dual_and_b32 v4, 3, v4
	v_dual_mov_b32 v80, 0 :: v_dual_mov_b32 v83, 0
	s_delay_alu instid0(VALU_DEP_4) | instskip(NEXT) | instid1(VALU_DEP_3)
	v_add_co_u32 v2, vcc_lo, s8, v2
	v_sub_co_u32 v4, s7, 0, v4
	s_wait_alu 0xfffd
	v_add_co_ci_u32_e64 v3, null, s9, v3, vcc_lo
	s_wait_alu 0xf1ff
	v_sub_co_ci_u32_e64 v5, null, 0, 0, s7
	v_dual_mov_b32 v78, 0 :: v_dual_mov_b32 v71, 0
	s_mov_b32 s7, 0
.LBB51_17:                              ; =>This Inner Loop Header: Depth=1
	global_load_b64 v[22:23], v[2:3], off
	s_clause 0x7
	global_load_b128 v[6:9], v[26:27], off offset:48
	global_load_b128 v[10:13], v[26:27], off offset:32
	;; [unrolled: 1-line block ×3, first 2 shown]
	global_load_b128 v[18:21], v[26:27], off
	global_load_b128 v[30:33], v[26:27], off offset:112
	global_load_b128 v[34:37], v[26:27], off offset:96
	;; [unrolled: 1-line block ×4, first 2 shown]
	s_wait_loadcnt 0x8
	v_sub_co_u32 v22, vcc_lo, v22, v62
	s_wait_alu 0xfffd
	v_sub_co_ci_u32_e64 v23, null, v23, v63, vcc_lo
	s_delay_alu instid0(VALU_DEP_1) | instskip(SKIP_1) | instid1(VALU_DEP_1)
	v_lshlrev_b64_e32 v[22:23], 5, v[22:23]
	s_wait_kmcnt 0x0
	v_add_co_u32 v22, vcc_lo, s4, v22
	s_wait_alu 0xfffd
	s_delay_alu instid0(VALU_DEP_2)
	v_add_co_ci_u32_e64 v23, null, s5, v23, vcc_lo
	v_add_co_u32 v26, vcc_lo, 0x400, v26
	s_wait_alu 0xfffd
	v_add_co_ci_u32_e64 v27, null, 0, v27, vcc_lo
	s_clause 0x1
	global_load_b128 v[46:49], v[22:23], off
	global_load_b128 v[50:53], v[22:23], off offset:16
	v_add_co_u32 v28, vcc_lo, v28, 8
	s_wait_alu 0xfffd
	v_add_co_ci_u32_e64 v29, null, 0, v29, vcc_lo
	v_add_co_u32 v4, vcc_lo, v4, 1
	s_wait_alu 0xfffd
	v_add_co_ci_u32_e64 v5, null, 0, v5, vcc_lo
	;; [unrolled: 3-line block ×3, first 2 shown]
	s_delay_alu instid0(VALU_DEP_3)
	v_cmp_eq_u64_e32 vcc_lo, 0, v[4:5]
	s_wait_alu 0xfffe
	s_or_b32 s7, vcc_lo, s7
	s_wait_loadcnt 0x1
	v_fmac_f32_e32 v78, v35, v46
	v_fmac_f32_e32 v77, v19, v46
	;; [unrolled: 1-line block ×4, first 2 shown]
	s_delay_alu instid0(VALU_DEP_4) | instskip(NEXT) | instid1(VALU_DEP_4)
	v_fmac_f32_e32 v78, v34, v47
	v_fmac_f32_e32 v77, v18, v47
	;; [unrolled: 1-line block ×4, first 2 shown]
	v_fma_f32 v19, -v19, v47, v82
	v_fmac_f32_e32 v78, v37, v48
	v_fmac_f32_e32 v77, v21, v48
	v_fma_f32 v18, -v35, v47, v80
	v_fmac_f32_e32 v71, v11, v46
	s_delay_alu instid0(VALU_DEP_4) | instskip(SKIP_1) | instid1(VALU_DEP_3)
	v_dual_fmac_f32 v79, v43, v46 :: v_dual_fmac_f32 v78, v36, v49
	v_fmac_f32_e32 v19, v20, v48
	v_dual_fmac_f32 v18, v36, v48 :: v_dual_fmac_f32 v71, v10, v47
	v_fma_f32 v10, -v43, v47, v81
	s_wait_loadcnt 0x0
	v_fmac_f32_e32 v78, v31, v50
	v_fma_f32 v19, -v21, v49, v19
	v_fmac_f32_e32 v71, v13, v48
	v_fmac_f32_e32 v10, v44, v48
	v_fma_f32 v11, -v11, v47, v83
	v_dual_fmac_f32 v78, v30, v51 :: v_dual_fmac_f32 v77, v20, v49
	s_delay_alu instid0(VALU_DEP_4) | instskip(NEXT) | instid1(VALU_DEP_4)
	v_fmac_f32_e32 v71, v12, v49
	v_fma_f32 v10, -v45, v49, v10
	s_delay_alu instid0(VALU_DEP_4) | instskip(SKIP_1) | instid1(VALU_DEP_4)
	v_fmac_f32_e32 v11, v12, v48
	v_fma_f32 v12, -v37, v49, v18
	v_dual_fmac_f32 v78, v33, v52 :: v_dual_fmac_f32 v71, v7, v50
	s_delay_alu instid0(VALU_DEP_4) | instskip(NEXT) | instid1(VALU_DEP_4)
	v_fmac_f32_e32 v10, v38, v50
	v_fma_f32 v11, -v13, v49, v11
	s_delay_alu instid0(VALU_DEP_4) | instskip(NEXT) | instid1(VALU_DEP_4)
	v_fmac_f32_e32 v12, v30, v50
	v_dual_fmac_f32 v77, v15, v50 :: v_dual_fmac_f32 v78, v32, v53
	v_fmac_f32_e32 v71, v6, v51
	s_delay_alu instid0(VALU_DEP_4) | instskip(SKIP_4) | instid1(VALU_DEP_4)
	v_fmac_f32_e32 v11, v6, v50
	v_fma_f32 v6, -v39, v51, v10
	v_fmac_f32_e32 v79, v42, v47
	v_fma_f32 v10, -v31, v51, v12
	v_fmac_f32_e32 v19, v14, v50
	v_dual_fmac_f32 v77, v14, v51 :: v_dual_fmac_f32 v6, v40, v52
	s_delay_alu instid0(VALU_DEP_4)
	v_fmac_f32_e32 v79, v45, v48
	v_fma_f32 v7, -v7, v51, v11
	v_fmac_f32_e32 v10, v32, v52
	v_fma_f32 v13, -v15, v51, v19
	v_fmac_f32_e32 v71, v9, v52
	v_fmac_f32_e32 v79, v44, v49
	;; [unrolled: 1-line block ×7, first 2 shown]
	v_fma_f32 v83, -v9, v53, v7
	v_fmac_f32_e32 v77, v16, v53
	v_fma_f32 v82, -v17, v53, v13
	v_fma_f32 v81, -v41, v53, v6
	v_fmac_f32_e32 v79, v38, v51
	v_fma_f32 v80, -v33, v53, v10
	s_delay_alu instid0(VALU_DEP_2) | instskip(NEXT) | instid1(VALU_DEP_1)
	v_fmac_f32_e32 v79, v41, v52
	v_fmac_f32_e32 v79, v40, v53
	s_wait_alu 0xfffe
	s_and_not1_b32 exec_lo, exec_lo, s7
	s_cbranch_execnz .LBB51_17
; %bb.18:
	s_or_b32 exec_lo, exec_lo, s7
.LBB51_19:
	s_wait_alu 0xfffe
	s_or_b32 exec_lo, exec_lo, s3
	s_delay_alu instid0(SALU_CYCLE_1)
	s_mov_b32 s3, exec_lo
	v_cmpx_lt_u64_e32 23, v[0:1]
	s_cbranch_execz .LBB51_23
; %bb.20:
	v_lshlrev_b64_e32 v[0:1], 3, v[28:29]
	s_mov_b32 s7, 0
	s_delay_alu instid0(VALU_DEP_1) | instskip(SKIP_1) | instid1(VALU_DEP_2)
	v_add_co_u32 v0, vcc_lo, s8, v0
	s_wait_alu 0xfffd
	v_add_co_ci_u32_e64 v1, null, s9, v1, vcc_lo
	s_delay_alu instid0(VALU_DEP_2) | instskip(SKIP_1) | instid1(VALU_DEP_2)
	v_add_co_u32 v30, vcc_lo, 0x80, v0
	s_wait_alu 0xfffd
	v_add_co_ci_u32_e64 v31, null, 0, v1, vcc_lo
.LBB51_21:                              ; =>This Inner Loop Header: Depth=1
	s_clause 0x3
	global_load_b64 v[32:33], v[30:31], off offset:-128
	global_load_b64 v[54:55], v[30:31], off offset:-64
	global_load_b64 v[164:165], v[30:31], off
	global_load_b64 v[166:167], v[30:31], off offset:64
	s_clause 0x1f
	global_load_b128 v[34:37], v[26:27], off offset:48
	global_load_b128 v[38:41], v[26:27], off offset:32
	;; [unrolled: 1-line block ×3, first 2 shown]
	global_load_b128 v[46:49], v[26:27], off
	global_load_b128 v[50:53], v[26:27], off offset:112
	global_load_b128 v[72:75], v[26:27], off offset:96
	;; [unrolled: 1-line block ×28, first 2 shown]
	s_wait_loadcnt 0x23
	v_sub_co_u32 v32, vcc_lo, v32, v62
	s_wait_alu 0xfffd
	v_sub_co_ci_u32_e64 v33, null, v33, v63, vcc_lo
	s_wait_loadcnt 0x22
	v_sub_co_u32 v54, vcc_lo, v54, v62
	s_wait_alu 0xfffd
	v_sub_co_ci_u32_e64 v55, null, v55, v63, vcc_lo
	s_wait_loadcnt 0x21
	v_sub_co_u32 v164, vcc_lo, v164, v62
	s_wait_alu 0xfffd
	v_sub_co_ci_u32_e64 v165, null, v165, v63, vcc_lo
	s_wait_loadcnt 0x20
	v_sub_co_u32 v166, vcc_lo, v166, v62
	v_lshlrev_b64_e32 v[32:33], 5, v[32:33]
	s_wait_alu 0xfffd
	v_sub_co_ci_u32_e64 v167, null, v167, v63, vcc_lo
	v_lshlrev_b64_e32 v[54:55], 5, v[54:55]
	v_lshlrev_b64_e32 v[164:165], 5, v[164:165]
	s_delay_alu instid0(VALU_DEP_3)
	v_lshlrev_b64_e32 v[166:167], 5, v[166:167]
	s_wait_kmcnt 0x0
	v_add_co_u32 v32, vcc_lo, s4, v32
	s_wait_alu 0xfffd
	v_add_co_ci_u32_e64 v33, null, s5, v33, vcc_lo
	v_add_co_u32 v54, vcc_lo, s4, v54
	s_wait_alu 0xfffd
	v_add_co_ci_u32_e64 v55, null, s5, v55, vcc_lo
	;; [unrolled: 3-line block ×4, first 2 shown]
	s_clause 0x1
	global_load_b128 v[164:167], v[32:33], off
	global_load_b128 v[168:171], v[32:33], off offset:16
	v_add_co_u32 v28, vcc_lo, v28, 32
	s_wait_alu 0xfffd
	v_add_co_ci_u32_e64 v29, null, 0, v29, vcc_lo
	v_add_co_u32 v26, vcc_lo, 0x1000, v26
	s_wait_alu 0xfffd
	v_add_co_ci_u32_e64 v27, null, 0, v27, vcc_lo
	;; [unrolled: 3-line block ×3, first 2 shown]
	v_cmp_ge_i64_e32 vcc_lo, v[28:29], v[66:67]
	s_wait_alu 0xfffe
	s_or_b32 s7, vcc_lo, s7
	s_wait_loadcnt 0x1
	v_fmac_f32_e32 v77, v47, v164
	s_delay_alu instid0(VALU_DEP_1) | instskip(NEXT) | instid1(VALU_DEP_1)
	v_dual_fmac_f32 v80, v72, v164 :: v_dual_fmac_f32 v77, v46, v165
	v_dual_fmac_f32 v82, v46, v164 :: v_dual_fmac_f32 v77, v49, v166
	s_delay_alu instid0(VALU_DEP_1) | instskip(NEXT) | instid1(VALU_DEP_2)
	v_fma_f32 v32, -v47, v165, v82
	v_fmac_f32_e32 v77, v48, v167
	s_delay_alu instid0(VALU_DEP_2) | instskip(NEXT) | instid1(VALU_DEP_1)
	v_fmac_f32_e32 v32, v48, v166
	v_fma_f32 v32, -v49, v167, v32
	s_clause 0x1
	global_load_b128 v[46:49], v[54:55], off
	global_load_b128 v[172:175], v[54:55], off offset:16
	v_fma_f32 v55, -v73, v165, v80
	v_fmac_f32_e32 v78, v73, v164
	s_wait_loadcnt 0x2
	v_fmac_f32_e32 v32, v42, v168
	s_delay_alu instid0(VALU_DEP_3) | instskip(NEXT) | instid1(VALU_DEP_3)
	v_fmac_f32_e32 v55, v74, v166
	v_dual_fmac_f32 v83, v38, v164 :: v_dual_fmac_f32 v78, v72, v165
	v_fmac_f32_e32 v81, v88, v164
	s_delay_alu instid0(VALU_DEP_4) | instskip(SKIP_1) | instid1(VALU_DEP_4)
	v_fma_f32 v32, -v43, v169, v32
	v_fmac_f32_e32 v79, v89, v164
	v_fma_f32 v33, -v39, v165, v83
	v_fmac_f32_e32 v78, v75, v166
	v_fma_f32 v54, -v89, v165, v81
	v_dual_fmac_f32 v71, v39, v164 :: v_dual_fmac_f32 v32, v44, v170
	s_delay_alu instid0(VALU_DEP_3) | instskip(NEXT) | instid1(VALU_DEP_3)
	v_dual_fmac_f32 v33, v40, v166 :: v_dual_fmac_f32 v78, v74, v167
	v_fmac_f32_e32 v54, v90, v166
	v_fma_f32 v55, -v75, v167, v55
	s_delay_alu instid0(VALU_DEP_4) | instskip(NEXT) | instid1(VALU_DEP_4)
	v_fma_f32 v32, -v45, v171, v32
	v_fma_f32 v33, -v41, v167, v33
	v_fmac_f32_e32 v78, v51, v168
	v_fma_f32 v54, -v91, v167, v54
	v_fmac_f32_e32 v71, v38, v165
	s_delay_alu instid0(VALU_DEP_4) | instskip(NEXT) | instid1(VALU_DEP_4)
	v_fmac_f32_e32 v33, v34, v168
	v_fmac_f32_e32 v78, v50, v169
	s_delay_alu instid0(VALU_DEP_3) | instskip(NEXT) | instid1(VALU_DEP_2)
	v_dual_fmac_f32 v54, v84, v168 :: v_dual_fmac_f32 v71, v41, v166
	v_dual_fmac_f32 v77, v43, v168 :: v_dual_fmac_f32 v78, v53, v170
	s_delay_alu instid0(VALU_DEP_2) | instskip(SKIP_2) | instid1(VALU_DEP_1)
	v_fmac_f32_e32 v71, v40, v167
	global_load_b128 v[38:41], v[176:177], off
	v_dual_fmac_f32 v78, v52, v171 :: v_dual_fmac_f32 v71, v35, v168
	v_fmac_f32_e32 v71, v34, v169
	v_fma_f32 v34, -v85, v169, v54
	s_delay_alu instid0(VALU_DEP_1) | instskip(NEXT) | instid1(VALU_DEP_1)
	v_dual_fmac_f32 v79, v88, v165 :: v_dual_fmac_f32 v34, v86, v170
	v_fmac_f32_e32 v79, v91, v166
	s_delay_alu instid0(VALU_DEP_2) | instskip(NEXT) | instid1(VALU_DEP_2)
	v_fma_f32 v34, -v87, v171, v34
	v_fmac_f32_e32 v79, v90, v167
	s_clause 0x2
	global_load_b128 v[88:91], v[176:177], off offset:16
	global_load_b128 v[72:75], v[178:179], off
	global_load_b128 v[164:167], v[178:179], off offset:16
	s_wait_loadcnt 0x5
	v_fmac_f32_e32 v32, v104, v46
	v_fmac_f32_e32 v34, v120, v46
	;; [unrolled: 1-line block ×4, first 2 shown]
	v_fma_f32 v33, -v35, v169, v33
	v_fma_f32 v32, -v105, v47, v32
	;; [unrolled: 1-line block ×3, first 2 shown]
	v_dual_fmac_f32 v78, v112, v47 :: v_dual_fmac_f32 v77, v42, v169
	s_delay_alu instid0(VALU_DEP_3) | instskip(NEXT) | instid1(VALU_DEP_3)
	v_dual_fmac_f32 v79, v84, v169 :: v_dual_fmac_f32 v32, v106, v48
	v_fmac_f32_e32 v34, v122, v48
	s_delay_alu instid0(VALU_DEP_3) | instskip(SKIP_1) | instid1(VALU_DEP_4)
	v_dual_fmac_f32 v78, v115, v48 :: v_dual_fmac_f32 v77, v45, v170
	v_fmac_f32_e32 v33, v36, v170
	v_fma_f32 v32, -v107, v49, v32
	s_delay_alu instid0(VALU_DEP_4) | instskip(NEXT) | instid1(VALU_DEP_4)
	v_fma_f32 v34, -v123, v49, v34
	v_dual_fmac_f32 v78, v114, v49 :: v_dual_fmac_f32 v79, v87, v170
	s_delay_alu instid0(VALU_DEP_4)
	v_fma_f32 v33, -v37, v171, v33
	s_wait_loadcnt 0x4
	v_dual_fmac_f32 v32, v100, v172 :: v_dual_fmac_f32 v71, v37, v170
	v_fmac_f32_e32 v34, v116, v172
	v_fmac_f32_e32 v78, v109, v172
	;; [unrolled: 1-line block ×3, first 2 shown]
	s_delay_alu instid0(VALU_DEP_4)
	v_fma_f32 v32, -v101, v173, v32
	v_fmac_f32_e32 v77, v44, v171
	v_fma_f32 v34, -v117, v173, v34
	v_fmac_f32_e32 v71, v36, v171
	v_fmac_f32_e32 v78, v108, v173
	v_fma_f32 v35, -v51, v169, v55
	v_fmac_f32_e32 v79, v86, v171
	v_fmac_f32_e32 v34, v118, v174
	;; [unrolled: 1-line block ×5, first 2 shown]
	s_delay_alu instid0(VALU_DEP_4) | instskip(NEXT) | instid1(VALU_DEP_4)
	v_fma_f32 v34, -v119, v175, v34
	v_fma_f32 v32, -v103, v175, v32
	s_delay_alu instid0(VALU_DEP_4) | instskip(NEXT) | instid1(VALU_DEP_4)
	v_fmac_f32_e32 v78, v110, v175
	v_fma_f32 v35, -v53, v171, v35
	s_wait_loadcnt 0x3
	v_fmac_f32_e32 v34, v140, v38
	v_fmac_f32_e32 v32, v128, v38
	;; [unrolled: 1-line block ×4, first 2 shown]
	s_delay_alu instid0(VALU_DEP_4) | instskip(NEXT) | instid1(VALU_DEP_3)
	v_fma_f32 v34, -v141, v39, v34
	v_dual_fmac_f32 v71, v97, v46 :: v_dual_fmac_f32 v78, v132, v39
	v_fmac_f32_e32 v79, v121, v46
	v_fma_f32 v32, -v129, v39, v32
	s_delay_alu instid0(VALU_DEP_3) | instskip(NEXT) | instid1(VALU_DEP_4)
	v_dual_fmac_f32 v34, v142, v40 :: v_dual_fmac_f32 v71, v96, v47
	v_dual_fmac_f32 v78, v135, v40 :: v_dual_fmac_f32 v35, v112, v46
	s_delay_alu instid0(VALU_DEP_3) | instskip(NEXT) | instid1(VALU_DEP_3)
	v_dual_fmac_f32 v33, v96, v46 :: v_dual_fmac_f32 v32, v130, v40
	v_fma_f32 v34, -v143, v41, v34
	s_delay_alu instid0(VALU_DEP_3) | instskip(NEXT) | instid1(VALU_DEP_3)
	v_dual_fmac_f32 v78, v134, v41 :: v_dual_fmac_f32 v77, v104, v47
	v_fma_f32 v33, -v97, v47, v33
	v_fma_f32 v35, -v113, v47, v35
	;; [unrolled: 1-line block ×3, first 2 shown]
	s_wait_loadcnt 0x2
	v_fmac_f32_e32 v78, v13, v88
	v_fmac_f32_e32 v77, v107, v48
	;; [unrolled: 1-line block ×5, first 2 shown]
	v_dual_fmac_f32 v78, v12, v89 :: v_dual_fmac_f32 v35, v114, v48
	s_delay_alu instid0(VALU_DEP_4) | instskip(NEXT) | instid1(VALU_DEP_2)
	v_fma_f32 v33, -v99, v49, v33
	v_dual_fmac_f32 v77, v106, v49 :: v_dual_fmac_f32 v78, v15, v90
	v_fmac_f32_e32 v71, v99, v48
	s_delay_alu instid0(VALU_DEP_3) | instskip(SKIP_1) | instid1(VALU_DEP_4)
	v_fmac_f32_e32 v33, v92, v172
	v_fma_f32 v35, -v115, v49, v35
	v_fmac_f32_e32 v78, v14, v91
	s_delay_alu instid0(VALU_DEP_4) | instskip(NEXT) | instid1(VALU_DEP_4)
	v_fmac_f32_e32 v71, v98, v49
	v_fma_f32 v33, -v93, v173, v33
	s_wait_loadcnt 0x1
	s_delay_alu instid0(VALU_DEP_3) | instskip(NEXT) | instid1(VALU_DEP_3)
	v_fmac_f32_e32 v78, v153, v72
	v_fmac_f32_e32 v71, v93, v172
	s_delay_alu instid0(VALU_DEP_2) | instskip(NEXT) | instid1(VALU_DEP_2)
	v_dual_fmac_f32 v33, v94, v174 :: v_dual_fmac_f32 v78, v152, v73
	v_fmac_f32_e32 v71, v92, v173
	s_delay_alu instid0(VALU_DEP_2) | instskip(NEXT) | instid1(VALU_DEP_3)
	v_fma_f32 v33, -v95, v175, v33
	v_fmac_f32_e32 v78, v155, v74
	s_delay_alu instid0(VALU_DEP_3) | instskip(NEXT) | instid1(VALU_DEP_2)
	v_fmac_f32_e32 v71, v95, v174
	v_dual_fmac_f32 v33, v124, v38 :: v_dual_fmac_f32 v78, v154, v75
	s_delay_alu instid0(VALU_DEP_2) | instskip(NEXT) | instid1(VALU_DEP_2)
	v_fmac_f32_e32 v71, v94, v175
	v_fma_f32 v33, -v125, v39, v33
	s_wait_loadcnt 0x0
	s_delay_alu instid0(VALU_DEP_3) | instskip(NEXT) | instid1(VALU_DEP_3)
	v_fmac_f32_e32 v78, v149, v164
	v_fmac_f32_e32 v71, v125, v38
	s_delay_alu instid0(VALU_DEP_2) | instskip(NEXT) | instid1(VALU_DEP_2)
	v_dual_fmac_f32 v33, v126, v40 :: v_dual_fmac_f32 v78, v148, v165
	v_fmac_f32_e32 v71, v124, v39
	s_delay_alu instid0(VALU_DEP_2) | instskip(NEXT) | instid1(VALU_DEP_3)
	v_fma_f32 v33, -v127, v41, v33
	v_fmac_f32_e32 v78, v151, v166
	s_delay_alu instid0(VALU_DEP_3) | instskip(NEXT) | instid1(VALU_DEP_2)
	v_fmac_f32_e32 v71, v127, v40
	v_dual_fmac_f32 v33, v8, v88 :: v_dual_fmac_f32 v78, v150, v167
	s_delay_alu instid0(VALU_DEP_2) | instskip(NEXT) | instid1(VALU_DEP_1)
	v_fmac_f32_e32 v71, v126, v41
	v_fmac_f32_e32 v71, v9, v88
	s_delay_alu instid0(VALU_DEP_3) | instskip(NEXT) | instid1(VALU_DEP_2)
	v_fma_f32 v9, -v9, v89, v33
	v_fmac_f32_e32 v71, v8, v89
	v_fma_f32 v8, -v137, v89, v34
	v_fmac_f32_e32 v79, v120, v47
	s_delay_alu instid0(VALU_DEP_4) | instskip(NEXT) | instid1(VALU_DEP_4)
	v_fmac_f32_e32 v9, v10, v90
	v_fmac_f32_e32 v71, v11, v90
	s_delay_alu instid0(VALU_DEP_3) | instskip(NEXT) | instid1(VALU_DEP_3)
	v_dual_fmac_f32 v8, v138, v90 :: v_dual_fmac_f32 v79, v123, v48
	v_fma_f32 v9, -v11, v91, v9
	s_delay_alu instid0(VALU_DEP_3) | instskip(NEXT) | instid1(VALU_DEP_3)
	v_fmac_f32_e32 v71, v10, v91
	v_fma_f32 v8, -v139, v91, v8
	s_delay_alu instid0(VALU_DEP_3) | instskip(NEXT) | instid1(VALU_DEP_3)
	v_fmac_f32_e32 v9, v20, v72
	v_fmac_f32_e32 v71, v21, v72
	s_delay_alu instid0(VALU_DEP_3) | instskip(NEXT) | instid1(VALU_DEP_3)
	v_fmac_f32_e32 v8, v160, v72
	v_fma_f32 v9, -v21, v73, v9
	s_delay_alu instid0(VALU_DEP_3) | instskip(NEXT) | instid1(VALU_DEP_3)
	v_fmac_f32_e32 v71, v20, v73
	v_fma_f32 v8, -v161, v73, v8
	v_fmac_f32_e32 v77, v101, v172
	s_delay_alu instid0(VALU_DEP_4) | instskip(NEXT) | instid1(VALU_DEP_4)
	v_fmac_f32_e32 v9, v22, v74
	v_fmac_f32_e32 v71, v23, v74
	s_delay_alu instid0(VALU_DEP_3) | instskip(NEXT) | instid1(VALU_DEP_3)
	v_dual_fmac_f32 v8, v162, v74 :: v_dual_fmac_f32 v77, v100, v173
	v_fma_f32 v9, -v23, v75, v9
	s_delay_alu instid0(VALU_DEP_3) | instskip(NEXT) | instid1(VALU_DEP_3)
	v_fmac_f32_e32 v71, v22, v75
	v_fma_f32 v8, -v163, v75, v8
	s_delay_alu instid0(VALU_DEP_3) | instskip(NEXT) | instid1(VALU_DEP_3)
	v_fmac_f32_e32 v9, v0, v164
	v_fmac_f32_e32 v71, v1, v164
	s_delay_alu instid0(VALU_DEP_3) | instskip(NEXT) | instid1(VALU_DEP_3)
	v_fmac_f32_e32 v8, v156, v164
	v_fma_f32 v1, -v1, v165, v9
	s_delay_alu instid0(VALU_DEP_3) | instskip(NEXT) | instid1(VALU_DEP_3)
	v_fmac_f32_e32 v71, v0, v165
	v_fma_f32 v0, -v157, v165, v8
	v_fmac_f32_e32 v35, v108, v172
	s_delay_alu instid0(VALU_DEP_4) | instskip(NEXT) | instid1(VALU_DEP_4)
	v_fmac_f32_e32 v1, v2, v166
	v_fmac_f32_e32 v71, v3, v166
	s_delay_alu instid0(VALU_DEP_4) | instskip(NEXT) | instid1(VALU_DEP_4)
	v_fmac_f32_e32 v0, v158, v166
	v_fma_f32 v35, -v109, v173, v35
	s_delay_alu instid0(VALU_DEP_4) | instskip(NEXT) | instid1(VALU_DEP_4)
	v_fma_f32 v83, -v3, v167, v1
	v_fmac_f32_e32 v71, v2, v167
	s_delay_alu instid0(VALU_DEP_4) | instskip(NEXT) | instid1(VALU_DEP_4)
	v_fma_f32 v81, -v159, v167, v0
	v_fmac_f32_e32 v35, v110, v174
	s_delay_alu instid0(VALU_DEP_1) | instskip(NEXT) | instid1(VALU_DEP_1)
	v_fma_f32 v35, -v111, v175, v35
	v_fmac_f32_e32 v35, v132, v38
	s_delay_alu instid0(VALU_DEP_1) | instskip(NEXT) | instid1(VALU_DEP_1)
	;; [unrolled: 3-line block ×5, first 2 shown]
	v_fma_f32 v10, -v15, v91, v13
	v_dual_fmac_f32 v77, v103, v174 :: v_dual_fmac_f32 v10, v152, v72
	s_delay_alu instid0(VALU_DEP_1) | instskip(NEXT) | instid1(VALU_DEP_2)
	v_fmac_f32_e32 v77, v102, v175
	v_fma_f32 v10, -v153, v73, v10
	s_delay_alu instid0(VALU_DEP_2) | instskip(NEXT) | instid1(VALU_DEP_1)
	v_fmac_f32_e32 v77, v129, v38
	v_dual_fmac_f32 v10, v154, v74 :: v_dual_fmac_f32 v77, v128, v39
	s_delay_alu instid0(VALU_DEP_1) | instskip(NEXT) | instid1(VALU_DEP_2)
	v_fma_f32 v10, -v155, v75, v10
	v_fmac_f32_e32 v77, v131, v40
	s_delay_alu instid0(VALU_DEP_1) | instskip(NEXT) | instid1(VALU_DEP_1)
	v_dual_fmac_f32 v10, v148, v164 :: v_dual_fmac_f32 v77, v130, v41
	v_fmac_f32_e32 v77, v17, v88
	v_fma_f32 v17, -v17, v89, v32
	s_delay_alu instid0(VALU_DEP_2) | instskip(NEXT) | instid1(VALU_DEP_2)
	v_fmac_f32_e32 v77, v16, v89
	v_fmac_f32_e32 v17, v18, v90
	s_delay_alu instid0(VALU_DEP_2) | instskip(NEXT) | instid1(VALU_DEP_2)
	v_fmac_f32_e32 v77, v19, v90
	v_fma_f32 v12, -v19, v91, v17
	v_fmac_f32_e32 v79, v122, v49
	s_delay_alu instid0(VALU_DEP_2) | instskip(NEXT) | instid1(VALU_DEP_2)
	v_dual_fmac_f32 v77, v18, v91 :: v_dual_fmac_f32 v12, v144, v72
	v_fmac_f32_e32 v79, v117, v172
	s_delay_alu instid0(VALU_DEP_2) | instskip(NEXT) | instid1(VALU_DEP_3)
	v_fmac_f32_e32 v77, v145, v72
	v_fma_f32 v11, -v145, v73, v12
	s_delay_alu instid0(VALU_DEP_2) | instskip(NEXT) | instid1(VALU_DEP_2)
	v_fmac_f32_e32 v77, v144, v73
	v_fmac_f32_e32 v11, v146, v74
	s_delay_alu instid0(VALU_DEP_2) | instskip(NEXT) | instid1(VALU_DEP_2)
	v_fmac_f32_e32 v77, v147, v74
	v_fma_f32 v11, -v147, v75, v11
	s_delay_alu instid0(VALU_DEP_2) | instskip(NEXT) | instid1(VALU_DEP_2)
	v_fmac_f32_e32 v77, v146, v75
	v_fmac_f32_e32 v11, v4, v164
	s_delay_alu instid0(VALU_DEP_2) | instskip(NEXT) | instid1(VALU_DEP_2)
	v_fmac_f32_e32 v77, v5, v164
	v_fma_f32 v5, -v5, v165, v11
	s_delay_alu instid0(VALU_DEP_2) | instskip(SKIP_2) | instid1(VALU_DEP_4)
	v_fmac_f32_e32 v77, v4, v165
	v_fma_f32 v4, -v149, v165, v10
	v_fmac_f32_e32 v79, v116, v173
	v_fmac_f32_e32 v5, v6, v166
	s_delay_alu instid0(VALU_DEP_4) | instskip(NEXT) | instid1(VALU_DEP_4)
	v_fmac_f32_e32 v77, v7, v166
	v_fmac_f32_e32 v4, v150, v166
	s_delay_alu instid0(VALU_DEP_4) | instskip(NEXT) | instid1(VALU_DEP_4)
	v_fmac_f32_e32 v79, v119, v174
	v_fma_f32 v82, -v7, v167, v5
	s_delay_alu instid0(VALU_DEP_4) | instskip(NEXT) | instid1(VALU_DEP_4)
	v_fmac_f32_e32 v77, v6, v167
	v_fma_f32 v80, -v151, v167, v4
	s_delay_alu instid0(VALU_DEP_4) | instskip(NEXT) | instid1(VALU_DEP_1)
	v_fmac_f32_e32 v79, v118, v175
	v_fmac_f32_e32 v79, v141, v38
	s_delay_alu instid0(VALU_DEP_1) | instskip(NEXT) | instid1(VALU_DEP_1)
	v_fmac_f32_e32 v79, v140, v39
	v_fmac_f32_e32 v79, v143, v40
	s_delay_alu instid0(VALU_DEP_1) | instskip(NEXT) | instid1(VALU_DEP_1)
	;; [unrolled: 3-line block ×7, first 2 shown]
	v_fmac_f32_e32 v79, v156, v165
	v_fmac_f32_e32 v79, v159, v166
	s_delay_alu instid0(VALU_DEP_1)
	v_fmac_f32_e32 v79, v158, v167
	s_wait_alu 0xfffe
	s_and_not1_b32 exec_lo, exec_lo, s7
	s_cbranch_execnz .LBB51_21
; %bb.22:
	s_or_b32 exec_lo, exec_lo, s7
.LBB51_23:
	s_wait_alu 0xfffe
	s_or_b32 exec_lo, exec_lo, s3
.LBB51_24:
	s_wait_alu 0xfffe
	s_or_b32 exec_lo, exec_lo, s6
	s_cbranch_execz .LBB51_26
	s_branch .LBB51_37
.LBB51_25:
                                        ; implicit-def: $vgpr77
                                        ; implicit-def: $vgpr82
                                        ; implicit-def: $vgpr80
                                        ; implicit-def: $vgpr78
                                        ; implicit-def: $vgpr81
                                        ; implicit-def: $vgpr79
                                        ; implicit-def: $vgpr83
                                        ; implicit-def: $vgpr71
.LBB51_26:
	v_dual_mov_b32 v77, 0 :: v_dual_mov_b32 v82, 0
	v_dual_mov_b32 v80, 0 :: v_dual_mov_b32 v81, 0
	;; [unrolled: 1-line block ×3, first 2 shown]
	v_mov_b32_e32 v83, 0
	v_mov_b32_e32 v71, 0
	s_and_saveexec_b32 s3, s2
	s_cbranch_execz .LBB51_36
; %bb.27:
	v_or_b32_e32 v0, 8, v76
	v_not_b32_e32 v3, v24
	v_not_b32_e32 v2, v25
	s_delay_alu instid0(VALU_DEP_3) | instskip(SKIP_2) | instid1(VALU_DEP_2)
	v_sub_co_u32 v0, vcc_lo, v0, v62
	s_wait_alu 0xfffd
	v_sub_co_ci_u32_e64 v1, null, 0, v63, vcc_lo
	v_add_co_u32 v0, vcc_lo, v0, v24
	s_wait_alu 0xfffd
	s_delay_alu instid0(VALU_DEP_2) | instskip(SKIP_3) | instid1(VALU_DEP_3)
	v_add_co_ci_u32_e64 v1, null, v1, v25, vcc_lo
	v_sub_co_u32 v4, vcc_lo, v62, v76
	s_wait_alu 0xfffd
	v_subrev_co_ci_u32_e64 v5, null, 0, v63, vcc_lo
	v_cmp_gt_i64_e64 s2, v[0:1], v[66:67]
	s_delay_alu instid0(VALU_DEP_3) | instskip(SKIP_1) | instid1(VALU_DEP_3)
	v_add_co_u32 v3, vcc_lo, v4, v3
	s_wait_alu 0xfffd
	v_add_co_ci_u32_e64 v2, null, v5, v2, vcc_lo
	s_wait_alu 0xf1ff
	s_delay_alu instid0(VALU_DEP_3) | instskip(SKIP_2) | instid1(VALU_DEP_2)
	v_cndmask_b32_e64 v0, v66, v0, s2
	v_cndmask_b32_e64 v1, v67, v1, s2
	s_mov_b32 s2, exec_lo
	v_add_co_u32 v0, vcc_lo, v3, v0
	v_mov_b32_e32 v71, 0
	s_wait_alu 0xfffd
	v_add_co_ci_u32_e64 v1, null, v2, v1, vcc_lo
	s_delay_alu instid0(VALU_DEP_2) | instskip(SKIP_3) | instid1(VALU_DEP_4)
	v_dual_mov_b32 v83, v71 :: v_dual_and_b32 v70, 24, v0
	v_dual_mov_b32 v78, v71 :: v_dual_mov_b32 v79, v71
	v_dual_mov_b32 v80, v71 :: v_dual_mov_b32 v81, v71
	;; [unrolled: 1-line block ×3, first 2 shown]
	v_cmpx_ne_u64_e32 24, v[70:71]
	s_cbranch_execz .LBB51_31
; %bb.28:
	v_lshrrev_b32_e32 v2, 3, v0
	v_dual_mov_b32 v77, 0 :: v_dual_mov_b32 v82, 0
	v_dual_mov_b32 v81, 0 :: v_dual_mov_b32 v80, 0
	s_delay_alu instid0(VALU_DEP_3) | instskip(SKIP_2) | instid1(VALU_DEP_3)
	v_dual_mov_b32 v79, 0 :: v_dual_add_nc_u32 v4, 1, v2
	v_lshlrev_b64_e32 v[2:3], 3, v[64:65]
	v_dual_mov_b32 v78, 0 :: v_dual_mov_b32 v83, 0
	v_dual_mov_b32 v71, 0 :: v_dual_and_b32 v4, 3, v4
	s_delay_alu instid0(VALU_DEP_3) | instskip(SKIP_1) | instid1(VALU_DEP_4)
	v_add_co_u32 v2, vcc_lo, s8, v2
	s_wait_alu 0xfffd
	v_add_co_ci_u32_e64 v3, null, s9, v3, vcc_lo
	s_delay_alu instid0(VALU_DEP_3)
	v_sub_co_u32 v4, s6, 0, v4
	s_wait_alu 0xf1ff
	v_sub_co_ci_u32_e64 v5, null, 0, 0, s6
	s_mov_b32 s6, 0
.LBB51_29:                              ; =>This Inner Loop Header: Depth=1
	global_load_b64 v[18:19], v[2:3], off
	s_clause 0x2
	global_load_b128 v[6:9], v[68:69], off offset:32
	global_load_b128 v[10:13], v[68:69], off offset:16
	global_load_b128 v[14:17], v[68:69], off
	s_wait_loadcnt 0x3
	v_sub_co_u32 v18, vcc_lo, v18, v62
	s_wait_alu 0xfffd
	v_sub_co_ci_u32_e64 v19, null, v19, v63, vcc_lo
	s_delay_alu instid0(VALU_DEP_1) | instskip(SKIP_1) | instid1(VALU_DEP_1)
	v_lshlrev_b64_e32 v[18:19], 5, v[18:19]
	s_wait_kmcnt 0x0
	v_add_co_u32 v22, vcc_lo, s4, v18
	s_wait_alu 0xfffd
	s_delay_alu instid0(VALU_DEP_2)
	v_add_co_ci_u32_e64 v23, null, s5, v19, vcc_lo
	s_clause 0x1
	global_load_b128 v[18:21], v[22:23], off
	global_load_b128 v[22:25], v[22:23], off offset:16
	s_clause 0x4
	global_load_b128 v[26:29], v[68:69], off offset:48
	global_load_b128 v[30:33], v[68:69], off offset:64
	;; [unrolled: 1-line block ×5, first 2 shown]
	v_add_co_u32 v68, vcc_lo, 0x400, v68
	s_wait_alu 0xfffd
	v_add_co_ci_u32_e64 v69, null, 0, v69, vcc_lo
	v_add_co_u32 v64, vcc_lo, v64, 8
	s_wait_alu 0xfffd
	v_add_co_ci_u32_e64 v65, null, 0, v65, vcc_lo
	;; [unrolled: 3-line block ×4, first 2 shown]
	s_delay_alu instid0(VALU_DEP_3)
	v_cmp_eq_u64_e32 vcc_lo, 0, v[4:5]
	s_wait_alu 0xfffe
	s_or_b32 s6, vcc_lo, s6
	s_wait_loadcnt 0x6
	v_fmac_f32_e32 v78, v13, v18
	v_fmac_f32_e32 v77, v15, v18
	;; [unrolled: 1-line block ×4, first 2 shown]
	s_delay_alu instid0(VALU_DEP_4) | instskip(SKIP_3) | instid1(VALU_DEP_3)
	v_dual_fmac_f32 v81, v10, v18 :: v_dual_fmac_f32 v78, v12, v19
	v_fmac_f32_e32 v83, v16, v18
	v_dual_fmac_f32 v80, v12, v18 :: v_dual_fmac_f32 v77, v14, v19
	s_wait_loadcnt 0x4
	v_dual_fmac_f32 v78, v29, v20 :: v_dual_fmac_f32 v79, v11, v18
	s_delay_alu instid0(VALU_DEP_3) | instskip(NEXT) | instid1(VALU_DEP_2)
	v_fma_f32 v14, -v17, v19, v83
	v_dual_fmac_f32 v78, v28, v21 :: v_dual_fmac_f32 v79, v10, v19
	v_fma_f32 v10, -v13, v19, v80
	s_delay_alu instid0(VALU_DEP_3)
	v_fmac_f32_e32 v14, v8, v20
	v_fmac_f32_e32 v71, v16, v19
	v_fma_f32 v15, -v15, v19, v82
	s_wait_loadcnt 0x2
	v_fmac_f32_e32 v78, v37, v22
	v_fmac_f32_e32 v10, v28, v20
	v_fma_f32 v11, -v11, v19, v81
	v_fmac_f32_e32 v71, v9, v20
	s_delay_alu instid0(VALU_DEP_4) | instskip(NEXT) | instid1(VALU_DEP_3)
	v_dual_fmac_f32 v15, v6, v20 :: v_dual_fmac_f32 v78, v36, v23
	v_fmac_f32_e32 v11, v26, v20
	s_wait_loadcnt 0x0
	s_delay_alu instid0(VALU_DEP_2) | instskip(SKIP_1) | instid1(VALU_DEP_3)
	v_dual_fmac_f32 v71, v8, v21 :: v_dual_fmac_f32 v78, v45, v24
	v_fmac_f32_e32 v79, v27, v20
	v_fma_f32 v8, -v27, v21, v11
	s_delay_alu instid0(VALU_DEP_3) | instskip(NEXT) | instid1(VALU_DEP_3)
	v_dual_fmac_f32 v77, v7, v20 :: v_dual_fmac_f32 v78, v44, v25
	v_fmac_f32_e32 v79, v26, v21
	s_delay_alu instid0(VALU_DEP_3) | instskip(NEXT) | instid1(VALU_DEP_3)
	v_fmac_f32_e32 v8, v34, v22
	v_fmac_f32_e32 v77, v6, v21
	v_fma_f32 v6, -v9, v21, v14
	v_fma_f32 v9, -v29, v21, v10
	v_fmac_f32_e32 v79, v35, v22
	v_fma_f32 v8, -v35, v23, v8
	s_delay_alu instid0(VALU_DEP_4) | instskip(SKIP_1) | instid1(VALU_DEP_3)
	v_fmac_f32_e32 v6, v32, v22
	v_fma_f32 v7, -v7, v21, v15
	v_dual_fmac_f32 v9, v36, v22 :: v_dual_fmac_f32 v8, v42, v24
	v_fmac_f32_e32 v71, v33, v22
	s_delay_alu instid0(VALU_DEP_4) | instskip(NEXT) | instid1(VALU_DEP_4)
	v_fma_f32 v6, -v33, v23, v6
	v_fmac_f32_e32 v7, v30, v22
	s_delay_alu instid0(VALU_DEP_4)
	v_fma_f32 v9, -v37, v23, v9
	v_fma_f32 v81, -v43, v25, v8
	v_fmac_f32_e32 v71, v32, v23
	v_dual_fmac_f32 v6, v40, v24 :: v_dual_fmac_f32 v77, v31, v22
	v_fma_f32 v7, -v31, v23, v7
	v_fmac_f32_e32 v9, v44, v24
	s_delay_alu instid0(VALU_DEP_4)
	v_fmac_f32_e32 v71, v41, v24
	v_fmac_f32_e32 v79, v34, v23
	;; [unrolled: 1-line block ×4, first 2 shown]
	v_fma_f32 v83, -v41, v25, v6
	v_fmac_f32_e32 v71, v40, v25
	v_fmac_f32_e32 v79, v43, v24
	;; [unrolled: 1-line block ×3, first 2 shown]
	v_fma_f32 v82, -v39, v25, v7
	v_fma_f32 v80, -v45, v25, v9
	s_delay_alu instid0(VALU_DEP_4) | instskip(NEXT) | instid1(VALU_DEP_4)
	v_fmac_f32_e32 v79, v42, v25
	v_fmac_f32_e32 v77, v38, v25
	s_wait_alu 0xfffe
	s_and_not1_b32 exec_lo, exec_lo, s6
	s_cbranch_execnz .LBB51_29
; %bb.30:
	s_or_b32 exec_lo, exec_lo, s6
.LBB51_31:
	s_wait_alu 0xfffe
	s_or_b32 exec_lo, exec_lo, s2
	s_delay_alu instid0(SALU_CYCLE_1)
	s_mov_b32 s2, exec_lo
	v_cmpx_lt_u64_e32 23, v[0:1]
	s_cbranch_execz .LBB51_35
; %bb.32:
	v_lshlrev_b64_e32 v[0:1], 3, v[64:65]
	s_mov_b32 s6, 0
	s_delay_alu instid0(VALU_DEP_1) | instskip(SKIP_1) | instid1(VALU_DEP_2)
	v_add_co_u32 v0, vcc_lo, s8, v0
	s_wait_alu 0xfffd
	v_add_co_ci_u32_e64 v1, null, s9, v1, vcc_lo
	s_delay_alu instid0(VALU_DEP_2) | instskip(SKIP_1) | instid1(VALU_DEP_2)
	v_add_co_u32 v72, vcc_lo, 0x80, v0
	s_wait_alu 0xfffd
	v_add_co_ci_u32_e64 v73, null, 0, v1, vcc_lo
.LBB51_33:                              ; =>This Inner Loop Header: Depth=1
	global_load_b64 v[74:75], v[72:73], off offset:-128
	s_clause 0xd
	global_load_b128 v[16:19], v[68:69], off offset:48
	global_load_b128 v[44:47], v[68:69], off offset:32
	;; [unrolled: 1-line block ×3, first 2 shown]
	global_load_b128 v[52:55], v[68:69], off
	global_load_b128 v[28:31], v[68:69], off offset:112
	global_load_b128 v[32:35], v[68:69], off offset:96
	;; [unrolled: 1-line block ×10, first 2 shown]
	s_clause 0x2
	global_load_b64 v[140:141], v[72:73], off offset:-64
	global_load_b64 v[142:143], v[72:73], off
	global_load_b64 v[144:145], v[72:73], off offset:64
	s_clause 0xb
	global_load_b128 v[84:87], v[68:69], off offset:1104
	global_load_b128 v[88:91], v[68:69], off offset:1088
	;; [unrolled: 1-line block ×12, first 2 shown]
	s_wait_loadcnt 0x1d
	v_sub_co_u32 v74, vcc_lo, v74, v62
	s_wait_alu 0xfffd
	v_sub_co_ci_u32_e64 v75, null, v75, v63, vcc_lo
	s_delay_alu instid0(VALU_DEP_1) | instskip(SKIP_1) | instid1(VALU_DEP_1)
	v_lshlrev_b64_e32 v[74:75], 5, v[74:75]
	s_wait_kmcnt 0x0
	v_add_co_u32 v74, vcc_lo, s4, v74
	s_wait_alu 0xfffd
	s_delay_alu instid0(VALU_DEP_2)
	v_add_co_ci_u32_e64 v75, null, s5, v75, vcc_lo
	s_clause 0x1
	global_load_b128 v[132:135], v[74:75], off
	global_load_b128 v[136:139], v[74:75], off offset:16
	s_wait_loadcnt 0x1
	v_fmac_f32_e32 v71, v55, v132
	v_fmac_f32_e32 v82, v52, v132
	;; [unrolled: 1-line block ×6, first 2 shown]
	v_fma_f32 v70, -v53, v133, v82
	v_fmac_f32_e32 v83, v54, v132
	v_fmac_f32_e32 v80, v50, v132
	;; [unrolled: 1-line block ×5, first 2 shown]
	v_fma_f32 v74, -v55, v133, v83
	v_fma_f32 v146, -v51, v133, v80
	v_fmac_f32_e32 v81, v48, v132
	global_load_b128 v[52:55], v[68:69], off offset:3088
	v_fma_f32 v70, -v45, v135, v70
	v_fmac_f32_e32 v74, v46, v134
	v_fmac_f32_e32 v146, v18, v134
	v_fma_f32 v132, -v49, v133, v81
	s_wait_loadcnt 0x1
	v_dual_fmac_f32 v71, v47, v134 :: v_dual_fmac_f32 v70, v40, v136
	v_fma_f32 v147, -v47, v135, v74
	v_sub_co_u32 v74, vcc_lo, v140, v62
	s_wait_alu 0xfffd
	v_sub_co_ci_u32_e64 v75, null, v141, v63, vcc_lo
	v_sub_co_u32 v80, vcc_lo, v142, v62
	s_wait_alu 0xfffd
	v_sub_co_ci_u32_e64 v81, null, v143, v63, vcc_lo
	;; [unrolled: 3-line block ×3, first 2 shown]
	v_lshlrev_b64_e32 v[74:75], 5, v[74:75]
	v_lshlrev_b64_e32 v[80:81], 5, v[80:81]
	v_dual_fmac_f32 v71, v46, v135 :: v_dual_fmac_f32 v78, v19, v134
	v_fmac_f32_e32 v132, v16, v134
	v_fmac_f32_e32 v79, v48, v133
	v_lshlrev_b64_e32 v[82:83], 5, v[82:83]
	v_add_co_u32 v74, vcc_lo, s4, v74
	v_dual_fmac_f32 v77, v45, v134 :: v_dual_fmac_f32 v78, v18, v135
	s_wait_alu 0xfffd
	v_add_co_ci_u32_e64 v75, null, s5, v75, vcc_lo
	v_add_co_u32 v140, vcc_lo, s4, v80
	v_fma_f32 v144, -v17, v135, v132
	v_fmac_f32_e32 v79, v17, v134
	s_wait_alu 0xfffd
	v_add_co_ci_u32_e64 v141, null, s5, v81, vcc_lo
	v_add_co_u32 v142, vcc_lo, s4, v82
	global_load_b128 v[48:51], v[68:69], off offset:3072
	v_dual_fmac_f32 v77, v44, v135 :: v_dual_fmac_f32 v78, v39, v136
	global_load_b128 v[44:47], v[68:69], off offset:3152
	s_wait_alu 0xfffd
	v_add_co_ci_u32_e64 v143, null, s5, v83, vcc_lo
	v_fma_f32 v145, -v19, v135, v146
	v_fmac_f32_e32 v144, v36, v136
	v_dual_fmac_f32 v79, v16, v135 :: v_dual_fmac_f32 v78, v38, v137
	s_clause 0x2
	global_load_b128 v[16:19], v[74:75], off
	global_load_b128 v[80:83], v[74:75], off offset:16
	global_load_b128 v[132:135], v[140:141], off
	v_fmac_f32_e32 v147, v42, v136
	v_fma_f32 v70, -v41, v137, v70
	v_dual_fmac_f32 v77, v41, v136 :: v_dual_fmac_f32 v78, v31, v138
	v_fmac_f32_e32 v79, v37, v136
	s_delay_alu instid0(VALU_DEP_4)
	v_fma_f32 v74, -v43, v137, v147
	v_fmac_f32_e32 v71, v43, v136
	v_fma_f32 v75, -v37, v137, v144
	v_fmac_f32_e32 v70, v32, v138
	v_fmac_f32_e32 v78, v30, v139
	;; [unrolled: 1-line block ×3, first 2 shown]
	s_delay_alu instid0(VALU_DEP_4) | instskip(NEXT) | instid1(VALU_DEP_4)
	v_fmac_f32_e32 v75, v28, v138
	v_fma_f32 v70, -v33, v139, v70
	v_fmac_f32_e32 v71, v42, v137
	s_delay_alu instid0(VALU_DEP_4) | instskip(SKIP_1) | instid1(VALU_DEP_1)
	v_fma_f32 v74, -v35, v139, v74
	s_wait_loadcnt 0x2
	v_dual_fmac_f32 v79, v36, v137 :: v_dual_fmac_f32 v74, v14, v16
	v_fmac_f32_e32 v78, v11, v16
	v_dual_fmac_f32 v70, v12, v16 :: v_dual_fmac_f32 v71, v35, v138
	v_fma_f32 v75, -v29, v139, v75
	s_delay_alu instid0(VALU_DEP_3) | instskip(SKIP_1) | instid1(VALU_DEP_2)
	v_fmac_f32_e32 v78, v10, v17
	v_fmac_f32_e32 v145, v38, v136
	v_dual_fmac_f32 v75, v8, v16 :: v_dual_fmac_f32 v78, v3, v18
	s_delay_alu instid0(VALU_DEP_2)
	v_fma_f32 v136, -v39, v137, v145
	v_fmac_f32_e32 v77, v40, v137
	s_clause 0x1
	global_load_b128 v[40:43], v[140:141], off offset:16
	global_load_b128 v[36:39], v[142:143], off
	v_dual_fmac_f32 v79, v29, v138 :: v_dual_fmac_f32 v78, v2, v19
	v_fmac_f32_e32 v136, v30, v138
	v_fmac_f32_e32 v71, v34, v139
	s_wait_loadcnt 0x3
	s_delay_alu instid0(VALU_DEP_3) | instskip(NEXT) | instid1(VALU_DEP_3)
	v_dual_fmac_f32 v79, v28, v139 :: v_dual_fmac_f32 v78, v87, v80
	v_fma_f32 v144, -v31, v139, v136
	s_delay_alu instid0(VALU_DEP_2) | instskip(NEXT) | instid1(VALU_DEP_1)
	v_dual_fmac_f32 v77, v33, v138 :: v_dual_fmac_f32 v78, v86, v81
	v_dual_fmac_f32 v144, v10, v16 :: v_dual_fmac_f32 v77, v32, v139
	global_load_b128 v[32:35], v[68:69], off offset:3136
	global_load_b128 v[140:143], v[142:143], off offset:16
	s_clause 0x1
	global_load_b128 v[28:31], v[68:69], off offset:3168
	global_load_b128 v[136:139], v[68:69], off offset:3184
	v_dual_fmac_f32 v79, v9, v16 :: v_dual_fmac_f32 v78, v23, v82
	v_fmac_f32_e32 v77, v13, v16
	v_fma_f32 v13, -v13, v17, v70
	v_fma_f32 v9, -v9, v17, v75
	s_delay_alu instid0(VALU_DEP_4) | instskip(SKIP_1) | instid1(VALU_DEP_4)
	v_fmac_f32_e32 v79, v8, v17
	v_fma_f32 v8, -v11, v17, v144
	v_dual_fmac_f32 v78, v22, v83 :: v_dual_fmac_f32 v13, v4, v18
	s_delay_alu instid0(VALU_DEP_4) | instskip(NEXT) | instid1(VALU_DEP_4)
	v_fmac_f32_e32 v9, v0, v18
	v_fmac_f32_e32 v79, v1, v18
	s_delay_alu instid0(VALU_DEP_4) | instskip(SKIP_2) | instid1(VALU_DEP_3)
	v_dual_fmac_f32 v8, v2, v18 :: v_dual_fmac_f32 v77, v12, v17
	v_fma_f32 v12, -v15, v17, v74
	s_wait_loadcnt 0x6
	v_dual_fmac_f32 v78, v103, v132 :: v_dual_fmac_f32 v79, v0, v19
	s_delay_alu instid0(VALU_DEP_3) | instskip(SKIP_3) | instid1(VALU_DEP_4)
	v_fma_f32 v0, -v3, v19, v8
	v_fma_f32 v1, -v1, v19, v9
	v_fmac_f32_e32 v12, v6, v18
	v_add_co_u32 v68, vcc_lo, 0x1000, v68
	v_fmac_f32_e32 v0, v86, v80
	s_wait_alu 0xfffd
	v_add_co_ci_u32_e64 v69, null, 0, v69, vcc_lo
	v_add_co_u32 v64, vcc_lo, v64, 32
	s_delay_alu instid0(VALU_DEP_3) | instskip(SKIP_3) | instid1(VALU_DEP_3)
	v_fma_f32 v0, -v87, v81, v0
	s_wait_alu 0xfffd
	v_add_co_ci_u32_e64 v65, null, 0, v65, vcc_lo
	v_add_co_u32 v72, vcc_lo, 0x100, v72
	v_fmac_f32_e32 v0, v22, v82
	v_fmac_f32_e32 v78, v102, v133
	s_wait_alu 0xfffd
	v_add_co_ci_u32_e64 v73, null, 0, v73, vcc_lo
	v_cmp_ge_i64_e32 vcc_lo, v[64:65], v[66:67]
	v_fma_f32 v0, -v23, v83, v0
	v_fmac_f32_e32 v77, v5, v18
	v_fma_f32 v5, -v5, v19, v13
	v_fmac_f32_e32 v78, v95, v134
	s_delay_alu instid0(VALU_DEP_4) | instskip(SKIP_2) | instid1(VALU_DEP_2)
	v_fmac_f32_e32 v0, v102, v132
	s_wait_alu 0xfffe
	s_or_b32 s6, vcc_lo, s6
	v_dual_fmac_f32 v5, v88, v80 :: v_dual_fmac_f32 v78, v94, v135
	s_delay_alu instid0(VALU_DEP_2) | instskip(SKIP_1) | instid1(VALU_DEP_3)
	v_fma_f32 v0, -v103, v133, v0
	v_fmac_f32_e32 v77, v4, v19
	v_fma_f32 v2, -v89, v81, v5
	v_fmac_f32_e32 v71, v15, v16
	;; [unrolled: 2-line block ×3, first 2 shown]
	s_delay_alu instid0(VALU_DEP_4) | instskip(NEXT) | instid1(VALU_DEP_3)
	v_fmac_f32_e32 v2, v24, v82
	v_fmac_f32_e32 v4, v90, v80
	s_delay_alu instid0(VALU_DEP_3) | instskip(NEXT) | instid1(VALU_DEP_3)
	v_fma_f32 v0, -v95, v135, v0
	v_fma_f32 v2, -v25, v83, v2
	v_fmac_f32_e32 v71, v14, v17
	s_delay_alu instid0(VALU_DEP_4) | instskip(NEXT) | instid1(VALU_DEP_2)
	v_fma_f32 v3, -v91, v81, v4
	v_dual_fmac_f32 v2, v104, v132 :: v_dual_fmac_f32 v71, v7, v18
	s_delay_alu instid0(VALU_DEP_1) | instskip(NEXT) | instid1(VALU_DEP_1)
	v_fma_f32 v2, -v105, v133, v2
	v_dual_fmac_f32 v71, v6, v19 :: v_dual_fmac_f32 v2, v96, v134
	s_delay_alu instid0(VALU_DEP_1) | instskip(SKIP_1) | instid1(VALU_DEP_1)
	v_fma_f32 v2, -v97, v135, v2
	s_wait_loadcnt 0x5
	v_dual_fmac_f32 v3, v26, v82 :: v_dual_fmac_f32 v2, v120, v40
	v_fmac_f32_e32 v0, v118, v40
	v_fmac_f32_e32 v78, v119, v40
	s_delay_alu instid0(VALU_DEP_3) | instskip(NEXT) | instid1(VALU_DEP_4)
	v_fma_f32 v3, -v27, v83, v3
	v_fma_f32 v2, -v121, v41, v2
	v_fmac_f32_e32 v77, v89, v80
	v_fma_f32 v0, -v119, v41, v0
	v_dual_fmac_f32 v71, v91, v80 :: v_dual_fmac_f32 v78, v118, v41
	s_delay_alu instid0(VALU_DEP_4) | instskip(NEXT) | instid1(VALU_DEP_3)
	v_fmac_f32_e32 v2, v112, v42
	v_dual_fmac_f32 v77, v88, v81 :: v_dual_fmac_f32 v0, v110, v42
	s_delay_alu instid0(VALU_DEP_3) | instskip(NEXT) | instid1(VALU_DEP_4)
	v_fmac_f32_e32 v71, v90, v81
	v_dual_fmac_f32 v1, v84, v80 :: v_dual_fmac_f32 v78, v111, v42
	v_fmac_f32_e32 v79, v85, v80
	s_delay_alu instid0(VALU_DEP_4) | instskip(SKIP_1) | instid1(VALU_DEP_4)
	v_fma_f32 v0, -v111, v43, v0
	v_fma_f32 v2, -v113, v43, v2
	;; [unrolled: 1-line block ×3, first 2 shown]
	s_delay_alu instid0(VALU_DEP_4) | instskip(SKIP_3) | instid1(VALU_DEP_3)
	v_dual_fmac_f32 v78, v110, v43 :: v_dual_fmac_f32 v79, v84, v81
	s_wait_loadcnt 0x4
	v_dual_fmac_f32 v0, v54, v36 :: v_dual_fmac_f32 v77, v25, v82
	v_fmac_f32_e32 v2, v48, v36
	v_dual_fmac_f32 v1, v20, v82 :: v_dual_fmac_f32 v78, v55, v36
	v_fmac_f32_e32 v71, v27, v82
	s_delay_alu instid0(VALU_DEP_4) | instskip(SKIP_4) | instid1(VALU_DEP_4)
	v_fma_f32 v0, -v55, v37, v0
	v_fmac_f32_e32 v77, v24, v83
	v_fma_f32 v2, -v49, v37, v2
	v_fmac_f32_e32 v78, v54, v37
	v_fmac_f32_e32 v71, v26, v83
	v_dual_fmac_f32 v0, v126, v38 :: v_dual_fmac_f32 v77, v105, v132
	s_delay_alu instid0(VALU_DEP_4) | instskip(NEXT) | instid1(VALU_DEP_4)
	v_fmac_f32_e32 v2, v128, v38
	v_fmac_f32_e32 v78, v127, v38
	;; [unrolled: 1-line block ×3, first 2 shown]
	s_delay_alu instid0(VALU_DEP_4)
	v_fma_f32 v0, -v127, v39, v0
	v_fma_f32 v1, -v21, v83, v1
	;; [unrolled: 1-line block ×3, first 2 shown]
	v_dual_fmac_f32 v78, v126, v39 :: v_dual_fmac_f32 v77, v104, v133
	s_wait_loadcnt 0x2
	v_dual_fmac_f32 v79, v20, v83 :: v_dual_fmac_f32 v0, v46, v140
	s_delay_alu instid0(VALU_DEP_3) | instskip(NEXT) | instid1(VALU_DEP_3)
	v_fmac_f32_e32 v2, v32, v140
	v_fmac_f32_e32 v78, v47, v140
	;; [unrolled: 1-line block ×4, first 2 shown]
	v_fma_f32 v0, -v47, v141, v0
	s_delay_alu instid0(VALU_DEP_4) | instskip(NEXT) | instid1(VALU_DEP_4)
	v_dual_fmac_f32 v1, v100, v132 :: v_dual_fmac_f32 v78, v46, v141
	v_fmac_f32_e32 v71, v106, v133
	v_fmac_f32_e32 v79, v101, v132
	v_fma_f32 v2, -v33, v141, v2
	v_fmac_f32_e32 v3, v106, v132
	s_wait_loadcnt 0x0
	v_fmac_f32_e32 v0, v138, v142
	v_fma_f32 v1, -v101, v133, v1
	v_dual_fmac_f32 v78, v139, v142 :: v_dual_fmac_f32 v79, v100, v133
	v_fmac_f32_e32 v2, v28, v142
	v_fma_f32 v3, -v107, v133, v3
	v_fmac_f32_e32 v71, v99, v134
	s_delay_alu instid0(VALU_DEP_4) | instskip(SKIP_1) | instid1(VALU_DEP_4)
	v_dual_fmac_f32 v1, v92, v134 :: v_dual_fmac_f32 v78, v138, v143
	v_fmac_f32_e32 v79, v93, v134
	v_fmac_f32_e32 v3, v98, v134
	v_fmac_f32_e32 v77, v96, v135
	v_fmac_f32_e32 v71, v98, v135
	v_fma_f32 v1, -v93, v135, v1
	v_fmac_f32_e32 v79, v92, v135
	v_fma_f32 v3, -v99, v135, v3
	v_fmac_f32_e32 v77, v121, v40
	v_fmac_f32_e32 v71, v123, v40
	v_fmac_f32_e32 v1, v116, v40
	v_fmac_f32_e32 v79, v117, v40
	v_fmac_f32_e32 v3, v122, v40
	v_fmac_f32_e32 v77, v120, v41
	v_fmac_f32_e32 v71, v122, v41
	v_fma_f32 v1, -v117, v41, v1
	v_fmac_f32_e32 v79, v116, v41
	v_fma_f32 v3, -v123, v41, v3
	v_fmac_f32_e32 v77, v113, v42
	v_fmac_f32_e32 v71, v115, v42
	v_fmac_f32_e32 v1, v108, v42
	;; [unrolled: 10-line block ×6, first 2 shown]
	v_fmac_f32_e32 v79, v137, v142
	v_fmac_f32_e32 v3, v30, v142
	v_fma_f32 v82, -v29, v143, v2
	v_fmac_f32_e32 v77, v28, v143
	v_fmac_f32_e32 v71, v30, v143
	v_fma_f32 v81, -v137, v143, v1
	v_fma_f32 v83, -v31, v143, v3
	v_fmac_f32_e32 v79, v136, v143
	v_fma_f32 v80, -v139, v143, v0
	s_wait_alu 0xfffe
	s_and_not1_b32 exec_lo, exec_lo, s6
	s_cbranch_execnz .LBB51_33
; %bb.34:
	s_or_b32 exec_lo, exec_lo, s6
.LBB51_35:
	s_wait_alu 0xfffe
	s_or_b32 exec_lo, exec_lo, s2
.LBB51_36:
	s_wait_alu 0xfffe
	s_or_b32 exec_lo, exec_lo, s3
.LBB51_37:
	v_mbcnt_lo_u32_b32 v0, -1, 0
	s_delay_alu instid0(VALU_DEP_1) | instskip(SKIP_2) | instid1(VALU_DEP_3)
	v_xor_b32_e32 v1, 4, v0
	v_xor_b32_e32 v9, 2, v0
	;; [unrolled: 1-line block ×3, first 2 shown]
	v_cmp_gt_i32_e32 vcc_lo, 32, v1
	s_wait_alu 0xfffd
	v_cndmask_b32_e32 v1, v0, v1, vcc_lo
	v_cmp_gt_i32_e32 vcc_lo, 32, v9
	s_delay_alu instid0(VALU_DEP_2)
	v_lshlrev_b32_e32 v1, 2, v1
	ds_bpermute_b32 v4, v1, v83
	s_wait_dscnt 0x0
	v_add_f32_e32 v4, v83, v4
	ds_bpermute_b32 v2, v1, v82
	ds_bpermute_b32 v6, v1, v81
	;; [unrolled: 1-line block ×7, first 2 shown]
	s_wait_alu 0xfffd
	v_cndmask_b32_e32 v9, v0, v9, vcc_lo
	v_cmp_gt_i32_e32 vcc_lo, 32, v17
	s_wait_alu 0xfffd
	v_cndmask_b32_e32 v0, v0, v17, vcc_lo
	v_cmp_eq_u32_e32 vcc_lo, 7, v76
	s_wait_dscnt 0x6
	v_add_f32_e32 v2, v82, v2
	s_wait_dscnt 0x5
	v_dual_add_f32 v6, v81, v6 :: v_dual_lshlrev_b32 v9, 2, v9
	s_wait_dscnt 0x4
	v_add_f32_e32 v3, v77, v3
	s_wait_dscnt 0x1
	v_dual_add_f32 v7, v79, v7 :: v_dual_add_f32 v8, v80, v8
	s_wait_dscnt 0x0
	v_add_f32_e32 v10, v78, v1
	ds_bpermute_b32 v1, v9, v2
	ds_bpermute_b32 v12, v9, v4
	v_add_f32_e32 v5, v71, v5
	ds_bpermute_b32 v11, v9, v3
	ds_bpermute_b32 v14, v9, v6
	;; [unrolled: 1-line block ×4, first 2 shown]
	s_wait_dscnt 0x5
	v_dual_add_f32 v0, v2, v1 :: v_dual_lshlrev_b32 v17, 2, v0
	s_wait_dscnt 0x4
	v_add_f32_e32 v2, v4, v12
	ds_bpermute_b32 v13, v9, v5
	ds_bpermute_b32 v9, v9, v10
	s_wait_dscnt 0x4
	v_dual_add_f32 v1, v3, v11 :: v_dual_add_f32 v4, v6, v14
	s_wait_dscnt 0x2
	v_add_f32_e32 v6, v8, v16
	ds_bpermute_b32 v8, v17, v0
	ds_bpermute_b32 v12, v17, v4
	;; [unrolled: 1-line block ×3, first 2 shown]
	s_wait_dscnt 0x4
	v_add_f32_e32 v3, v5, v13
	v_add_f32_e32 v5, v7, v15
	s_wait_dscnt 0x3
	v_add_f32_e32 v7, v10, v9
	ds_bpermute_b32 v9, v17, v1
	ds_bpermute_b32 v10, v17, v2
	;; [unrolled: 1-line block ×5, first 2 shown]
	s_and_b32 exec_lo, exec_lo, vcc_lo
	s_cbranch_execz .LBB51_8
; %bb.38:
	s_load_b64 s[2:3], s[0:1], 0x58
	s_wait_dscnt 0x7
	v_add_f32_e32 v8, v0, v8
	s_wait_dscnt 0x4
	v_add_f32_e32 v0, v1, v9
	s_wait_dscnt 0x2
	v_dual_add_f32 v10, v2, v10 :: v_dual_add_f32 v1, v3, v11
	s_wait_dscnt 0x1
	v_dual_add_f32 v11, v4, v12 :: v_dual_add_f32 v2, v5, v13
	v_mul_f32_e32 v5, v58, v0
	s_wait_dscnt 0x0
	v_add_f32_e32 v3, v7, v15
	v_mul_f32_e64 v4, v0, -v59
	v_add_f32_e32 v12, v6, v14
	v_mul_f32_e64 v6, v1, -v59
	v_mul_f32_e32 v7, v58, v1
	v_mul_f32_e64 v0, v2, -v59
	v_mul_f32_e32 v1, v58, v2
	;; [unrolled: 2-line block ×3, first 2 shown]
	v_cmp_eq_f32_e32 vcc_lo, 0, v56
	v_cmp_eq_f32_e64 s0, 0, v57
	v_dual_fmac_f32 v4, v58, v8 :: v_dual_fmac_f32 v7, v59, v10
	v_fmac_f32_e32 v5, v59, v8
	v_lshlrev_b64_e32 v[8:9], 5, v[60:61]
	v_dual_fmac_f32 v6, v58, v10 :: v_dual_fmac_f32 v1, v59, v11
	v_dual_fmac_f32 v0, v58, v11 :: v_dual_fmac_f32 v3, v59, v12
	v_fmac_f32_e32 v2, v58, v12
	s_and_b32 s0, vcc_lo, s0
	s_wait_alu 0xfffe
	s_and_saveexec_b32 s1, s0
	s_wait_alu 0xfffe
	s_xor_b32 s0, exec_lo, s1
	s_cbranch_execz .LBB51_40
; %bb.39:
	s_wait_kmcnt 0x0
	v_add_co_u32 v8, vcc_lo, s2, v8
	s_wait_alu 0xfffd
	v_add_co_ci_u32_e64 v9, null, s3, v9, vcc_lo
                                        ; implicit-def: $vgpr56_vgpr57
	s_clause 0x1
	global_store_b128 v[8:9], v[4:7], off
	global_store_b128 v[8:9], v[0:3], off offset:16
                                        ; implicit-def: $vgpr4
                                        ; implicit-def: $vgpr8_vgpr9
                                        ; implicit-def: $vgpr0
.LBB51_40:
	s_wait_alu 0xfffe
	s_and_not1_saveexec_b32 s0, s0
	s_cbranch_execz .LBB51_8
; %bb.41:
	s_wait_kmcnt 0x0
	v_add_co_u32 v16, vcc_lo, s2, v8
	s_wait_alu 0xfffd
	v_add_co_ci_u32_e64 v17, null, s3, v9, vcc_lo
	s_clause 0x1
	global_load_b128 v[8:11], v[16:17], off
	global_load_b128 v[12:15], v[16:17], off offset:16
	s_wait_loadcnt 0x1
	v_dual_fmac_f32 v4, v56, v8 :: v_dual_fmac_f32 v7, v57, v10
	v_dual_fmac_f32 v5, v57, v8 :: v_dual_fmac_f32 v6, v56, v10
	s_wait_loadcnt 0x0
	v_dual_fmac_f32 v0, v56, v12 :: v_dual_fmac_f32 v3, v57, v14
	v_dual_fmac_f32 v1, v57, v12 :: v_dual_fmac_f32 v2, v56, v14
	v_fma_f32 v4, -v57, v9, v4
	v_fmac_f32_e32 v5, v56, v9
	v_fma_f32 v6, -v57, v11, v6
	v_fmac_f32_e32 v7, v56, v11
	;; [unrolled: 2-line block ×4, first 2 shown]
	s_clause 0x1
	global_store_b128 v[16:17], v[4:7], off
	global_store_b128 v[16:17], v[0:3], off offset:16
	s_nop 0
	s_sendmsg sendmsg(MSG_DEALLOC_VGPRS)
	s_endpgm
	.section	.rodata,"a",@progbits
	.p2align	6, 0x0
	.amdhsa_kernel _ZN9rocsparseL18bsrxmvn_4x4_kernelILj128ELj8E21rocsparse_complex_numIfEllS2_S2_S2_EEvT3_20rocsparse_direction_NS_24const_host_device_scalarIT1_EES3_PKS3_PKT2_SC_S9_PKT4_PKT5_S7_PT6_21rocsparse_index_base_b
		.amdhsa_group_segment_fixed_size 0
		.amdhsa_private_segment_fixed_size 0
		.amdhsa_kernarg_size 104
		.amdhsa_user_sgpr_count 2
		.amdhsa_user_sgpr_dispatch_ptr 0
		.amdhsa_user_sgpr_queue_ptr 0
		.amdhsa_user_sgpr_kernarg_segment_ptr 1
		.amdhsa_user_sgpr_dispatch_id 0
		.amdhsa_user_sgpr_private_segment_size 0
		.amdhsa_wavefront_size32 1
		.amdhsa_uses_dynamic_stack 0
		.amdhsa_enable_private_segment 0
		.amdhsa_system_sgpr_workgroup_id_x 1
		.amdhsa_system_sgpr_workgroup_id_y 0
		.amdhsa_system_sgpr_workgroup_id_z 0
		.amdhsa_system_sgpr_workgroup_info 0
		.amdhsa_system_vgpr_workitem_id 0
		.amdhsa_next_free_vgpr 180
		.amdhsa_next_free_sgpr 12
		.amdhsa_reserve_vcc 1
		.amdhsa_float_round_mode_32 0
		.amdhsa_float_round_mode_16_64 0
		.amdhsa_float_denorm_mode_32 3
		.amdhsa_float_denorm_mode_16_64 3
		.amdhsa_fp16_overflow 0
		.amdhsa_workgroup_processor_mode 1
		.amdhsa_memory_ordered 1
		.amdhsa_forward_progress 1
		.amdhsa_inst_pref_size 68
		.amdhsa_round_robin_scheduling 0
		.amdhsa_exception_fp_ieee_invalid_op 0
		.amdhsa_exception_fp_denorm_src 0
		.amdhsa_exception_fp_ieee_div_zero 0
		.amdhsa_exception_fp_ieee_overflow 0
		.amdhsa_exception_fp_ieee_underflow 0
		.amdhsa_exception_fp_ieee_inexact 0
		.amdhsa_exception_int_div_zero 0
	.end_amdhsa_kernel
	.section	.text._ZN9rocsparseL18bsrxmvn_4x4_kernelILj128ELj8E21rocsparse_complex_numIfEllS2_S2_S2_EEvT3_20rocsparse_direction_NS_24const_host_device_scalarIT1_EES3_PKS3_PKT2_SC_S9_PKT4_PKT5_S7_PT6_21rocsparse_index_base_b,"axG",@progbits,_ZN9rocsparseL18bsrxmvn_4x4_kernelILj128ELj8E21rocsparse_complex_numIfEllS2_S2_S2_EEvT3_20rocsparse_direction_NS_24const_host_device_scalarIT1_EES3_PKS3_PKT2_SC_S9_PKT4_PKT5_S7_PT6_21rocsparse_index_base_b,comdat
.Lfunc_end51:
	.size	_ZN9rocsparseL18bsrxmvn_4x4_kernelILj128ELj8E21rocsparse_complex_numIfEllS2_S2_S2_EEvT3_20rocsparse_direction_NS_24const_host_device_scalarIT1_EES3_PKS3_PKT2_SC_S9_PKT4_PKT5_S7_PT6_21rocsparse_index_base_b, .Lfunc_end51-_ZN9rocsparseL18bsrxmvn_4x4_kernelILj128ELj8E21rocsparse_complex_numIfEllS2_S2_S2_EEvT3_20rocsparse_direction_NS_24const_host_device_scalarIT1_EES3_PKS3_PKT2_SC_S9_PKT4_PKT5_S7_PT6_21rocsparse_index_base_b
                                        ; -- End function
	.set _ZN9rocsparseL18bsrxmvn_4x4_kernelILj128ELj8E21rocsparse_complex_numIfEllS2_S2_S2_EEvT3_20rocsparse_direction_NS_24const_host_device_scalarIT1_EES3_PKS3_PKT2_SC_S9_PKT4_PKT5_S7_PT6_21rocsparse_index_base_b.num_vgpr, 180
	.set _ZN9rocsparseL18bsrxmvn_4x4_kernelILj128ELj8E21rocsparse_complex_numIfEllS2_S2_S2_EEvT3_20rocsparse_direction_NS_24const_host_device_scalarIT1_EES3_PKS3_PKT2_SC_S9_PKT4_PKT5_S7_PT6_21rocsparse_index_base_b.num_agpr, 0
	.set _ZN9rocsparseL18bsrxmvn_4x4_kernelILj128ELj8E21rocsparse_complex_numIfEllS2_S2_S2_EEvT3_20rocsparse_direction_NS_24const_host_device_scalarIT1_EES3_PKS3_PKT2_SC_S9_PKT4_PKT5_S7_PT6_21rocsparse_index_base_b.numbered_sgpr, 12
	.set _ZN9rocsparseL18bsrxmvn_4x4_kernelILj128ELj8E21rocsparse_complex_numIfEllS2_S2_S2_EEvT3_20rocsparse_direction_NS_24const_host_device_scalarIT1_EES3_PKS3_PKT2_SC_S9_PKT4_PKT5_S7_PT6_21rocsparse_index_base_b.num_named_barrier, 0
	.set _ZN9rocsparseL18bsrxmvn_4x4_kernelILj128ELj8E21rocsparse_complex_numIfEllS2_S2_S2_EEvT3_20rocsparse_direction_NS_24const_host_device_scalarIT1_EES3_PKS3_PKT2_SC_S9_PKT4_PKT5_S7_PT6_21rocsparse_index_base_b.private_seg_size, 0
	.set _ZN9rocsparseL18bsrxmvn_4x4_kernelILj128ELj8E21rocsparse_complex_numIfEllS2_S2_S2_EEvT3_20rocsparse_direction_NS_24const_host_device_scalarIT1_EES3_PKS3_PKT2_SC_S9_PKT4_PKT5_S7_PT6_21rocsparse_index_base_b.uses_vcc, 1
	.set _ZN9rocsparseL18bsrxmvn_4x4_kernelILj128ELj8E21rocsparse_complex_numIfEllS2_S2_S2_EEvT3_20rocsparse_direction_NS_24const_host_device_scalarIT1_EES3_PKS3_PKT2_SC_S9_PKT4_PKT5_S7_PT6_21rocsparse_index_base_b.uses_flat_scratch, 0
	.set _ZN9rocsparseL18bsrxmvn_4x4_kernelILj128ELj8E21rocsparse_complex_numIfEllS2_S2_S2_EEvT3_20rocsparse_direction_NS_24const_host_device_scalarIT1_EES3_PKS3_PKT2_SC_S9_PKT4_PKT5_S7_PT6_21rocsparse_index_base_b.has_dyn_sized_stack, 0
	.set _ZN9rocsparseL18bsrxmvn_4x4_kernelILj128ELj8E21rocsparse_complex_numIfEllS2_S2_S2_EEvT3_20rocsparse_direction_NS_24const_host_device_scalarIT1_EES3_PKS3_PKT2_SC_S9_PKT4_PKT5_S7_PT6_21rocsparse_index_base_b.has_recursion, 0
	.set _ZN9rocsparseL18bsrxmvn_4x4_kernelILj128ELj8E21rocsparse_complex_numIfEllS2_S2_S2_EEvT3_20rocsparse_direction_NS_24const_host_device_scalarIT1_EES3_PKS3_PKT2_SC_S9_PKT4_PKT5_S7_PT6_21rocsparse_index_base_b.has_indirect_call, 0
	.section	.AMDGPU.csdata,"",@progbits
; Kernel info:
; codeLenInByte = 8608
; TotalNumSgprs: 14
; NumVgprs: 180
; ScratchSize: 0
; MemoryBound: 0
; FloatMode: 240
; IeeeMode: 1
; LDSByteSize: 0 bytes/workgroup (compile time only)
; SGPRBlocks: 0
; VGPRBlocks: 22
; NumSGPRsForWavesPerEU: 14
; NumVGPRsForWavesPerEU: 180
; Occupancy: 8
; WaveLimiterHint : 1
; COMPUTE_PGM_RSRC2:SCRATCH_EN: 0
; COMPUTE_PGM_RSRC2:USER_SGPR: 2
; COMPUTE_PGM_RSRC2:TRAP_HANDLER: 0
; COMPUTE_PGM_RSRC2:TGID_X_EN: 1
; COMPUTE_PGM_RSRC2:TGID_Y_EN: 0
; COMPUTE_PGM_RSRC2:TGID_Z_EN: 0
; COMPUTE_PGM_RSRC2:TIDIG_COMP_CNT: 0
	.section	.text._ZN9rocsparseL18bsrxmvn_4x4_kernelILj128ELj16E21rocsparse_complex_numIfEllS2_S2_S2_EEvT3_20rocsparse_direction_NS_24const_host_device_scalarIT1_EES3_PKS3_PKT2_SC_S9_PKT4_PKT5_S7_PT6_21rocsparse_index_base_b,"axG",@progbits,_ZN9rocsparseL18bsrxmvn_4x4_kernelILj128ELj16E21rocsparse_complex_numIfEllS2_S2_S2_EEvT3_20rocsparse_direction_NS_24const_host_device_scalarIT1_EES3_PKS3_PKT2_SC_S9_PKT4_PKT5_S7_PT6_21rocsparse_index_base_b,comdat
	.globl	_ZN9rocsparseL18bsrxmvn_4x4_kernelILj128ELj16E21rocsparse_complex_numIfEllS2_S2_S2_EEvT3_20rocsparse_direction_NS_24const_host_device_scalarIT1_EES3_PKS3_PKT2_SC_S9_PKT4_PKT5_S7_PT6_21rocsparse_index_base_b ; -- Begin function _ZN9rocsparseL18bsrxmvn_4x4_kernelILj128ELj16E21rocsparse_complex_numIfEllS2_S2_S2_EEvT3_20rocsparse_direction_NS_24const_host_device_scalarIT1_EES3_PKS3_PKT2_SC_S9_PKT4_PKT5_S7_PT6_21rocsparse_index_base_b
	.p2align	8
	.type	_ZN9rocsparseL18bsrxmvn_4x4_kernelILj128ELj16E21rocsparse_complex_numIfEllS2_S2_S2_EEvT3_20rocsparse_direction_NS_24const_host_device_scalarIT1_EES3_PKS3_PKT2_SC_S9_PKT4_PKT5_S7_PT6_21rocsparse_index_base_b,@function
_ZN9rocsparseL18bsrxmvn_4x4_kernelILj128ELj16E21rocsparse_complex_numIfEllS2_S2_S2_EEvT3_20rocsparse_direction_NS_24const_host_device_scalarIT1_EES3_PKS3_PKT2_SC_S9_PKT4_PKT5_S7_PT6_21rocsparse_index_base_b: ; @_ZN9rocsparseL18bsrxmvn_4x4_kernelILj128ELj16E21rocsparse_complex_numIfEllS2_S2_S2_EEvT3_20rocsparse_direction_NS_24const_host_device_scalarIT1_EES3_PKS3_PKT2_SC_S9_PKT4_PKT5_S7_PT6_21rocsparse_index_base_b
; %bb.0:
	s_clause 0x2
	s_load_b64 s[8:9], s[0:1], 0x60
	s_load_b128 s[4:7], s[0:1], 0x10
	s_load_b64 s[2:3], s[0:1], 0x50
	s_add_nc_u64 s[10:11], s[0:1], 16
	s_wait_kmcnt 0x0
	s_bitcmp1_b32 s9, 0
	s_cselect_b32 s4, s10, s4
	s_cselect_b32 s5, s11, s5
	s_delay_alu instid0(SALU_CYCLE_1)
	v_dual_mov_b32 v1, s4 :: v_dual_mov_b32 v2, s5
	s_add_nc_u64 s[4:5], s[0:1], 0x50
	s_wait_alu 0xfffe
	s_cselect_b32 s2, s4, s2
	s_cselect_b32 s3, s5, s3
	flat_load_b64 v[58:59], v[1:2]
	v_dual_mov_b32 v1, s2 :: v_dual_mov_b32 v2, s3
	flat_load_b64 v[56:57], v[1:2]
	s_wait_loadcnt_dscnt 0x101
	v_cmp_eq_f32_e32 vcc_lo, 0, v58
	v_cmp_eq_f32_e64 s2, 0, v59
	s_and_b32 s4, vcc_lo, s2
	s_mov_b32 s2, -1
	s_wait_alu 0xfffe
	s_and_saveexec_b32 s3, s4
	s_cbranch_execz .LBB52_2
; %bb.1:
	s_wait_loadcnt_dscnt 0x0
	v_cmp_neq_f32_e32 vcc_lo, 1.0, v56
	v_cmp_neq_f32_e64 s2, 0, v57
	s_or_b32 s2, vcc_lo, s2
	s_wait_alu 0xfffe
	s_or_not1_b32 s2, s2, exec_lo
.LBB52_2:
	s_wait_alu 0xfffe
	s_or_b32 exec_lo, exec_lo, s3
	s_and_saveexec_b32 s3, s2
	s_cbranch_execz .LBB52_8
; %bb.3:
	s_load_b64 s[2:3], s[0:1], 0x20
	v_lshrrev_b32_e32 v1, 4, v0
	v_mov_b32_e32 v2, 0
	s_delay_alu instid0(VALU_DEP_2)
	v_lshl_or_b32 v1, ttmp9, 3, v1
	s_wait_kmcnt 0x0
	s_cmp_lg_u64 s[2:3], 0
	s_cbranch_scc0 .LBB52_9
; %bb.4:
	s_delay_alu instid0(VALU_DEP_1)
	v_cmp_gt_i64_e32 vcc_lo, s[6:7], v[1:2]
	s_mov_b32 s5, 0
	s_mov_b32 s4, 0
                                        ; implicit-def: $vgpr60_vgpr61
                                        ; implicit-def: $vgpr62_vgpr63
	s_and_saveexec_b32 s6, vcc_lo
	s_wait_alu 0xfffe
	s_xor_b32 s6, exec_lo, s6
	s_cbranch_execz .LBB52_6
; %bb.5:
	v_lshlrev_b64_e32 v[3:4], 3, v[1:2]
	s_mov_b32 s9, 0
	s_mov_b32 s4, exec_lo
	v_dual_mov_b32 v63, s9 :: v_dual_mov_b32 v62, s8
	s_delay_alu instid0(VALU_DEP_2) | instskip(NEXT) | instid1(VALU_DEP_1)
	v_add_co_u32 v3, vcc_lo, s2, v3
	v_add_co_ci_u32_e64 v4, null, s3, v4, vcc_lo
	global_load_b64 v[3:4], v[3:4], off
	s_wait_loadcnt 0x0
	v_sub_co_u32 v60, vcc_lo, v3, s8
	s_wait_alu 0xfffd
	v_subrev_co_ci_u32_e64 v61, null, 0, v4, vcc_lo
.LBB52_6:
	s_wait_alu 0xfffe
	s_or_b32 exec_lo, exec_lo, s6
	s_delay_alu instid0(SALU_CYCLE_1)
	s_and_b32 vcc_lo, exec_lo, s5
	s_wait_alu 0xfffe
	s_cbranch_vccnz .LBB52_10
.LBB52_7:
	s_wait_alu 0xfffe
	s_and_b32 exec_lo, exec_lo, s4
	s_cbranch_execnz .LBB52_13
.LBB52_8:
	s_nop 0
	s_sendmsg sendmsg(MSG_DEALLOC_VGPRS)
	s_endpgm
.LBB52_9:
	s_mov_b32 s4, 0
                                        ; implicit-def: $vgpr60_vgpr61
                                        ; implicit-def: $vgpr62_vgpr63
	s_cbranch_execz .LBB52_7
.LBB52_10:
	s_load_b64 s[2:3], s[0:1], 0x0
	s_wait_kmcnt 0x0
	v_cmp_gt_i64_e32 vcc_lo, s[2:3], v[1:2]
	s_and_saveexec_b32 s2, vcc_lo
; %bb.11:
	s_mov_b32 s9, 0
	s_or_b32 s4, s4, exec_lo
; %bb.12:
	s_wait_alu 0xfffe
	s_or_b32 exec_lo, exec_lo, s2
	v_dual_mov_b32 v63, s9 :: v_dual_mov_b32 v62, s8
	v_dual_mov_b32 v61, v2 :: v_dual_mov_b32 v60, v1
	s_and_b32 exec_lo, exec_lo, s4
	s_cbranch_execz .LBB52_8
.LBB52_13:
	s_load_b256 s[4:11], s[0:1], 0x28
	s_delay_alu instid0(VALU_DEP_1) | instskip(SKIP_3) | instid1(VALU_DEP_2)
	v_lshlrev_b64_e32 v[1:2], 3, v[60:61]
	v_dual_mov_b32 v77, 0 :: v_dual_and_b32 v76, 15, v0
	s_load_b32 s3, s[0:1], 0x8
	s_wait_kmcnt 0x0
	v_add_co_u32 v3, vcc_lo, s4, v1
	s_wait_alu 0xfffd
	v_add_co_ci_u32_e64 v4, null, s5, v2, vcc_lo
	v_add_co_u32 v1, vcc_lo, s6, v1
	s_wait_alu 0xfffd
	v_add_co_ci_u32_e64 v2, null, s7, v2, vcc_lo
	v_add_co_u32 v5, vcc_lo, v3, 8
	global_load_b64 v[24:25], v[3:4], off
	s_wait_alu 0xfffd
	v_add_co_ci_u32_e64 v6, null, 0, v4, vcc_lo
	s_cmp_eq_u64 s[6:7], 0
	s_load_b64 s[4:5], s[0:1], 0x48
	s_cselect_b32 vcc_lo, -1, 0
	s_cmp_eq_u32 s3, 1
	s_wait_alu 0xfffe
	v_dual_cndmask_b32 v2, v2, v6 :: v_dual_cndmask_b32 v1, v1, v5
	global_load_b64 v[1:2], v[1:2], off
	s_wait_loadcnt 0x1
	v_sub_co_u32 v0, vcc_lo, v24, v62
	s_wait_alu 0xfffd
	v_sub_co_ci_u32_e64 v3, null, v25, v63, vcc_lo
	s_delay_alu instid0(VALU_DEP_2) | instskip(SKIP_1) | instid1(VALU_DEP_2)
	v_add_co_u32 v64, vcc_lo, v0, v76
	s_wait_alu 0xfffd
	v_add_co_ci_u32_e64 v65, null, 0, v3, vcc_lo
	s_wait_loadcnt 0x0
	v_sub_co_u32 v66, vcc_lo, v1, v62
	s_delay_alu instid0(VALU_DEP_2) | instskip(SKIP_2) | instid1(VALU_DEP_2)
	v_lshlrev_b64_e32 v[0:1], 7, v[64:65]
	s_wait_alu 0xfffd
	v_sub_co_ci_u32_e64 v67, null, v2, v63, vcc_lo
	v_add_co_u32 v68, vcc_lo, s10, v0
	s_delay_alu instid0(VALU_DEP_2)
	v_cmp_lt_i64_e64 s2, v[64:65], v[66:67]
	s_wait_alu 0xfffd
	v_add_co_ci_u32_e64 v69, null, s11, v1, vcc_lo
	s_cbranch_scc1 .LBB52_25
; %bb.14:
	v_dual_mov_b32 v82, 0 :: v_dual_mov_b32 v81, 0
	v_dual_mov_b32 v80, 0 :: v_dual_mov_b32 v79, 0
	;; [unrolled: 1-line block ×3, first 2 shown]
	v_mov_b32_e32 v71, 0
	s_and_saveexec_b32 s6, s2
	s_cbranch_execz .LBB52_24
; %bb.15:
	v_or_b32_e32 v0, 16, v76
	v_not_b32_e32 v3, v24
	v_sub_co_u32 v4, s3, v62, v76
	v_not_b32_e32 v2, v25
	s_delay_alu instid0(VALU_DEP_4)
	v_sub_co_u32 v0, vcc_lo, v0, v62
	s_wait_alu 0xfffd
	v_sub_co_ci_u32_e64 v1, null, 0, v63, vcc_lo
	s_wait_alu 0xf1ff
	v_subrev_co_ci_u32_e64 v5, null, 0, v63, s3
	v_add_co_u32 v0, vcc_lo, v0, v24
	s_wait_alu 0xfffd
	v_add_co_ci_u32_e64 v1, null, v1, v25, vcc_lo
	s_mov_b32 s3, exec_lo
	v_dual_mov_b32 v26, v68 :: v_dual_mov_b32 v27, v69
	v_mov_b32_e32 v28, v64
	v_cmp_gt_i64_e32 vcc_lo, v[0:1], v[66:67]
	v_mov_b32_e32 v71, 0
	v_mov_b32_e32 v29, v65
	s_wait_alu 0xfffd
	v_dual_cndmask_b32 v1, v67, v1 :: v_dual_cndmask_b32 v0, v66, v0
	v_add_co_u32 v3, vcc_lo, v4, v3
	s_wait_alu 0xfffd
	v_add_co_ci_u32_e64 v2, null, v5, v2, vcc_lo
	v_mov_b32_e32 v77, v71
	s_delay_alu instid0(VALU_DEP_3) | instskip(SKIP_3) | instid1(VALU_DEP_4)
	v_add_co_u32 v0, vcc_lo, v3, v0
	v_dual_mov_b32 v83, v71 :: v_dual_mov_b32 v78, v71
	v_dual_mov_b32 v79, v71 :: v_dual_mov_b32 v80, v71
	;; [unrolled: 1-line block ×3, first 2 shown]
	v_and_b32_e32 v70, 48, v0
	s_wait_alu 0xfffd
	v_add_co_ci_u32_e64 v1, null, v2, v1, vcc_lo
	s_delay_alu instid0(VALU_DEP_2)
	v_cmpx_ne_u64_e32 48, v[70:71]
	s_cbranch_execz .LBB52_19
; %bb.16:
	v_lshrrev_b32_e32 v2, 4, v0
	v_dual_mov_b32 v77, 0 :: v_dual_mov_b32 v28, v64
	v_dual_mov_b32 v29, v65 :: v_dual_mov_b32 v26, v68
	s_delay_alu instid0(VALU_DEP_3) | instskip(SKIP_2) | instid1(VALU_DEP_3)
	v_dual_mov_b32 v27, v69 :: v_dual_add_nc_u32 v4, 1, v2
	v_lshlrev_b64_e32 v[2:3], 3, v[64:65]
	v_dual_mov_b32 v82, 0 :: v_dual_mov_b32 v81, 0
	v_dual_mov_b32 v79, 0 :: v_dual_and_b32 v4, 3, v4
	v_dual_mov_b32 v80, 0 :: v_dual_mov_b32 v83, 0
	s_delay_alu instid0(VALU_DEP_4) | instskip(NEXT) | instid1(VALU_DEP_3)
	v_add_co_u32 v2, vcc_lo, s8, v2
	v_sub_co_u32 v4, s7, 0, v4
	s_wait_alu 0xfffd
	v_add_co_ci_u32_e64 v3, null, s9, v3, vcc_lo
	s_wait_alu 0xf1ff
	v_sub_co_ci_u32_e64 v5, null, 0, 0, s7
	v_dual_mov_b32 v78, 0 :: v_dual_mov_b32 v71, 0
	s_mov_b32 s7, 0
.LBB52_17:                              ; =>This Inner Loop Header: Depth=1
	global_load_b64 v[22:23], v[2:3], off
	s_clause 0x7
	global_load_b128 v[6:9], v[26:27], off offset:48
	global_load_b128 v[10:13], v[26:27], off offset:32
	;; [unrolled: 1-line block ×3, first 2 shown]
	global_load_b128 v[18:21], v[26:27], off
	global_load_b128 v[30:33], v[26:27], off offset:112
	global_load_b128 v[34:37], v[26:27], off offset:96
	;; [unrolled: 1-line block ×4, first 2 shown]
	s_wait_loadcnt 0x8
	v_sub_co_u32 v22, vcc_lo, v22, v62
	s_wait_alu 0xfffd
	v_sub_co_ci_u32_e64 v23, null, v23, v63, vcc_lo
	s_delay_alu instid0(VALU_DEP_1) | instskip(SKIP_1) | instid1(VALU_DEP_1)
	v_lshlrev_b64_e32 v[22:23], 5, v[22:23]
	s_wait_kmcnt 0x0
	v_add_co_u32 v22, vcc_lo, s4, v22
	s_wait_alu 0xfffd
	s_delay_alu instid0(VALU_DEP_2)
	v_add_co_ci_u32_e64 v23, null, s5, v23, vcc_lo
	v_add_co_u32 v26, vcc_lo, 0x800, v26
	s_wait_alu 0xfffd
	v_add_co_ci_u32_e64 v27, null, 0, v27, vcc_lo
	s_clause 0x1
	global_load_b128 v[46:49], v[22:23], off
	global_load_b128 v[50:53], v[22:23], off offset:16
	v_add_co_u32 v28, vcc_lo, v28, 16
	s_wait_alu 0xfffd
	v_add_co_ci_u32_e64 v29, null, 0, v29, vcc_lo
	v_add_co_u32 v4, vcc_lo, v4, 1
	s_wait_alu 0xfffd
	v_add_co_ci_u32_e64 v5, null, 0, v5, vcc_lo
	;; [unrolled: 3-line block ×3, first 2 shown]
	s_delay_alu instid0(VALU_DEP_3)
	v_cmp_eq_u64_e32 vcc_lo, 0, v[4:5]
	s_wait_alu 0xfffe
	s_or_b32 s7, vcc_lo, s7
	s_wait_loadcnt 0x1
	v_fmac_f32_e32 v78, v35, v46
	v_fmac_f32_e32 v77, v19, v46
	;; [unrolled: 1-line block ×4, first 2 shown]
	s_delay_alu instid0(VALU_DEP_4) | instskip(NEXT) | instid1(VALU_DEP_4)
	v_fmac_f32_e32 v78, v34, v47
	v_fmac_f32_e32 v77, v18, v47
	;; [unrolled: 1-line block ×4, first 2 shown]
	v_fma_f32 v19, -v19, v47, v82
	v_fmac_f32_e32 v78, v37, v48
	v_fmac_f32_e32 v77, v21, v48
	v_fma_f32 v18, -v35, v47, v80
	v_fmac_f32_e32 v71, v11, v46
	s_delay_alu instid0(VALU_DEP_4) | instskip(SKIP_1) | instid1(VALU_DEP_3)
	v_dual_fmac_f32 v79, v43, v46 :: v_dual_fmac_f32 v78, v36, v49
	v_fmac_f32_e32 v19, v20, v48
	v_dual_fmac_f32 v18, v36, v48 :: v_dual_fmac_f32 v71, v10, v47
	v_fma_f32 v10, -v43, v47, v81
	s_wait_loadcnt 0x0
	v_fmac_f32_e32 v78, v31, v50
	v_fma_f32 v19, -v21, v49, v19
	v_fmac_f32_e32 v71, v13, v48
	v_fmac_f32_e32 v10, v44, v48
	v_fma_f32 v11, -v11, v47, v83
	v_dual_fmac_f32 v78, v30, v51 :: v_dual_fmac_f32 v77, v20, v49
	s_delay_alu instid0(VALU_DEP_4) | instskip(NEXT) | instid1(VALU_DEP_4)
	v_fmac_f32_e32 v71, v12, v49
	v_fma_f32 v10, -v45, v49, v10
	s_delay_alu instid0(VALU_DEP_4) | instskip(SKIP_1) | instid1(VALU_DEP_4)
	v_fmac_f32_e32 v11, v12, v48
	v_fma_f32 v12, -v37, v49, v18
	v_dual_fmac_f32 v78, v33, v52 :: v_dual_fmac_f32 v71, v7, v50
	s_delay_alu instid0(VALU_DEP_4) | instskip(NEXT) | instid1(VALU_DEP_4)
	v_fmac_f32_e32 v10, v38, v50
	v_fma_f32 v11, -v13, v49, v11
	s_delay_alu instid0(VALU_DEP_4) | instskip(NEXT) | instid1(VALU_DEP_4)
	v_fmac_f32_e32 v12, v30, v50
	v_dual_fmac_f32 v77, v15, v50 :: v_dual_fmac_f32 v78, v32, v53
	v_fmac_f32_e32 v71, v6, v51
	s_delay_alu instid0(VALU_DEP_4) | instskip(SKIP_4) | instid1(VALU_DEP_4)
	v_fmac_f32_e32 v11, v6, v50
	v_fma_f32 v6, -v39, v51, v10
	v_fmac_f32_e32 v79, v42, v47
	v_fma_f32 v10, -v31, v51, v12
	v_fmac_f32_e32 v19, v14, v50
	v_dual_fmac_f32 v77, v14, v51 :: v_dual_fmac_f32 v6, v40, v52
	s_delay_alu instid0(VALU_DEP_4)
	v_fmac_f32_e32 v79, v45, v48
	v_fma_f32 v7, -v7, v51, v11
	v_fmac_f32_e32 v10, v32, v52
	v_fma_f32 v13, -v15, v51, v19
	v_fmac_f32_e32 v71, v9, v52
	v_fmac_f32_e32 v79, v44, v49
	;; [unrolled: 1-line block ×7, first 2 shown]
	v_fma_f32 v83, -v9, v53, v7
	v_fmac_f32_e32 v77, v16, v53
	v_fma_f32 v82, -v17, v53, v13
	v_fma_f32 v81, -v41, v53, v6
	v_fmac_f32_e32 v79, v38, v51
	v_fma_f32 v80, -v33, v53, v10
	s_delay_alu instid0(VALU_DEP_2) | instskip(NEXT) | instid1(VALU_DEP_1)
	v_fmac_f32_e32 v79, v41, v52
	v_fmac_f32_e32 v79, v40, v53
	s_wait_alu 0xfffe
	s_and_not1_b32 exec_lo, exec_lo, s7
	s_cbranch_execnz .LBB52_17
; %bb.18:
	s_or_b32 exec_lo, exec_lo, s7
.LBB52_19:
	s_wait_alu 0xfffe
	s_or_b32 exec_lo, exec_lo, s3
	s_delay_alu instid0(SALU_CYCLE_1)
	s_mov_b32 s3, exec_lo
	v_cmpx_lt_u64_e32 47, v[0:1]
	s_cbranch_execz .LBB52_23
; %bb.20:
	v_lshlrev_b64_e32 v[0:1], 3, v[28:29]
	s_mov_b32 s7, 0
	s_delay_alu instid0(VALU_DEP_1) | instskip(SKIP_1) | instid1(VALU_DEP_2)
	v_add_co_u32 v0, vcc_lo, s8, v0
	s_wait_alu 0xfffd
	v_add_co_ci_u32_e64 v1, null, s9, v1, vcc_lo
	s_delay_alu instid0(VALU_DEP_2) | instskip(SKIP_1) | instid1(VALU_DEP_2)
	v_add_co_u32 v30, vcc_lo, 0x100, v0
	s_wait_alu 0xfffd
	v_add_co_ci_u32_e64 v31, null, 0, v1, vcc_lo
.LBB52_21:                              ; =>This Inner Loop Header: Depth=1
	s_clause 0x3
	global_load_b64 v[32:33], v[30:31], off offset:-256
	global_load_b64 v[54:55], v[30:31], off offset:-128
	global_load_b64 v[164:165], v[30:31], off
	global_load_b64 v[166:167], v[30:31], off offset:128
	s_clause 0x1f
	global_load_b128 v[34:37], v[26:27], off offset:48
	global_load_b128 v[38:41], v[26:27], off offset:32
	;; [unrolled: 1-line block ×3, first 2 shown]
	global_load_b128 v[46:49], v[26:27], off
	global_load_b128 v[50:53], v[26:27], off offset:112
	global_load_b128 v[72:75], v[26:27], off offset:96
	;; [unrolled: 1-line block ×28, first 2 shown]
	s_wait_loadcnt 0x23
	v_sub_co_u32 v32, vcc_lo, v32, v62
	s_wait_alu 0xfffd
	v_sub_co_ci_u32_e64 v33, null, v33, v63, vcc_lo
	s_wait_loadcnt 0x22
	v_sub_co_u32 v54, vcc_lo, v54, v62
	s_wait_alu 0xfffd
	v_sub_co_ci_u32_e64 v55, null, v55, v63, vcc_lo
	;; [unrolled: 4-line block ×3, first 2 shown]
	s_wait_loadcnt 0x20
	v_sub_co_u32 v166, vcc_lo, v166, v62
	v_lshlrev_b64_e32 v[32:33], 5, v[32:33]
	s_wait_alu 0xfffd
	v_sub_co_ci_u32_e64 v167, null, v167, v63, vcc_lo
	v_lshlrev_b64_e32 v[54:55], 5, v[54:55]
	v_lshlrev_b64_e32 v[164:165], 5, v[164:165]
	s_delay_alu instid0(VALU_DEP_3)
	v_lshlrev_b64_e32 v[166:167], 5, v[166:167]
	s_wait_kmcnt 0x0
	v_add_co_u32 v32, vcc_lo, s4, v32
	s_wait_alu 0xfffd
	v_add_co_ci_u32_e64 v33, null, s5, v33, vcc_lo
	v_add_co_u32 v54, vcc_lo, s4, v54
	s_wait_alu 0xfffd
	v_add_co_ci_u32_e64 v55, null, s5, v55, vcc_lo
	;; [unrolled: 3-line block ×4, first 2 shown]
	s_clause 0x1
	global_load_b128 v[164:167], v[32:33], off
	global_load_b128 v[168:171], v[32:33], off offset:16
	v_add_co_u32 v28, vcc_lo, v28, 64
	s_wait_alu 0xfffd
	v_add_co_ci_u32_e64 v29, null, 0, v29, vcc_lo
	v_add_co_u32 v26, vcc_lo, 0x2000, v26
	s_wait_alu 0xfffd
	v_add_co_ci_u32_e64 v27, null, 0, v27, vcc_lo
	;; [unrolled: 3-line block ×3, first 2 shown]
	v_cmp_ge_i64_e32 vcc_lo, v[28:29], v[66:67]
	s_wait_alu 0xfffe
	s_or_b32 s7, vcc_lo, s7
	s_wait_loadcnt 0x1
	v_fmac_f32_e32 v77, v47, v164
	s_delay_alu instid0(VALU_DEP_1) | instskip(NEXT) | instid1(VALU_DEP_1)
	v_dual_fmac_f32 v80, v72, v164 :: v_dual_fmac_f32 v77, v46, v165
	v_dual_fmac_f32 v82, v46, v164 :: v_dual_fmac_f32 v77, v49, v166
	s_delay_alu instid0(VALU_DEP_1) | instskip(NEXT) | instid1(VALU_DEP_2)
	v_fma_f32 v32, -v47, v165, v82
	v_fmac_f32_e32 v77, v48, v167
	s_delay_alu instid0(VALU_DEP_2) | instskip(NEXT) | instid1(VALU_DEP_1)
	v_fmac_f32_e32 v32, v48, v166
	v_fma_f32 v32, -v49, v167, v32
	s_clause 0x1
	global_load_b128 v[46:49], v[54:55], off
	global_load_b128 v[172:175], v[54:55], off offset:16
	v_fma_f32 v55, -v73, v165, v80
	v_fmac_f32_e32 v78, v73, v164
	s_wait_loadcnt 0x2
	v_fmac_f32_e32 v32, v42, v168
	s_delay_alu instid0(VALU_DEP_3) | instskip(NEXT) | instid1(VALU_DEP_3)
	v_fmac_f32_e32 v55, v74, v166
	v_dual_fmac_f32 v83, v38, v164 :: v_dual_fmac_f32 v78, v72, v165
	v_fmac_f32_e32 v81, v88, v164
	s_delay_alu instid0(VALU_DEP_4) | instskip(SKIP_1) | instid1(VALU_DEP_4)
	v_fma_f32 v32, -v43, v169, v32
	v_fmac_f32_e32 v79, v89, v164
	v_fma_f32 v33, -v39, v165, v83
	v_fmac_f32_e32 v78, v75, v166
	v_fma_f32 v54, -v89, v165, v81
	v_dual_fmac_f32 v71, v39, v164 :: v_dual_fmac_f32 v32, v44, v170
	s_delay_alu instid0(VALU_DEP_3) | instskip(NEXT) | instid1(VALU_DEP_3)
	v_dual_fmac_f32 v33, v40, v166 :: v_dual_fmac_f32 v78, v74, v167
	v_fmac_f32_e32 v54, v90, v166
	v_fma_f32 v55, -v75, v167, v55
	s_delay_alu instid0(VALU_DEP_4) | instskip(NEXT) | instid1(VALU_DEP_4)
	v_fma_f32 v32, -v45, v171, v32
	v_fma_f32 v33, -v41, v167, v33
	v_fmac_f32_e32 v78, v51, v168
	v_fma_f32 v54, -v91, v167, v54
	v_fmac_f32_e32 v71, v38, v165
	s_delay_alu instid0(VALU_DEP_4) | instskip(NEXT) | instid1(VALU_DEP_4)
	v_fmac_f32_e32 v33, v34, v168
	v_fmac_f32_e32 v78, v50, v169
	s_delay_alu instid0(VALU_DEP_3) | instskip(NEXT) | instid1(VALU_DEP_2)
	v_dual_fmac_f32 v54, v84, v168 :: v_dual_fmac_f32 v71, v41, v166
	v_dual_fmac_f32 v77, v43, v168 :: v_dual_fmac_f32 v78, v53, v170
	s_delay_alu instid0(VALU_DEP_2) | instskip(SKIP_2) | instid1(VALU_DEP_1)
	v_fmac_f32_e32 v71, v40, v167
	global_load_b128 v[38:41], v[176:177], off
	v_dual_fmac_f32 v78, v52, v171 :: v_dual_fmac_f32 v71, v35, v168
	v_fmac_f32_e32 v71, v34, v169
	v_fma_f32 v34, -v85, v169, v54
	s_delay_alu instid0(VALU_DEP_1) | instskip(NEXT) | instid1(VALU_DEP_1)
	v_dual_fmac_f32 v79, v88, v165 :: v_dual_fmac_f32 v34, v86, v170
	v_fmac_f32_e32 v79, v91, v166
	s_delay_alu instid0(VALU_DEP_2) | instskip(NEXT) | instid1(VALU_DEP_2)
	v_fma_f32 v34, -v87, v171, v34
	v_fmac_f32_e32 v79, v90, v167
	s_clause 0x2
	global_load_b128 v[88:91], v[176:177], off offset:16
	global_load_b128 v[72:75], v[178:179], off
	global_load_b128 v[164:167], v[178:179], off offset:16
	s_wait_loadcnt 0x5
	v_fmac_f32_e32 v32, v104, v46
	v_fmac_f32_e32 v34, v120, v46
	;; [unrolled: 1-line block ×4, first 2 shown]
	v_fma_f32 v33, -v35, v169, v33
	v_fma_f32 v32, -v105, v47, v32
	;; [unrolled: 1-line block ×3, first 2 shown]
	v_dual_fmac_f32 v78, v112, v47 :: v_dual_fmac_f32 v77, v42, v169
	s_delay_alu instid0(VALU_DEP_3) | instskip(NEXT) | instid1(VALU_DEP_3)
	v_dual_fmac_f32 v79, v84, v169 :: v_dual_fmac_f32 v32, v106, v48
	v_fmac_f32_e32 v34, v122, v48
	s_delay_alu instid0(VALU_DEP_3) | instskip(SKIP_1) | instid1(VALU_DEP_4)
	v_dual_fmac_f32 v78, v115, v48 :: v_dual_fmac_f32 v77, v45, v170
	v_fmac_f32_e32 v33, v36, v170
	v_fma_f32 v32, -v107, v49, v32
	s_delay_alu instid0(VALU_DEP_4) | instskip(NEXT) | instid1(VALU_DEP_4)
	v_fma_f32 v34, -v123, v49, v34
	v_dual_fmac_f32 v78, v114, v49 :: v_dual_fmac_f32 v79, v87, v170
	s_delay_alu instid0(VALU_DEP_4)
	v_fma_f32 v33, -v37, v171, v33
	s_wait_loadcnt 0x4
	v_dual_fmac_f32 v32, v100, v172 :: v_dual_fmac_f32 v71, v37, v170
	v_fmac_f32_e32 v34, v116, v172
	v_fmac_f32_e32 v78, v109, v172
	;; [unrolled: 1-line block ×3, first 2 shown]
	s_delay_alu instid0(VALU_DEP_4)
	v_fma_f32 v32, -v101, v173, v32
	v_fmac_f32_e32 v77, v44, v171
	v_fma_f32 v34, -v117, v173, v34
	v_fmac_f32_e32 v71, v36, v171
	v_fmac_f32_e32 v78, v108, v173
	v_fma_f32 v35, -v51, v169, v55
	v_fmac_f32_e32 v79, v86, v171
	v_fmac_f32_e32 v34, v118, v174
	;; [unrolled: 1-line block ×5, first 2 shown]
	s_delay_alu instid0(VALU_DEP_4) | instskip(NEXT) | instid1(VALU_DEP_4)
	v_fma_f32 v34, -v119, v175, v34
	v_fma_f32 v32, -v103, v175, v32
	s_delay_alu instid0(VALU_DEP_4) | instskip(NEXT) | instid1(VALU_DEP_4)
	v_fmac_f32_e32 v78, v110, v175
	v_fma_f32 v35, -v53, v171, v35
	s_wait_loadcnt 0x3
	v_fmac_f32_e32 v34, v140, v38
	v_fmac_f32_e32 v32, v128, v38
	;; [unrolled: 1-line block ×4, first 2 shown]
	s_delay_alu instid0(VALU_DEP_4) | instskip(NEXT) | instid1(VALU_DEP_3)
	v_fma_f32 v34, -v141, v39, v34
	v_dual_fmac_f32 v71, v97, v46 :: v_dual_fmac_f32 v78, v132, v39
	v_fmac_f32_e32 v79, v121, v46
	v_fma_f32 v32, -v129, v39, v32
	s_delay_alu instid0(VALU_DEP_3) | instskip(NEXT) | instid1(VALU_DEP_4)
	v_dual_fmac_f32 v34, v142, v40 :: v_dual_fmac_f32 v71, v96, v47
	v_dual_fmac_f32 v78, v135, v40 :: v_dual_fmac_f32 v35, v112, v46
	s_delay_alu instid0(VALU_DEP_3) | instskip(NEXT) | instid1(VALU_DEP_3)
	v_dual_fmac_f32 v33, v96, v46 :: v_dual_fmac_f32 v32, v130, v40
	v_fma_f32 v34, -v143, v41, v34
	s_delay_alu instid0(VALU_DEP_3) | instskip(NEXT) | instid1(VALU_DEP_3)
	v_dual_fmac_f32 v78, v134, v41 :: v_dual_fmac_f32 v77, v104, v47
	v_fma_f32 v33, -v97, v47, v33
	v_fma_f32 v35, -v113, v47, v35
	;; [unrolled: 1-line block ×3, first 2 shown]
	s_wait_loadcnt 0x2
	v_fmac_f32_e32 v78, v13, v88
	v_fmac_f32_e32 v77, v107, v48
	v_fmac_f32_e32 v33, v98, v48
	v_fmac_f32_e32 v34, v136, v88
	v_fmac_f32_e32 v32, v16, v88
	v_dual_fmac_f32 v78, v12, v89 :: v_dual_fmac_f32 v35, v114, v48
	s_delay_alu instid0(VALU_DEP_4) | instskip(NEXT) | instid1(VALU_DEP_2)
	v_fma_f32 v33, -v99, v49, v33
	v_dual_fmac_f32 v77, v106, v49 :: v_dual_fmac_f32 v78, v15, v90
	v_fmac_f32_e32 v71, v99, v48
	s_delay_alu instid0(VALU_DEP_3) | instskip(SKIP_1) | instid1(VALU_DEP_4)
	v_fmac_f32_e32 v33, v92, v172
	v_fma_f32 v35, -v115, v49, v35
	v_fmac_f32_e32 v78, v14, v91
	s_delay_alu instid0(VALU_DEP_4) | instskip(NEXT) | instid1(VALU_DEP_4)
	v_fmac_f32_e32 v71, v98, v49
	v_fma_f32 v33, -v93, v173, v33
	s_wait_loadcnt 0x1
	s_delay_alu instid0(VALU_DEP_3) | instskip(NEXT) | instid1(VALU_DEP_3)
	v_fmac_f32_e32 v78, v153, v72
	v_fmac_f32_e32 v71, v93, v172
	s_delay_alu instid0(VALU_DEP_2) | instskip(NEXT) | instid1(VALU_DEP_2)
	v_dual_fmac_f32 v33, v94, v174 :: v_dual_fmac_f32 v78, v152, v73
	v_fmac_f32_e32 v71, v92, v173
	s_delay_alu instid0(VALU_DEP_2) | instskip(NEXT) | instid1(VALU_DEP_3)
	v_fma_f32 v33, -v95, v175, v33
	v_fmac_f32_e32 v78, v155, v74
	s_delay_alu instid0(VALU_DEP_3) | instskip(NEXT) | instid1(VALU_DEP_2)
	v_fmac_f32_e32 v71, v95, v174
	v_dual_fmac_f32 v33, v124, v38 :: v_dual_fmac_f32 v78, v154, v75
	s_delay_alu instid0(VALU_DEP_2) | instskip(NEXT) | instid1(VALU_DEP_2)
	v_fmac_f32_e32 v71, v94, v175
	v_fma_f32 v33, -v125, v39, v33
	s_wait_loadcnt 0x0
	s_delay_alu instid0(VALU_DEP_3) | instskip(NEXT) | instid1(VALU_DEP_3)
	v_fmac_f32_e32 v78, v149, v164
	v_fmac_f32_e32 v71, v125, v38
	s_delay_alu instid0(VALU_DEP_2) | instskip(NEXT) | instid1(VALU_DEP_2)
	v_dual_fmac_f32 v33, v126, v40 :: v_dual_fmac_f32 v78, v148, v165
	v_fmac_f32_e32 v71, v124, v39
	s_delay_alu instid0(VALU_DEP_2) | instskip(NEXT) | instid1(VALU_DEP_3)
	v_fma_f32 v33, -v127, v41, v33
	v_fmac_f32_e32 v78, v151, v166
	s_delay_alu instid0(VALU_DEP_3) | instskip(NEXT) | instid1(VALU_DEP_2)
	v_fmac_f32_e32 v71, v127, v40
	v_dual_fmac_f32 v33, v8, v88 :: v_dual_fmac_f32 v78, v150, v167
	s_delay_alu instid0(VALU_DEP_2) | instskip(NEXT) | instid1(VALU_DEP_1)
	v_fmac_f32_e32 v71, v126, v41
	v_fmac_f32_e32 v71, v9, v88
	s_delay_alu instid0(VALU_DEP_3) | instskip(NEXT) | instid1(VALU_DEP_2)
	v_fma_f32 v9, -v9, v89, v33
	v_fmac_f32_e32 v71, v8, v89
	v_fma_f32 v8, -v137, v89, v34
	v_fmac_f32_e32 v79, v120, v47
	s_delay_alu instid0(VALU_DEP_4) | instskip(NEXT) | instid1(VALU_DEP_4)
	v_fmac_f32_e32 v9, v10, v90
	v_fmac_f32_e32 v71, v11, v90
	s_delay_alu instid0(VALU_DEP_3) | instskip(NEXT) | instid1(VALU_DEP_3)
	v_dual_fmac_f32 v8, v138, v90 :: v_dual_fmac_f32 v79, v123, v48
	v_fma_f32 v9, -v11, v91, v9
	s_delay_alu instid0(VALU_DEP_3) | instskip(NEXT) | instid1(VALU_DEP_3)
	v_fmac_f32_e32 v71, v10, v91
	v_fma_f32 v8, -v139, v91, v8
	s_delay_alu instid0(VALU_DEP_3) | instskip(NEXT) | instid1(VALU_DEP_3)
	v_fmac_f32_e32 v9, v20, v72
	v_fmac_f32_e32 v71, v21, v72
	s_delay_alu instid0(VALU_DEP_3) | instskip(NEXT) | instid1(VALU_DEP_3)
	v_fmac_f32_e32 v8, v160, v72
	v_fma_f32 v9, -v21, v73, v9
	s_delay_alu instid0(VALU_DEP_3) | instskip(NEXT) | instid1(VALU_DEP_3)
	v_fmac_f32_e32 v71, v20, v73
	v_fma_f32 v8, -v161, v73, v8
	v_fmac_f32_e32 v77, v101, v172
	s_delay_alu instid0(VALU_DEP_4) | instskip(NEXT) | instid1(VALU_DEP_4)
	v_fmac_f32_e32 v9, v22, v74
	v_fmac_f32_e32 v71, v23, v74
	s_delay_alu instid0(VALU_DEP_3) | instskip(NEXT) | instid1(VALU_DEP_3)
	v_dual_fmac_f32 v8, v162, v74 :: v_dual_fmac_f32 v77, v100, v173
	v_fma_f32 v9, -v23, v75, v9
	s_delay_alu instid0(VALU_DEP_3) | instskip(NEXT) | instid1(VALU_DEP_3)
	v_fmac_f32_e32 v71, v22, v75
	v_fma_f32 v8, -v163, v75, v8
	s_delay_alu instid0(VALU_DEP_3) | instskip(NEXT) | instid1(VALU_DEP_3)
	v_fmac_f32_e32 v9, v0, v164
	v_fmac_f32_e32 v71, v1, v164
	s_delay_alu instid0(VALU_DEP_3) | instskip(NEXT) | instid1(VALU_DEP_3)
	v_fmac_f32_e32 v8, v156, v164
	v_fma_f32 v1, -v1, v165, v9
	s_delay_alu instid0(VALU_DEP_3) | instskip(NEXT) | instid1(VALU_DEP_3)
	v_fmac_f32_e32 v71, v0, v165
	v_fma_f32 v0, -v157, v165, v8
	v_fmac_f32_e32 v35, v108, v172
	s_delay_alu instid0(VALU_DEP_4) | instskip(NEXT) | instid1(VALU_DEP_4)
	v_fmac_f32_e32 v1, v2, v166
	v_fmac_f32_e32 v71, v3, v166
	s_delay_alu instid0(VALU_DEP_4) | instskip(NEXT) | instid1(VALU_DEP_4)
	v_fmac_f32_e32 v0, v158, v166
	v_fma_f32 v35, -v109, v173, v35
	s_delay_alu instid0(VALU_DEP_4) | instskip(NEXT) | instid1(VALU_DEP_4)
	v_fma_f32 v83, -v3, v167, v1
	v_fmac_f32_e32 v71, v2, v167
	s_delay_alu instid0(VALU_DEP_4) | instskip(NEXT) | instid1(VALU_DEP_4)
	v_fma_f32 v81, -v159, v167, v0
	v_fmac_f32_e32 v35, v110, v174
	s_delay_alu instid0(VALU_DEP_1) | instskip(NEXT) | instid1(VALU_DEP_1)
	v_fma_f32 v35, -v111, v175, v35
	v_fmac_f32_e32 v35, v132, v38
	s_delay_alu instid0(VALU_DEP_1) | instskip(NEXT) | instid1(VALU_DEP_1)
	;; [unrolled: 3-line block ×5, first 2 shown]
	v_fma_f32 v10, -v15, v91, v13
	v_dual_fmac_f32 v77, v103, v174 :: v_dual_fmac_f32 v10, v152, v72
	s_delay_alu instid0(VALU_DEP_1) | instskip(NEXT) | instid1(VALU_DEP_2)
	v_fmac_f32_e32 v77, v102, v175
	v_fma_f32 v10, -v153, v73, v10
	s_delay_alu instid0(VALU_DEP_2) | instskip(NEXT) | instid1(VALU_DEP_1)
	v_fmac_f32_e32 v77, v129, v38
	v_dual_fmac_f32 v10, v154, v74 :: v_dual_fmac_f32 v77, v128, v39
	s_delay_alu instid0(VALU_DEP_1) | instskip(NEXT) | instid1(VALU_DEP_2)
	v_fma_f32 v10, -v155, v75, v10
	v_fmac_f32_e32 v77, v131, v40
	s_delay_alu instid0(VALU_DEP_1) | instskip(NEXT) | instid1(VALU_DEP_1)
	v_dual_fmac_f32 v10, v148, v164 :: v_dual_fmac_f32 v77, v130, v41
	v_fmac_f32_e32 v77, v17, v88
	v_fma_f32 v17, -v17, v89, v32
	s_delay_alu instid0(VALU_DEP_2) | instskip(NEXT) | instid1(VALU_DEP_2)
	v_fmac_f32_e32 v77, v16, v89
	v_fmac_f32_e32 v17, v18, v90
	s_delay_alu instid0(VALU_DEP_2) | instskip(NEXT) | instid1(VALU_DEP_2)
	v_fmac_f32_e32 v77, v19, v90
	v_fma_f32 v12, -v19, v91, v17
	v_fmac_f32_e32 v79, v122, v49
	s_delay_alu instid0(VALU_DEP_2) | instskip(NEXT) | instid1(VALU_DEP_2)
	v_dual_fmac_f32 v77, v18, v91 :: v_dual_fmac_f32 v12, v144, v72
	v_fmac_f32_e32 v79, v117, v172
	s_delay_alu instid0(VALU_DEP_2) | instskip(NEXT) | instid1(VALU_DEP_3)
	v_fmac_f32_e32 v77, v145, v72
	v_fma_f32 v11, -v145, v73, v12
	s_delay_alu instid0(VALU_DEP_2) | instskip(NEXT) | instid1(VALU_DEP_2)
	v_fmac_f32_e32 v77, v144, v73
	v_fmac_f32_e32 v11, v146, v74
	s_delay_alu instid0(VALU_DEP_2) | instskip(NEXT) | instid1(VALU_DEP_2)
	v_fmac_f32_e32 v77, v147, v74
	v_fma_f32 v11, -v147, v75, v11
	s_delay_alu instid0(VALU_DEP_2) | instskip(NEXT) | instid1(VALU_DEP_2)
	v_fmac_f32_e32 v77, v146, v75
	v_fmac_f32_e32 v11, v4, v164
	s_delay_alu instid0(VALU_DEP_2) | instskip(NEXT) | instid1(VALU_DEP_2)
	v_fmac_f32_e32 v77, v5, v164
	v_fma_f32 v5, -v5, v165, v11
	s_delay_alu instid0(VALU_DEP_2) | instskip(SKIP_2) | instid1(VALU_DEP_4)
	v_fmac_f32_e32 v77, v4, v165
	v_fma_f32 v4, -v149, v165, v10
	v_fmac_f32_e32 v79, v116, v173
	v_fmac_f32_e32 v5, v6, v166
	s_delay_alu instid0(VALU_DEP_4) | instskip(NEXT) | instid1(VALU_DEP_4)
	v_fmac_f32_e32 v77, v7, v166
	v_fmac_f32_e32 v4, v150, v166
	s_delay_alu instid0(VALU_DEP_4) | instskip(NEXT) | instid1(VALU_DEP_4)
	v_fmac_f32_e32 v79, v119, v174
	v_fma_f32 v82, -v7, v167, v5
	s_delay_alu instid0(VALU_DEP_4) | instskip(NEXT) | instid1(VALU_DEP_4)
	v_fmac_f32_e32 v77, v6, v167
	v_fma_f32 v80, -v151, v167, v4
	s_delay_alu instid0(VALU_DEP_4) | instskip(NEXT) | instid1(VALU_DEP_1)
	v_fmac_f32_e32 v79, v118, v175
	v_fmac_f32_e32 v79, v141, v38
	s_delay_alu instid0(VALU_DEP_1) | instskip(NEXT) | instid1(VALU_DEP_1)
	v_fmac_f32_e32 v79, v140, v39
	v_fmac_f32_e32 v79, v143, v40
	s_delay_alu instid0(VALU_DEP_1) | instskip(NEXT) | instid1(VALU_DEP_1)
	;; [unrolled: 3-line block ×7, first 2 shown]
	v_fmac_f32_e32 v79, v156, v165
	v_fmac_f32_e32 v79, v159, v166
	s_delay_alu instid0(VALU_DEP_1)
	v_fmac_f32_e32 v79, v158, v167
	s_wait_alu 0xfffe
	s_and_not1_b32 exec_lo, exec_lo, s7
	s_cbranch_execnz .LBB52_21
; %bb.22:
	s_or_b32 exec_lo, exec_lo, s7
.LBB52_23:
	s_wait_alu 0xfffe
	s_or_b32 exec_lo, exec_lo, s3
.LBB52_24:
	s_wait_alu 0xfffe
	s_or_b32 exec_lo, exec_lo, s6
	s_cbranch_execz .LBB52_26
	s_branch .LBB52_37
.LBB52_25:
                                        ; implicit-def: $vgpr77
                                        ; implicit-def: $vgpr82
                                        ; implicit-def: $vgpr80
                                        ; implicit-def: $vgpr78
                                        ; implicit-def: $vgpr81
                                        ; implicit-def: $vgpr79
                                        ; implicit-def: $vgpr83
                                        ; implicit-def: $vgpr71
.LBB52_26:
	v_dual_mov_b32 v77, 0 :: v_dual_mov_b32 v82, 0
	v_dual_mov_b32 v80, 0 :: v_dual_mov_b32 v81, 0
	;; [unrolled: 1-line block ×3, first 2 shown]
	v_mov_b32_e32 v83, 0
	v_mov_b32_e32 v71, 0
	s_and_saveexec_b32 s3, s2
	s_cbranch_execz .LBB52_36
; %bb.27:
	v_or_b32_e32 v0, 16, v76
	v_not_b32_e32 v3, v24
	v_not_b32_e32 v2, v25
	s_delay_alu instid0(VALU_DEP_3) | instskip(SKIP_2) | instid1(VALU_DEP_2)
	v_sub_co_u32 v0, vcc_lo, v0, v62
	s_wait_alu 0xfffd
	v_sub_co_ci_u32_e64 v1, null, 0, v63, vcc_lo
	v_add_co_u32 v0, vcc_lo, v0, v24
	s_wait_alu 0xfffd
	s_delay_alu instid0(VALU_DEP_2) | instskip(SKIP_3) | instid1(VALU_DEP_3)
	v_add_co_ci_u32_e64 v1, null, v1, v25, vcc_lo
	v_sub_co_u32 v4, vcc_lo, v62, v76
	s_wait_alu 0xfffd
	v_subrev_co_ci_u32_e64 v5, null, 0, v63, vcc_lo
	v_cmp_gt_i64_e64 s2, v[0:1], v[66:67]
	s_delay_alu instid0(VALU_DEP_3) | instskip(SKIP_1) | instid1(VALU_DEP_3)
	v_add_co_u32 v3, vcc_lo, v4, v3
	s_wait_alu 0xfffd
	v_add_co_ci_u32_e64 v2, null, v5, v2, vcc_lo
	s_wait_alu 0xf1ff
	s_delay_alu instid0(VALU_DEP_3) | instskip(SKIP_2) | instid1(VALU_DEP_2)
	v_cndmask_b32_e64 v0, v66, v0, s2
	v_cndmask_b32_e64 v1, v67, v1, s2
	s_mov_b32 s2, exec_lo
	v_add_co_u32 v0, vcc_lo, v3, v0
	v_mov_b32_e32 v71, 0
	s_wait_alu 0xfffd
	v_add_co_ci_u32_e64 v1, null, v2, v1, vcc_lo
	s_delay_alu instid0(VALU_DEP_2) | instskip(SKIP_3) | instid1(VALU_DEP_4)
	v_dual_mov_b32 v83, v71 :: v_dual_and_b32 v70, 48, v0
	v_dual_mov_b32 v78, v71 :: v_dual_mov_b32 v79, v71
	v_dual_mov_b32 v80, v71 :: v_dual_mov_b32 v81, v71
	;; [unrolled: 1-line block ×3, first 2 shown]
	v_cmpx_ne_u64_e32 48, v[70:71]
	s_cbranch_execz .LBB52_31
; %bb.28:
	v_lshrrev_b32_e32 v2, 4, v0
	v_dual_mov_b32 v77, 0 :: v_dual_mov_b32 v82, 0
	v_dual_mov_b32 v81, 0 :: v_dual_mov_b32 v80, 0
	s_delay_alu instid0(VALU_DEP_3) | instskip(SKIP_2) | instid1(VALU_DEP_3)
	v_dual_mov_b32 v79, 0 :: v_dual_add_nc_u32 v4, 1, v2
	v_lshlrev_b64_e32 v[2:3], 3, v[64:65]
	v_dual_mov_b32 v78, 0 :: v_dual_mov_b32 v83, 0
	v_dual_mov_b32 v71, 0 :: v_dual_and_b32 v4, 3, v4
	s_delay_alu instid0(VALU_DEP_3) | instskip(SKIP_1) | instid1(VALU_DEP_4)
	v_add_co_u32 v2, vcc_lo, s8, v2
	s_wait_alu 0xfffd
	v_add_co_ci_u32_e64 v3, null, s9, v3, vcc_lo
	s_delay_alu instid0(VALU_DEP_3)
	v_sub_co_u32 v4, s6, 0, v4
	s_wait_alu 0xf1ff
	v_sub_co_ci_u32_e64 v5, null, 0, 0, s6
	s_mov_b32 s6, 0
.LBB52_29:                              ; =>This Inner Loop Header: Depth=1
	global_load_b64 v[18:19], v[2:3], off
	s_clause 0x2
	global_load_b128 v[6:9], v[68:69], off offset:32
	global_load_b128 v[10:13], v[68:69], off offset:16
	global_load_b128 v[14:17], v[68:69], off
	s_wait_loadcnt 0x3
	v_sub_co_u32 v18, vcc_lo, v18, v62
	s_wait_alu 0xfffd
	v_sub_co_ci_u32_e64 v19, null, v19, v63, vcc_lo
	s_delay_alu instid0(VALU_DEP_1) | instskip(SKIP_1) | instid1(VALU_DEP_1)
	v_lshlrev_b64_e32 v[18:19], 5, v[18:19]
	s_wait_kmcnt 0x0
	v_add_co_u32 v22, vcc_lo, s4, v18
	s_wait_alu 0xfffd
	s_delay_alu instid0(VALU_DEP_2)
	v_add_co_ci_u32_e64 v23, null, s5, v19, vcc_lo
	s_clause 0x1
	global_load_b128 v[18:21], v[22:23], off
	global_load_b128 v[22:25], v[22:23], off offset:16
	s_clause 0x4
	global_load_b128 v[26:29], v[68:69], off offset:48
	global_load_b128 v[30:33], v[68:69], off offset:64
	;; [unrolled: 1-line block ×5, first 2 shown]
	v_add_co_u32 v68, vcc_lo, 0x800, v68
	s_wait_alu 0xfffd
	v_add_co_ci_u32_e64 v69, null, 0, v69, vcc_lo
	v_add_co_u32 v64, vcc_lo, v64, 16
	s_wait_alu 0xfffd
	v_add_co_ci_u32_e64 v65, null, 0, v65, vcc_lo
	;; [unrolled: 3-line block ×4, first 2 shown]
	s_delay_alu instid0(VALU_DEP_3)
	v_cmp_eq_u64_e32 vcc_lo, 0, v[4:5]
	s_wait_alu 0xfffe
	s_or_b32 s6, vcc_lo, s6
	s_wait_loadcnt 0x6
	v_fmac_f32_e32 v78, v13, v18
	v_fmac_f32_e32 v77, v15, v18
	;; [unrolled: 1-line block ×4, first 2 shown]
	s_delay_alu instid0(VALU_DEP_4) | instskip(SKIP_3) | instid1(VALU_DEP_3)
	v_dual_fmac_f32 v81, v10, v18 :: v_dual_fmac_f32 v78, v12, v19
	v_fmac_f32_e32 v83, v16, v18
	v_dual_fmac_f32 v80, v12, v18 :: v_dual_fmac_f32 v77, v14, v19
	s_wait_loadcnt 0x4
	v_dual_fmac_f32 v78, v29, v20 :: v_dual_fmac_f32 v79, v11, v18
	s_delay_alu instid0(VALU_DEP_3) | instskip(NEXT) | instid1(VALU_DEP_2)
	v_fma_f32 v14, -v17, v19, v83
	v_dual_fmac_f32 v78, v28, v21 :: v_dual_fmac_f32 v79, v10, v19
	v_fma_f32 v10, -v13, v19, v80
	s_delay_alu instid0(VALU_DEP_3)
	v_fmac_f32_e32 v14, v8, v20
	v_fmac_f32_e32 v71, v16, v19
	v_fma_f32 v15, -v15, v19, v82
	s_wait_loadcnt 0x2
	v_fmac_f32_e32 v78, v37, v22
	v_fmac_f32_e32 v10, v28, v20
	v_fma_f32 v11, -v11, v19, v81
	v_fmac_f32_e32 v71, v9, v20
	s_delay_alu instid0(VALU_DEP_4) | instskip(NEXT) | instid1(VALU_DEP_3)
	v_dual_fmac_f32 v15, v6, v20 :: v_dual_fmac_f32 v78, v36, v23
	v_fmac_f32_e32 v11, v26, v20
	s_wait_loadcnt 0x0
	s_delay_alu instid0(VALU_DEP_2) | instskip(SKIP_1) | instid1(VALU_DEP_3)
	v_dual_fmac_f32 v71, v8, v21 :: v_dual_fmac_f32 v78, v45, v24
	v_fmac_f32_e32 v79, v27, v20
	v_fma_f32 v8, -v27, v21, v11
	s_delay_alu instid0(VALU_DEP_3) | instskip(NEXT) | instid1(VALU_DEP_3)
	v_dual_fmac_f32 v77, v7, v20 :: v_dual_fmac_f32 v78, v44, v25
	v_fmac_f32_e32 v79, v26, v21
	s_delay_alu instid0(VALU_DEP_3) | instskip(NEXT) | instid1(VALU_DEP_3)
	v_fmac_f32_e32 v8, v34, v22
	v_fmac_f32_e32 v77, v6, v21
	v_fma_f32 v6, -v9, v21, v14
	v_fma_f32 v9, -v29, v21, v10
	v_fmac_f32_e32 v79, v35, v22
	v_fma_f32 v8, -v35, v23, v8
	s_delay_alu instid0(VALU_DEP_4) | instskip(SKIP_1) | instid1(VALU_DEP_3)
	v_fmac_f32_e32 v6, v32, v22
	v_fma_f32 v7, -v7, v21, v15
	v_dual_fmac_f32 v9, v36, v22 :: v_dual_fmac_f32 v8, v42, v24
	v_fmac_f32_e32 v71, v33, v22
	s_delay_alu instid0(VALU_DEP_4) | instskip(NEXT) | instid1(VALU_DEP_4)
	v_fma_f32 v6, -v33, v23, v6
	v_fmac_f32_e32 v7, v30, v22
	s_delay_alu instid0(VALU_DEP_4)
	v_fma_f32 v9, -v37, v23, v9
	v_fma_f32 v81, -v43, v25, v8
	v_fmac_f32_e32 v71, v32, v23
	v_dual_fmac_f32 v6, v40, v24 :: v_dual_fmac_f32 v77, v31, v22
	v_fma_f32 v7, -v31, v23, v7
	v_fmac_f32_e32 v9, v44, v24
	s_delay_alu instid0(VALU_DEP_4)
	v_fmac_f32_e32 v71, v41, v24
	v_fmac_f32_e32 v79, v34, v23
	;; [unrolled: 1-line block ×4, first 2 shown]
	v_fma_f32 v83, -v41, v25, v6
	v_fmac_f32_e32 v71, v40, v25
	v_fmac_f32_e32 v79, v43, v24
	v_fmac_f32_e32 v77, v39, v24
	v_fma_f32 v82, -v39, v25, v7
	v_fma_f32 v80, -v45, v25, v9
	s_delay_alu instid0(VALU_DEP_4) | instskip(NEXT) | instid1(VALU_DEP_4)
	v_fmac_f32_e32 v79, v42, v25
	v_fmac_f32_e32 v77, v38, v25
	s_wait_alu 0xfffe
	s_and_not1_b32 exec_lo, exec_lo, s6
	s_cbranch_execnz .LBB52_29
; %bb.30:
	s_or_b32 exec_lo, exec_lo, s6
.LBB52_31:
	s_wait_alu 0xfffe
	s_or_b32 exec_lo, exec_lo, s2
	s_delay_alu instid0(SALU_CYCLE_1)
	s_mov_b32 s2, exec_lo
	v_cmpx_lt_u64_e32 47, v[0:1]
	s_cbranch_execz .LBB52_35
; %bb.32:
	v_lshlrev_b64_e32 v[0:1], 3, v[64:65]
	s_mov_b32 s6, 0
	s_delay_alu instid0(VALU_DEP_1) | instskip(SKIP_1) | instid1(VALU_DEP_2)
	v_add_co_u32 v0, vcc_lo, s8, v0
	s_wait_alu 0xfffd
	v_add_co_ci_u32_e64 v1, null, s9, v1, vcc_lo
	s_delay_alu instid0(VALU_DEP_2) | instskip(SKIP_1) | instid1(VALU_DEP_2)
	v_add_co_u32 v72, vcc_lo, 0x100, v0
	s_wait_alu 0xfffd
	v_add_co_ci_u32_e64 v73, null, 0, v1, vcc_lo
.LBB52_33:                              ; =>This Inner Loop Header: Depth=1
	global_load_b64 v[74:75], v[72:73], off offset:-256
	s_clause 0xd
	global_load_b128 v[16:19], v[68:69], off offset:48
	global_load_b128 v[44:47], v[68:69], off offset:32
	;; [unrolled: 1-line block ×3, first 2 shown]
	global_load_b128 v[52:55], v[68:69], off
	global_load_b128 v[28:31], v[68:69], off offset:112
	global_load_b128 v[32:35], v[68:69], off offset:96
	;; [unrolled: 1-line block ×10, first 2 shown]
	s_clause 0x2
	global_load_b64 v[140:141], v[72:73], off offset:-128
	global_load_b64 v[142:143], v[72:73], off
	global_load_b64 v[144:145], v[72:73], off offset:128
	s_clause 0xb
	global_load_b128 v[84:87], v[68:69], off offset:2128
	global_load_b128 v[88:91], v[68:69], off offset:2112
	;; [unrolled: 1-line block ×12, first 2 shown]
	s_wait_loadcnt 0x1d
	v_sub_co_u32 v74, vcc_lo, v74, v62
	s_wait_alu 0xfffd
	v_sub_co_ci_u32_e64 v75, null, v75, v63, vcc_lo
	s_delay_alu instid0(VALU_DEP_1) | instskip(SKIP_1) | instid1(VALU_DEP_1)
	v_lshlrev_b64_e32 v[74:75], 5, v[74:75]
	s_wait_kmcnt 0x0
	v_add_co_u32 v74, vcc_lo, s4, v74
	s_wait_alu 0xfffd
	s_delay_alu instid0(VALU_DEP_2)
	v_add_co_ci_u32_e64 v75, null, s5, v75, vcc_lo
	s_clause 0x1
	global_load_b128 v[132:135], v[74:75], off
	global_load_b128 v[136:139], v[74:75], off offset:16
	s_wait_loadcnt 0x1
	v_fmac_f32_e32 v71, v55, v132
	v_fmac_f32_e32 v82, v52, v132
	;; [unrolled: 1-line block ×6, first 2 shown]
	v_fma_f32 v70, -v53, v133, v82
	v_fmac_f32_e32 v83, v54, v132
	v_fmac_f32_e32 v80, v50, v132
	;; [unrolled: 1-line block ×5, first 2 shown]
	v_fma_f32 v74, -v55, v133, v83
	v_fma_f32 v146, -v51, v133, v80
	v_fmac_f32_e32 v81, v48, v132
	global_load_b128 v[52:55], v[68:69], off offset:6160
	v_fma_f32 v70, -v45, v135, v70
	v_fmac_f32_e32 v74, v46, v134
	v_fmac_f32_e32 v146, v18, v134
	v_fma_f32 v132, -v49, v133, v81
	s_wait_loadcnt 0x1
	v_dual_fmac_f32 v71, v47, v134 :: v_dual_fmac_f32 v70, v40, v136
	v_fma_f32 v147, -v47, v135, v74
	v_sub_co_u32 v74, vcc_lo, v140, v62
	s_wait_alu 0xfffd
	v_sub_co_ci_u32_e64 v75, null, v141, v63, vcc_lo
	v_sub_co_u32 v80, vcc_lo, v142, v62
	s_wait_alu 0xfffd
	v_sub_co_ci_u32_e64 v81, null, v143, v63, vcc_lo
	v_sub_co_u32 v82, vcc_lo, v144, v62
	s_wait_alu 0xfffd
	v_sub_co_ci_u32_e64 v83, null, v145, v63, vcc_lo
	v_lshlrev_b64_e32 v[74:75], 5, v[74:75]
	v_lshlrev_b64_e32 v[80:81], 5, v[80:81]
	v_dual_fmac_f32 v71, v46, v135 :: v_dual_fmac_f32 v78, v19, v134
	v_fmac_f32_e32 v132, v16, v134
	v_fmac_f32_e32 v79, v48, v133
	v_lshlrev_b64_e32 v[82:83], 5, v[82:83]
	v_add_co_u32 v74, vcc_lo, s4, v74
	v_dual_fmac_f32 v77, v45, v134 :: v_dual_fmac_f32 v78, v18, v135
	s_wait_alu 0xfffd
	v_add_co_ci_u32_e64 v75, null, s5, v75, vcc_lo
	v_add_co_u32 v140, vcc_lo, s4, v80
	v_fma_f32 v144, -v17, v135, v132
	v_fmac_f32_e32 v79, v17, v134
	s_wait_alu 0xfffd
	v_add_co_ci_u32_e64 v141, null, s5, v81, vcc_lo
	v_add_co_u32 v142, vcc_lo, s4, v82
	global_load_b128 v[48:51], v[68:69], off offset:6144
	v_dual_fmac_f32 v77, v44, v135 :: v_dual_fmac_f32 v78, v39, v136
	global_load_b128 v[44:47], v[68:69], off offset:6224
	s_wait_alu 0xfffd
	v_add_co_ci_u32_e64 v143, null, s5, v83, vcc_lo
	v_fma_f32 v145, -v19, v135, v146
	v_fmac_f32_e32 v144, v36, v136
	v_dual_fmac_f32 v79, v16, v135 :: v_dual_fmac_f32 v78, v38, v137
	s_clause 0x2
	global_load_b128 v[16:19], v[74:75], off
	global_load_b128 v[80:83], v[74:75], off offset:16
	global_load_b128 v[132:135], v[140:141], off
	v_fmac_f32_e32 v147, v42, v136
	v_fma_f32 v70, -v41, v137, v70
	v_dual_fmac_f32 v77, v41, v136 :: v_dual_fmac_f32 v78, v31, v138
	v_fmac_f32_e32 v79, v37, v136
	s_delay_alu instid0(VALU_DEP_4)
	v_fma_f32 v74, -v43, v137, v147
	v_fmac_f32_e32 v71, v43, v136
	v_fma_f32 v75, -v37, v137, v144
	v_fmac_f32_e32 v70, v32, v138
	v_fmac_f32_e32 v78, v30, v139
	;; [unrolled: 1-line block ×3, first 2 shown]
	s_delay_alu instid0(VALU_DEP_4) | instskip(NEXT) | instid1(VALU_DEP_4)
	v_fmac_f32_e32 v75, v28, v138
	v_fma_f32 v70, -v33, v139, v70
	v_fmac_f32_e32 v71, v42, v137
	s_delay_alu instid0(VALU_DEP_4) | instskip(SKIP_1) | instid1(VALU_DEP_1)
	v_fma_f32 v74, -v35, v139, v74
	s_wait_loadcnt 0x2
	v_dual_fmac_f32 v79, v36, v137 :: v_dual_fmac_f32 v74, v14, v16
	v_fmac_f32_e32 v78, v11, v16
	v_dual_fmac_f32 v70, v12, v16 :: v_dual_fmac_f32 v71, v35, v138
	v_fma_f32 v75, -v29, v139, v75
	s_delay_alu instid0(VALU_DEP_3) | instskip(SKIP_1) | instid1(VALU_DEP_2)
	v_fmac_f32_e32 v78, v10, v17
	v_fmac_f32_e32 v145, v38, v136
	v_dual_fmac_f32 v75, v8, v16 :: v_dual_fmac_f32 v78, v3, v18
	s_delay_alu instid0(VALU_DEP_2)
	v_fma_f32 v136, -v39, v137, v145
	v_fmac_f32_e32 v77, v40, v137
	s_clause 0x1
	global_load_b128 v[40:43], v[140:141], off offset:16
	global_load_b128 v[36:39], v[142:143], off
	v_dual_fmac_f32 v79, v29, v138 :: v_dual_fmac_f32 v78, v2, v19
	v_fmac_f32_e32 v136, v30, v138
	v_fmac_f32_e32 v71, v34, v139
	s_wait_loadcnt 0x3
	s_delay_alu instid0(VALU_DEP_3) | instskip(NEXT) | instid1(VALU_DEP_3)
	v_dual_fmac_f32 v79, v28, v139 :: v_dual_fmac_f32 v78, v87, v80
	v_fma_f32 v144, -v31, v139, v136
	s_delay_alu instid0(VALU_DEP_2) | instskip(NEXT) | instid1(VALU_DEP_1)
	v_dual_fmac_f32 v77, v33, v138 :: v_dual_fmac_f32 v78, v86, v81
	v_dual_fmac_f32 v144, v10, v16 :: v_dual_fmac_f32 v77, v32, v139
	global_load_b128 v[32:35], v[68:69], off offset:6208
	global_load_b128 v[140:143], v[142:143], off offset:16
	s_clause 0x1
	global_load_b128 v[28:31], v[68:69], off offset:6240
	global_load_b128 v[136:139], v[68:69], off offset:6256
	v_dual_fmac_f32 v79, v9, v16 :: v_dual_fmac_f32 v78, v23, v82
	v_fmac_f32_e32 v77, v13, v16
	v_fma_f32 v13, -v13, v17, v70
	v_fma_f32 v9, -v9, v17, v75
	s_delay_alu instid0(VALU_DEP_4) | instskip(SKIP_1) | instid1(VALU_DEP_4)
	v_fmac_f32_e32 v79, v8, v17
	v_fma_f32 v8, -v11, v17, v144
	v_dual_fmac_f32 v78, v22, v83 :: v_dual_fmac_f32 v13, v4, v18
	s_delay_alu instid0(VALU_DEP_4) | instskip(NEXT) | instid1(VALU_DEP_4)
	v_fmac_f32_e32 v9, v0, v18
	v_fmac_f32_e32 v79, v1, v18
	s_delay_alu instid0(VALU_DEP_4) | instskip(SKIP_2) | instid1(VALU_DEP_3)
	v_dual_fmac_f32 v8, v2, v18 :: v_dual_fmac_f32 v77, v12, v17
	v_fma_f32 v12, -v15, v17, v74
	s_wait_loadcnt 0x6
	v_dual_fmac_f32 v78, v103, v132 :: v_dual_fmac_f32 v79, v0, v19
	s_delay_alu instid0(VALU_DEP_3) | instskip(SKIP_3) | instid1(VALU_DEP_4)
	v_fma_f32 v0, -v3, v19, v8
	v_fma_f32 v1, -v1, v19, v9
	v_fmac_f32_e32 v12, v6, v18
	v_add_co_u32 v68, vcc_lo, 0x2000, v68
	v_fmac_f32_e32 v0, v86, v80
	s_wait_alu 0xfffd
	v_add_co_ci_u32_e64 v69, null, 0, v69, vcc_lo
	v_add_co_u32 v64, vcc_lo, v64, 64
	s_delay_alu instid0(VALU_DEP_3) | instskip(SKIP_3) | instid1(VALU_DEP_3)
	v_fma_f32 v0, -v87, v81, v0
	s_wait_alu 0xfffd
	v_add_co_ci_u32_e64 v65, null, 0, v65, vcc_lo
	v_add_co_u32 v72, vcc_lo, 0x200, v72
	v_fmac_f32_e32 v0, v22, v82
	v_fmac_f32_e32 v78, v102, v133
	s_wait_alu 0xfffd
	v_add_co_ci_u32_e64 v73, null, 0, v73, vcc_lo
	v_cmp_ge_i64_e32 vcc_lo, v[64:65], v[66:67]
	v_fma_f32 v0, -v23, v83, v0
	v_fmac_f32_e32 v77, v5, v18
	v_fma_f32 v5, -v5, v19, v13
	v_fmac_f32_e32 v78, v95, v134
	s_delay_alu instid0(VALU_DEP_4) | instskip(SKIP_2) | instid1(VALU_DEP_2)
	v_fmac_f32_e32 v0, v102, v132
	s_wait_alu 0xfffe
	s_or_b32 s6, vcc_lo, s6
	v_dual_fmac_f32 v5, v88, v80 :: v_dual_fmac_f32 v78, v94, v135
	s_delay_alu instid0(VALU_DEP_2) | instskip(SKIP_1) | instid1(VALU_DEP_3)
	v_fma_f32 v0, -v103, v133, v0
	v_fmac_f32_e32 v77, v4, v19
	v_fma_f32 v2, -v89, v81, v5
	v_fmac_f32_e32 v71, v15, v16
	v_fma_f32 v4, -v7, v19, v12
	v_fmac_f32_e32 v0, v94, v134
	s_delay_alu instid0(VALU_DEP_4) | instskip(NEXT) | instid1(VALU_DEP_3)
	v_fmac_f32_e32 v2, v24, v82
	v_fmac_f32_e32 v4, v90, v80
	s_delay_alu instid0(VALU_DEP_3) | instskip(NEXT) | instid1(VALU_DEP_3)
	v_fma_f32 v0, -v95, v135, v0
	v_fma_f32 v2, -v25, v83, v2
	v_fmac_f32_e32 v71, v14, v17
	s_delay_alu instid0(VALU_DEP_4) | instskip(NEXT) | instid1(VALU_DEP_2)
	v_fma_f32 v3, -v91, v81, v4
	v_dual_fmac_f32 v2, v104, v132 :: v_dual_fmac_f32 v71, v7, v18
	s_delay_alu instid0(VALU_DEP_1) | instskip(NEXT) | instid1(VALU_DEP_1)
	v_fma_f32 v2, -v105, v133, v2
	v_dual_fmac_f32 v71, v6, v19 :: v_dual_fmac_f32 v2, v96, v134
	s_delay_alu instid0(VALU_DEP_1) | instskip(SKIP_1) | instid1(VALU_DEP_1)
	v_fma_f32 v2, -v97, v135, v2
	s_wait_loadcnt 0x5
	v_dual_fmac_f32 v3, v26, v82 :: v_dual_fmac_f32 v2, v120, v40
	v_fmac_f32_e32 v0, v118, v40
	v_fmac_f32_e32 v78, v119, v40
	s_delay_alu instid0(VALU_DEP_3) | instskip(NEXT) | instid1(VALU_DEP_4)
	v_fma_f32 v3, -v27, v83, v3
	v_fma_f32 v2, -v121, v41, v2
	v_fmac_f32_e32 v77, v89, v80
	v_fma_f32 v0, -v119, v41, v0
	v_dual_fmac_f32 v71, v91, v80 :: v_dual_fmac_f32 v78, v118, v41
	s_delay_alu instid0(VALU_DEP_4) | instskip(NEXT) | instid1(VALU_DEP_3)
	v_fmac_f32_e32 v2, v112, v42
	v_dual_fmac_f32 v77, v88, v81 :: v_dual_fmac_f32 v0, v110, v42
	s_delay_alu instid0(VALU_DEP_3) | instskip(NEXT) | instid1(VALU_DEP_4)
	v_fmac_f32_e32 v71, v90, v81
	v_dual_fmac_f32 v1, v84, v80 :: v_dual_fmac_f32 v78, v111, v42
	v_fmac_f32_e32 v79, v85, v80
	s_delay_alu instid0(VALU_DEP_4) | instskip(SKIP_1) | instid1(VALU_DEP_4)
	v_fma_f32 v0, -v111, v43, v0
	v_fma_f32 v2, -v113, v43, v2
	;; [unrolled: 1-line block ×3, first 2 shown]
	s_delay_alu instid0(VALU_DEP_4) | instskip(SKIP_3) | instid1(VALU_DEP_3)
	v_dual_fmac_f32 v78, v110, v43 :: v_dual_fmac_f32 v79, v84, v81
	s_wait_loadcnt 0x4
	v_dual_fmac_f32 v0, v54, v36 :: v_dual_fmac_f32 v77, v25, v82
	v_fmac_f32_e32 v2, v48, v36
	v_dual_fmac_f32 v1, v20, v82 :: v_dual_fmac_f32 v78, v55, v36
	v_fmac_f32_e32 v71, v27, v82
	s_delay_alu instid0(VALU_DEP_4) | instskip(SKIP_4) | instid1(VALU_DEP_4)
	v_fma_f32 v0, -v55, v37, v0
	v_fmac_f32_e32 v77, v24, v83
	v_fma_f32 v2, -v49, v37, v2
	v_fmac_f32_e32 v78, v54, v37
	v_fmac_f32_e32 v71, v26, v83
	v_dual_fmac_f32 v0, v126, v38 :: v_dual_fmac_f32 v77, v105, v132
	s_delay_alu instid0(VALU_DEP_4) | instskip(NEXT) | instid1(VALU_DEP_4)
	v_fmac_f32_e32 v2, v128, v38
	v_fmac_f32_e32 v78, v127, v38
	;; [unrolled: 1-line block ×3, first 2 shown]
	s_delay_alu instid0(VALU_DEP_4)
	v_fma_f32 v0, -v127, v39, v0
	v_fma_f32 v1, -v21, v83, v1
	v_fma_f32 v2, -v129, v39, v2
	v_dual_fmac_f32 v78, v126, v39 :: v_dual_fmac_f32 v77, v104, v133
	s_wait_loadcnt 0x2
	v_dual_fmac_f32 v79, v20, v83 :: v_dual_fmac_f32 v0, v46, v140
	s_delay_alu instid0(VALU_DEP_3) | instskip(NEXT) | instid1(VALU_DEP_3)
	v_fmac_f32_e32 v2, v32, v140
	v_fmac_f32_e32 v78, v47, v140
	;; [unrolled: 1-line block ×4, first 2 shown]
	v_fma_f32 v0, -v47, v141, v0
	s_delay_alu instid0(VALU_DEP_4) | instskip(NEXT) | instid1(VALU_DEP_4)
	v_dual_fmac_f32 v1, v100, v132 :: v_dual_fmac_f32 v78, v46, v141
	v_fmac_f32_e32 v71, v106, v133
	v_fmac_f32_e32 v79, v101, v132
	v_fma_f32 v2, -v33, v141, v2
	v_fmac_f32_e32 v3, v106, v132
	s_wait_loadcnt 0x0
	v_fmac_f32_e32 v0, v138, v142
	v_fma_f32 v1, -v101, v133, v1
	v_dual_fmac_f32 v78, v139, v142 :: v_dual_fmac_f32 v79, v100, v133
	v_fmac_f32_e32 v2, v28, v142
	v_fma_f32 v3, -v107, v133, v3
	v_fmac_f32_e32 v71, v99, v134
	s_delay_alu instid0(VALU_DEP_4) | instskip(SKIP_1) | instid1(VALU_DEP_4)
	v_dual_fmac_f32 v1, v92, v134 :: v_dual_fmac_f32 v78, v138, v143
	v_fmac_f32_e32 v79, v93, v134
	v_fmac_f32_e32 v3, v98, v134
	v_fmac_f32_e32 v77, v96, v135
	v_fmac_f32_e32 v71, v98, v135
	v_fma_f32 v1, -v93, v135, v1
	v_fmac_f32_e32 v79, v92, v135
	v_fma_f32 v3, -v99, v135, v3
	v_fmac_f32_e32 v77, v121, v40
	v_fmac_f32_e32 v71, v123, v40
	v_fmac_f32_e32 v1, v116, v40
	v_fmac_f32_e32 v79, v117, v40
	v_fmac_f32_e32 v3, v122, v40
	v_fmac_f32_e32 v77, v120, v41
	v_fmac_f32_e32 v71, v122, v41
	v_fma_f32 v1, -v117, v41, v1
	v_fmac_f32_e32 v79, v116, v41
	v_fma_f32 v3, -v123, v41, v3
	v_fmac_f32_e32 v77, v113, v42
	v_fmac_f32_e32 v71, v115, v42
	v_fmac_f32_e32 v1, v108, v42
	;; [unrolled: 10-line block ×6, first 2 shown]
	v_fmac_f32_e32 v79, v137, v142
	v_fmac_f32_e32 v3, v30, v142
	v_fma_f32 v82, -v29, v143, v2
	v_fmac_f32_e32 v77, v28, v143
	v_fmac_f32_e32 v71, v30, v143
	v_fma_f32 v81, -v137, v143, v1
	v_fma_f32 v83, -v31, v143, v3
	v_fmac_f32_e32 v79, v136, v143
	v_fma_f32 v80, -v139, v143, v0
	s_wait_alu 0xfffe
	s_and_not1_b32 exec_lo, exec_lo, s6
	s_cbranch_execnz .LBB52_33
; %bb.34:
	s_or_b32 exec_lo, exec_lo, s6
.LBB52_35:
	s_wait_alu 0xfffe
	s_or_b32 exec_lo, exec_lo, s2
.LBB52_36:
	s_wait_alu 0xfffe
	s_or_b32 exec_lo, exec_lo, s3
.LBB52_37:
	v_mbcnt_lo_u32_b32 v0, -1, 0
	s_delay_alu instid0(VALU_DEP_1) | instskip(SKIP_2) | instid1(VALU_DEP_3)
	v_xor_b32_e32 v1, 8, v0
	v_xor_b32_e32 v9, 4, v0
	v_xor_b32_e32 v17, 2, v0
	v_cmp_gt_i32_e32 vcc_lo, 32, v1
	s_wait_alu 0xfffd
	v_cndmask_b32_e32 v1, v0, v1, vcc_lo
	v_cmp_gt_i32_e32 vcc_lo, 32, v9
	s_delay_alu instid0(VALU_DEP_2)
	v_lshlrev_b32_e32 v1, 2, v1
	ds_bpermute_b32 v4, v1, v83
	s_wait_dscnt 0x0
	v_add_f32_e32 v4, v83, v4
	ds_bpermute_b32 v2, v1, v82
	ds_bpermute_b32 v6, v1, v81
	;; [unrolled: 1-line block ×3, first 2 shown]
	s_wait_alu 0xfffd
	v_cndmask_b32_e32 v9, v0, v9, vcc_lo
	ds_bpermute_b32 v3, v1, v77
	ds_bpermute_b32 v5, v1, v71
	;; [unrolled: 1-line block ×4, first 2 shown]
	v_cmp_gt_i32_e32 vcc_lo, 32, v17
	s_wait_dscnt 0x6
	s_wait_alu 0xfffd
	v_dual_cndmask_b32 v17, v0, v17 :: v_dual_add_f32 v2, v82, v2
	s_wait_dscnt 0x5
	v_dual_add_f32 v6, v81, v6 :: v_dual_lshlrev_b32 v9, 2, v9
	s_wait_dscnt 0x4
	v_add_f32_e32 v8, v80, v8
	ds_bpermute_b32 v10, v9, v2
	ds_bpermute_b32 v12, v9, v4
	;; [unrolled: 1-line block ×4, first 2 shown]
	s_wait_dscnt 0x7
	v_add_f32_e32 v3, v77, v3
	s_wait_dscnt 0x6
	v_add_f32_e32 v5, v71, v5
	;; [unrolled: 2-line block ×5, first 2 shown]
	ds_bpermute_b32 v11, v9, v3
	s_wait_dscnt 0x3
	v_add_f32_e32 v4, v4, v12
	ds_bpermute_b32 v13, v9, v5
	s_wait_dscnt 0x3
	v_add_f32_e32 v6, v6, v14
	;; [unrolled: 3-line block ×3, first 2 shown]
	ds_bpermute_b32 v9, v9, v1
	v_lshlrev_b32_e32 v17, 2, v17
	s_wait_dscnt 0x3
	v_add_f32_e32 v3, v3, v11
	ds_bpermute_b32 v11, v17, v4
	ds_bpermute_b32 v10, v17, v3
	s_wait_dscnt 0x2
	v_add_f32_e32 v9, v1, v9
	ds_bpermute_b32 v1, v17, v2
	v_add_f32_e32 v7, v7, v15
	ds_bpermute_b32 v15, v17, v8
	;; [unrolled: 2-line block ×3, first 2 shown]
	ds_bpermute_b32 v16, v17, v9
	ds_bpermute_b32 v14, v17, v7
	;; [unrolled: 1-line block ×3, first 2 shown]
	v_xor_b32_e32 v17, 1, v0
	s_delay_alu instid0(VALU_DEP_1) | instskip(SKIP_4) | instid1(VALU_DEP_2)
	v_cmp_gt_i32_e32 vcc_lo, 32, v17
	s_wait_alu 0xfffd
	v_cndmask_b32_e32 v0, v0, v17, vcc_lo
	v_cmp_eq_u32_e32 vcc_lo, 15, v76
	s_wait_dscnt 0x5
	v_dual_add_f32 v0, v2, v1 :: v_dual_lshlrev_b32 v17, 2, v0
	v_dual_add_f32 v1, v3, v10 :: v_dual_add_f32 v2, v4, v11
	s_wait_dscnt 0x3
	v_add_f32_e32 v4, v6, v13
	s_wait_dscnt 0x0
	v_dual_add_f32 v6, v8, v15 :: v_dual_add_f32 v3, v5, v12
	v_add_f32_e32 v5, v7, v14
	v_add_f32_e32 v7, v9, v16
	ds_bpermute_b32 v8, v17, v0
	ds_bpermute_b32 v9, v17, v1
	;; [unrolled: 1-line block ×8, first 2 shown]
	s_and_b32 exec_lo, exec_lo, vcc_lo
	s_cbranch_execz .LBB52_8
; %bb.38:
	s_load_b64 s[2:3], s[0:1], 0x58
	s_wait_dscnt 0x7
	v_add_f32_e32 v8, v0, v8
	s_wait_dscnt 0x6
	v_add_f32_e32 v0, v1, v9
	s_wait_dscnt 0x4
	v_dual_add_f32 v10, v2, v10 :: v_dual_add_f32 v1, v3, v11
	s_wait_dscnt 0x2
	v_dual_add_f32 v11, v4, v12 :: v_dual_add_f32 v2, v5, v13
	v_mul_f32_e32 v5, v58, v0
	s_wait_dscnt 0x0
	v_add_f32_e32 v3, v7, v15
	v_mul_f32_e64 v4, v0, -v59
	v_add_f32_e32 v12, v6, v14
	v_mul_f32_e64 v6, v1, -v59
	v_mul_f32_e32 v7, v58, v1
	v_mul_f32_e64 v0, v2, -v59
	v_mul_f32_e32 v1, v58, v2
	v_mul_f32_e64 v2, v3, -v59
	v_mul_f32_e32 v3, v58, v3
	v_cmp_eq_f32_e32 vcc_lo, 0, v56
	v_cmp_eq_f32_e64 s0, 0, v57
	v_dual_fmac_f32 v4, v58, v8 :: v_dual_fmac_f32 v7, v59, v10
	v_fmac_f32_e32 v5, v59, v8
	v_lshlrev_b64_e32 v[8:9], 5, v[60:61]
	v_dual_fmac_f32 v6, v58, v10 :: v_dual_fmac_f32 v1, v59, v11
	v_dual_fmac_f32 v0, v58, v11 :: v_dual_fmac_f32 v3, v59, v12
	v_fmac_f32_e32 v2, v58, v12
	s_and_b32 s0, vcc_lo, s0
	s_wait_alu 0xfffe
	s_and_saveexec_b32 s1, s0
	s_wait_alu 0xfffe
	s_xor_b32 s0, exec_lo, s1
	s_cbranch_execz .LBB52_40
; %bb.39:
	s_wait_kmcnt 0x0
	v_add_co_u32 v8, vcc_lo, s2, v8
	s_wait_alu 0xfffd
	v_add_co_ci_u32_e64 v9, null, s3, v9, vcc_lo
                                        ; implicit-def: $vgpr56_vgpr57
	s_clause 0x1
	global_store_b128 v[8:9], v[4:7], off
	global_store_b128 v[8:9], v[0:3], off offset:16
                                        ; implicit-def: $vgpr4
                                        ; implicit-def: $vgpr8_vgpr9
                                        ; implicit-def: $vgpr0
.LBB52_40:
	s_wait_alu 0xfffe
	s_and_not1_saveexec_b32 s0, s0
	s_cbranch_execz .LBB52_8
; %bb.41:
	s_wait_kmcnt 0x0
	v_add_co_u32 v16, vcc_lo, s2, v8
	s_wait_alu 0xfffd
	v_add_co_ci_u32_e64 v17, null, s3, v9, vcc_lo
	s_clause 0x1
	global_load_b128 v[8:11], v[16:17], off
	global_load_b128 v[12:15], v[16:17], off offset:16
	s_wait_loadcnt 0x1
	v_dual_fmac_f32 v4, v56, v8 :: v_dual_fmac_f32 v7, v57, v10
	v_dual_fmac_f32 v5, v57, v8 :: v_dual_fmac_f32 v6, v56, v10
	s_wait_loadcnt 0x0
	v_dual_fmac_f32 v0, v56, v12 :: v_dual_fmac_f32 v3, v57, v14
	v_dual_fmac_f32 v1, v57, v12 :: v_dual_fmac_f32 v2, v56, v14
	v_fma_f32 v4, -v57, v9, v4
	v_fmac_f32_e32 v5, v56, v9
	v_fma_f32 v6, -v57, v11, v6
	v_fmac_f32_e32 v7, v56, v11
	;; [unrolled: 2-line block ×4, first 2 shown]
	s_clause 0x1
	global_store_b128 v[16:17], v[4:7], off
	global_store_b128 v[16:17], v[0:3], off offset:16
	s_nop 0
	s_sendmsg sendmsg(MSG_DEALLOC_VGPRS)
	s_endpgm
	.section	.rodata,"a",@progbits
	.p2align	6, 0x0
	.amdhsa_kernel _ZN9rocsparseL18bsrxmvn_4x4_kernelILj128ELj16E21rocsparse_complex_numIfEllS2_S2_S2_EEvT3_20rocsparse_direction_NS_24const_host_device_scalarIT1_EES3_PKS3_PKT2_SC_S9_PKT4_PKT5_S7_PT6_21rocsparse_index_base_b
		.amdhsa_group_segment_fixed_size 0
		.amdhsa_private_segment_fixed_size 0
		.amdhsa_kernarg_size 104
		.amdhsa_user_sgpr_count 2
		.amdhsa_user_sgpr_dispatch_ptr 0
		.amdhsa_user_sgpr_queue_ptr 0
		.amdhsa_user_sgpr_kernarg_segment_ptr 1
		.amdhsa_user_sgpr_dispatch_id 0
		.amdhsa_user_sgpr_private_segment_size 0
		.amdhsa_wavefront_size32 1
		.amdhsa_uses_dynamic_stack 0
		.amdhsa_enable_private_segment 0
		.amdhsa_system_sgpr_workgroup_id_x 1
		.amdhsa_system_sgpr_workgroup_id_y 0
		.amdhsa_system_sgpr_workgroup_id_z 0
		.amdhsa_system_sgpr_workgroup_info 0
		.amdhsa_system_vgpr_workitem_id 0
		.amdhsa_next_free_vgpr 180
		.amdhsa_next_free_sgpr 12
		.amdhsa_reserve_vcc 1
		.amdhsa_float_round_mode_32 0
		.amdhsa_float_round_mode_16_64 0
		.amdhsa_float_denorm_mode_32 3
		.amdhsa_float_denorm_mode_16_64 3
		.amdhsa_fp16_overflow 0
		.amdhsa_workgroup_processor_mode 1
		.amdhsa_memory_ordered 1
		.amdhsa_forward_progress 1
		.amdhsa_inst_pref_size 69
		.amdhsa_round_robin_scheduling 0
		.amdhsa_exception_fp_ieee_invalid_op 0
		.amdhsa_exception_fp_denorm_src 0
		.amdhsa_exception_fp_ieee_div_zero 0
		.amdhsa_exception_fp_ieee_overflow 0
		.amdhsa_exception_fp_ieee_underflow 0
		.amdhsa_exception_fp_ieee_inexact 0
		.amdhsa_exception_int_div_zero 0
	.end_amdhsa_kernel
	.section	.text._ZN9rocsparseL18bsrxmvn_4x4_kernelILj128ELj16E21rocsparse_complex_numIfEllS2_S2_S2_EEvT3_20rocsparse_direction_NS_24const_host_device_scalarIT1_EES3_PKS3_PKT2_SC_S9_PKT4_PKT5_S7_PT6_21rocsparse_index_base_b,"axG",@progbits,_ZN9rocsparseL18bsrxmvn_4x4_kernelILj128ELj16E21rocsparse_complex_numIfEllS2_S2_S2_EEvT3_20rocsparse_direction_NS_24const_host_device_scalarIT1_EES3_PKS3_PKT2_SC_S9_PKT4_PKT5_S7_PT6_21rocsparse_index_base_b,comdat
.Lfunc_end52:
	.size	_ZN9rocsparseL18bsrxmvn_4x4_kernelILj128ELj16E21rocsparse_complex_numIfEllS2_S2_S2_EEvT3_20rocsparse_direction_NS_24const_host_device_scalarIT1_EES3_PKS3_PKT2_SC_S9_PKT4_PKT5_S7_PT6_21rocsparse_index_base_b, .Lfunc_end52-_ZN9rocsparseL18bsrxmvn_4x4_kernelILj128ELj16E21rocsparse_complex_numIfEllS2_S2_S2_EEvT3_20rocsparse_direction_NS_24const_host_device_scalarIT1_EES3_PKS3_PKT2_SC_S9_PKT4_PKT5_S7_PT6_21rocsparse_index_base_b
                                        ; -- End function
	.set _ZN9rocsparseL18bsrxmvn_4x4_kernelILj128ELj16E21rocsparse_complex_numIfEllS2_S2_S2_EEvT3_20rocsparse_direction_NS_24const_host_device_scalarIT1_EES3_PKS3_PKT2_SC_S9_PKT4_PKT5_S7_PT6_21rocsparse_index_base_b.num_vgpr, 180
	.set _ZN9rocsparseL18bsrxmvn_4x4_kernelILj128ELj16E21rocsparse_complex_numIfEllS2_S2_S2_EEvT3_20rocsparse_direction_NS_24const_host_device_scalarIT1_EES3_PKS3_PKT2_SC_S9_PKT4_PKT5_S7_PT6_21rocsparse_index_base_b.num_agpr, 0
	.set _ZN9rocsparseL18bsrxmvn_4x4_kernelILj128ELj16E21rocsparse_complex_numIfEllS2_S2_S2_EEvT3_20rocsparse_direction_NS_24const_host_device_scalarIT1_EES3_PKS3_PKT2_SC_S9_PKT4_PKT5_S7_PT6_21rocsparse_index_base_b.numbered_sgpr, 12
	.set _ZN9rocsparseL18bsrxmvn_4x4_kernelILj128ELj16E21rocsparse_complex_numIfEllS2_S2_S2_EEvT3_20rocsparse_direction_NS_24const_host_device_scalarIT1_EES3_PKS3_PKT2_SC_S9_PKT4_PKT5_S7_PT6_21rocsparse_index_base_b.num_named_barrier, 0
	.set _ZN9rocsparseL18bsrxmvn_4x4_kernelILj128ELj16E21rocsparse_complex_numIfEllS2_S2_S2_EEvT3_20rocsparse_direction_NS_24const_host_device_scalarIT1_EES3_PKS3_PKT2_SC_S9_PKT4_PKT5_S7_PT6_21rocsparse_index_base_b.private_seg_size, 0
	.set _ZN9rocsparseL18bsrxmvn_4x4_kernelILj128ELj16E21rocsparse_complex_numIfEllS2_S2_S2_EEvT3_20rocsparse_direction_NS_24const_host_device_scalarIT1_EES3_PKS3_PKT2_SC_S9_PKT4_PKT5_S7_PT6_21rocsparse_index_base_b.uses_vcc, 1
	.set _ZN9rocsparseL18bsrxmvn_4x4_kernelILj128ELj16E21rocsparse_complex_numIfEllS2_S2_S2_EEvT3_20rocsparse_direction_NS_24const_host_device_scalarIT1_EES3_PKS3_PKT2_SC_S9_PKT4_PKT5_S7_PT6_21rocsparse_index_base_b.uses_flat_scratch, 0
	.set _ZN9rocsparseL18bsrxmvn_4x4_kernelILj128ELj16E21rocsparse_complex_numIfEllS2_S2_S2_EEvT3_20rocsparse_direction_NS_24const_host_device_scalarIT1_EES3_PKS3_PKT2_SC_S9_PKT4_PKT5_S7_PT6_21rocsparse_index_base_b.has_dyn_sized_stack, 0
	.set _ZN9rocsparseL18bsrxmvn_4x4_kernelILj128ELj16E21rocsparse_complex_numIfEllS2_S2_S2_EEvT3_20rocsparse_direction_NS_24const_host_device_scalarIT1_EES3_PKS3_PKT2_SC_S9_PKT4_PKT5_S7_PT6_21rocsparse_index_base_b.has_recursion, 0
	.set _ZN9rocsparseL18bsrxmvn_4x4_kernelILj128ELj16E21rocsparse_complex_numIfEllS2_S2_S2_EEvT3_20rocsparse_direction_NS_24const_host_device_scalarIT1_EES3_PKS3_PKT2_SC_S9_PKT4_PKT5_S7_PT6_21rocsparse_index_base_b.has_indirect_call, 0
	.section	.AMDGPU.csdata,"",@progbits
; Kernel info:
; codeLenInByte = 8756
; TotalNumSgprs: 14
; NumVgprs: 180
; ScratchSize: 0
; MemoryBound: 0
; FloatMode: 240
; IeeeMode: 1
; LDSByteSize: 0 bytes/workgroup (compile time only)
; SGPRBlocks: 0
; VGPRBlocks: 22
; NumSGPRsForWavesPerEU: 14
; NumVGPRsForWavesPerEU: 180
; Occupancy: 8
; WaveLimiterHint : 1
; COMPUTE_PGM_RSRC2:SCRATCH_EN: 0
; COMPUTE_PGM_RSRC2:USER_SGPR: 2
; COMPUTE_PGM_RSRC2:TRAP_HANDLER: 0
; COMPUTE_PGM_RSRC2:TGID_X_EN: 1
; COMPUTE_PGM_RSRC2:TGID_Y_EN: 0
; COMPUTE_PGM_RSRC2:TGID_Z_EN: 0
; COMPUTE_PGM_RSRC2:TIDIG_COMP_CNT: 0
	.section	.text._ZN9rocsparseL18bsrxmvn_4x4_kernelILj128ELj32E21rocsparse_complex_numIfEllS2_S2_S2_EEvT3_20rocsparse_direction_NS_24const_host_device_scalarIT1_EES3_PKS3_PKT2_SC_S9_PKT4_PKT5_S7_PT6_21rocsparse_index_base_b,"axG",@progbits,_ZN9rocsparseL18bsrxmvn_4x4_kernelILj128ELj32E21rocsparse_complex_numIfEllS2_S2_S2_EEvT3_20rocsparse_direction_NS_24const_host_device_scalarIT1_EES3_PKS3_PKT2_SC_S9_PKT4_PKT5_S7_PT6_21rocsparse_index_base_b,comdat
	.globl	_ZN9rocsparseL18bsrxmvn_4x4_kernelILj128ELj32E21rocsparse_complex_numIfEllS2_S2_S2_EEvT3_20rocsparse_direction_NS_24const_host_device_scalarIT1_EES3_PKS3_PKT2_SC_S9_PKT4_PKT5_S7_PT6_21rocsparse_index_base_b ; -- Begin function _ZN9rocsparseL18bsrxmvn_4x4_kernelILj128ELj32E21rocsparse_complex_numIfEllS2_S2_S2_EEvT3_20rocsparse_direction_NS_24const_host_device_scalarIT1_EES3_PKS3_PKT2_SC_S9_PKT4_PKT5_S7_PT6_21rocsparse_index_base_b
	.p2align	8
	.type	_ZN9rocsparseL18bsrxmvn_4x4_kernelILj128ELj32E21rocsparse_complex_numIfEllS2_S2_S2_EEvT3_20rocsparse_direction_NS_24const_host_device_scalarIT1_EES3_PKS3_PKT2_SC_S9_PKT4_PKT5_S7_PT6_21rocsparse_index_base_b,@function
_ZN9rocsparseL18bsrxmvn_4x4_kernelILj128ELj32E21rocsparse_complex_numIfEllS2_S2_S2_EEvT3_20rocsparse_direction_NS_24const_host_device_scalarIT1_EES3_PKS3_PKT2_SC_S9_PKT4_PKT5_S7_PT6_21rocsparse_index_base_b: ; @_ZN9rocsparseL18bsrxmvn_4x4_kernelILj128ELj32E21rocsparse_complex_numIfEllS2_S2_S2_EEvT3_20rocsparse_direction_NS_24const_host_device_scalarIT1_EES3_PKS3_PKT2_SC_S9_PKT4_PKT5_S7_PT6_21rocsparse_index_base_b
; %bb.0:
	s_clause 0x2
	s_load_b64 s[8:9], s[0:1], 0x60
	s_load_b128 s[4:7], s[0:1], 0x10
	s_load_b64 s[2:3], s[0:1], 0x50
	s_add_nc_u64 s[10:11], s[0:1], 16
	s_wait_kmcnt 0x0
	s_bitcmp1_b32 s9, 0
	s_cselect_b32 s4, s10, s4
	s_cselect_b32 s5, s11, s5
	s_delay_alu instid0(SALU_CYCLE_1)
	v_dual_mov_b32 v1, s4 :: v_dual_mov_b32 v2, s5
	s_add_nc_u64 s[4:5], s[0:1], 0x50
	s_wait_alu 0xfffe
	s_cselect_b32 s2, s4, s2
	s_cselect_b32 s3, s5, s3
	flat_load_b64 v[58:59], v[1:2]
	v_dual_mov_b32 v1, s2 :: v_dual_mov_b32 v2, s3
	flat_load_b64 v[56:57], v[1:2]
	s_wait_loadcnt_dscnt 0x101
	v_cmp_eq_f32_e32 vcc_lo, 0, v58
	v_cmp_eq_f32_e64 s2, 0, v59
	s_and_b32 s4, vcc_lo, s2
	s_mov_b32 s2, -1
	s_wait_alu 0xfffe
	s_and_saveexec_b32 s3, s4
	s_cbranch_execz .LBB53_2
; %bb.1:
	s_wait_loadcnt_dscnt 0x0
	v_cmp_neq_f32_e32 vcc_lo, 1.0, v56
	v_cmp_neq_f32_e64 s2, 0, v57
	s_or_b32 s2, vcc_lo, s2
	s_wait_alu 0xfffe
	s_or_not1_b32 s2, s2, exec_lo
.LBB53_2:
	s_wait_alu 0xfffe
	s_or_b32 exec_lo, exec_lo, s3
	s_and_saveexec_b32 s3, s2
	s_cbranch_execz .LBB53_8
; %bb.3:
	s_load_b64 s[2:3], s[0:1], 0x20
	v_lshrrev_b32_e32 v1, 5, v0
	v_mov_b32_e32 v2, 0
	s_delay_alu instid0(VALU_DEP_2)
	v_lshl_or_b32 v1, ttmp9, 2, v1
	s_wait_kmcnt 0x0
	s_cmp_lg_u64 s[2:3], 0
	s_cbranch_scc0 .LBB53_9
; %bb.4:
	s_delay_alu instid0(VALU_DEP_1)
	v_cmp_gt_i64_e32 vcc_lo, s[6:7], v[1:2]
	s_mov_b32 s5, 0
	s_mov_b32 s4, 0
                                        ; implicit-def: $vgpr60_vgpr61
                                        ; implicit-def: $vgpr62_vgpr63
	s_and_saveexec_b32 s6, vcc_lo
	s_wait_alu 0xfffe
	s_xor_b32 s6, exec_lo, s6
	s_cbranch_execz .LBB53_6
; %bb.5:
	v_lshlrev_b64_e32 v[3:4], 3, v[1:2]
	s_mov_b32 s9, 0
	s_mov_b32 s4, exec_lo
	v_dual_mov_b32 v63, s9 :: v_dual_mov_b32 v62, s8
	s_delay_alu instid0(VALU_DEP_2) | instskip(NEXT) | instid1(VALU_DEP_1)
	v_add_co_u32 v3, vcc_lo, s2, v3
	v_add_co_ci_u32_e64 v4, null, s3, v4, vcc_lo
	global_load_b64 v[3:4], v[3:4], off
	s_wait_loadcnt 0x0
	v_sub_co_u32 v60, vcc_lo, v3, s8
	s_wait_alu 0xfffd
	v_subrev_co_ci_u32_e64 v61, null, 0, v4, vcc_lo
.LBB53_6:
	s_wait_alu 0xfffe
	s_or_b32 exec_lo, exec_lo, s6
	s_delay_alu instid0(SALU_CYCLE_1)
	s_and_b32 vcc_lo, exec_lo, s5
	s_wait_alu 0xfffe
	s_cbranch_vccnz .LBB53_10
.LBB53_7:
	s_wait_alu 0xfffe
	s_and_b32 exec_lo, exec_lo, s4
	s_cbranch_execnz .LBB53_13
.LBB53_8:
	s_nop 0
	s_sendmsg sendmsg(MSG_DEALLOC_VGPRS)
	s_endpgm
.LBB53_9:
	s_mov_b32 s4, 0
                                        ; implicit-def: $vgpr60_vgpr61
                                        ; implicit-def: $vgpr62_vgpr63
	s_cbranch_execz .LBB53_7
.LBB53_10:
	s_load_b64 s[2:3], s[0:1], 0x0
	s_wait_kmcnt 0x0
	v_cmp_gt_i64_e32 vcc_lo, s[2:3], v[1:2]
	s_and_saveexec_b32 s2, vcc_lo
; %bb.11:
	s_mov_b32 s9, 0
	s_or_b32 s4, s4, exec_lo
; %bb.12:
	s_wait_alu 0xfffe
	s_or_b32 exec_lo, exec_lo, s2
	v_dual_mov_b32 v63, s9 :: v_dual_mov_b32 v62, s8
	v_dual_mov_b32 v61, v2 :: v_dual_mov_b32 v60, v1
	s_and_b32 exec_lo, exec_lo, s4
	s_cbranch_execz .LBB53_8
.LBB53_13:
	s_load_b256 s[4:11], s[0:1], 0x28
	s_delay_alu instid0(VALU_DEP_1) | instskip(SKIP_3) | instid1(VALU_DEP_2)
	v_lshlrev_b64_e32 v[1:2], 3, v[60:61]
	v_dual_mov_b32 v77, 0 :: v_dual_and_b32 v76, 31, v0
	s_load_b32 s3, s[0:1], 0x8
	s_wait_kmcnt 0x0
	v_add_co_u32 v3, vcc_lo, s4, v1
	s_wait_alu 0xfffd
	v_add_co_ci_u32_e64 v4, null, s5, v2, vcc_lo
	v_add_co_u32 v1, vcc_lo, s6, v1
	s_wait_alu 0xfffd
	v_add_co_ci_u32_e64 v2, null, s7, v2, vcc_lo
	v_add_co_u32 v5, vcc_lo, v3, 8
	global_load_b64 v[24:25], v[3:4], off
	s_wait_alu 0xfffd
	v_add_co_ci_u32_e64 v6, null, 0, v4, vcc_lo
	s_cmp_eq_u64 s[6:7], 0
	s_load_b64 s[4:5], s[0:1], 0x48
	s_cselect_b32 vcc_lo, -1, 0
	s_cmp_eq_u32 s3, 1
	s_wait_alu 0xfffe
	v_dual_cndmask_b32 v2, v2, v6 :: v_dual_cndmask_b32 v1, v1, v5
	global_load_b64 v[1:2], v[1:2], off
	s_wait_loadcnt 0x1
	v_sub_co_u32 v0, vcc_lo, v24, v62
	s_wait_alu 0xfffd
	v_sub_co_ci_u32_e64 v3, null, v25, v63, vcc_lo
	s_delay_alu instid0(VALU_DEP_2) | instskip(SKIP_1) | instid1(VALU_DEP_2)
	v_add_co_u32 v64, vcc_lo, v0, v76
	s_wait_alu 0xfffd
	v_add_co_ci_u32_e64 v65, null, 0, v3, vcc_lo
	s_wait_loadcnt 0x0
	v_sub_co_u32 v66, vcc_lo, v1, v62
	s_delay_alu instid0(VALU_DEP_2) | instskip(SKIP_2) | instid1(VALU_DEP_2)
	v_lshlrev_b64_e32 v[0:1], 7, v[64:65]
	s_wait_alu 0xfffd
	v_sub_co_ci_u32_e64 v67, null, v2, v63, vcc_lo
	v_add_co_u32 v70, vcc_lo, s10, v0
	s_delay_alu instid0(VALU_DEP_2)
	v_cmp_lt_i64_e64 s2, v[64:65], v[66:67]
	s_wait_alu 0xfffd
	v_add_co_ci_u32_e64 v71, null, s11, v1, vcc_lo
	s_cbranch_scc1 .LBB53_25
; %bb.14:
	v_dual_mov_b32 v82, 0 :: v_dual_mov_b32 v81, 0
	v_dual_mov_b32 v80, 0 :: v_dual_mov_b32 v79, 0
	;; [unrolled: 1-line block ×3, first 2 shown]
	v_mov_b32_e32 v69, 0
	s_and_saveexec_b32 s6, s2
	s_cbranch_execz .LBB53_24
; %bb.15:
	v_or_b32_e32 v0, 32, v76
	v_not_b32_e32 v3, v24
	v_sub_co_u32 v4, s3, v62, v76
	v_not_b32_e32 v2, v25
	s_delay_alu instid0(VALU_DEP_4)
	v_sub_co_u32 v0, vcc_lo, v0, v62
	s_wait_alu 0xfffd
	v_sub_co_ci_u32_e64 v1, null, 0, v63, vcc_lo
	s_wait_alu 0xf1ff
	v_subrev_co_ci_u32_e64 v5, null, 0, v63, s3
	v_add_co_u32 v0, vcc_lo, v0, v24
	s_wait_alu 0xfffd
	v_add_co_ci_u32_e64 v1, null, v1, v25, vcc_lo
	s_mov_b32 s3, exec_lo
	v_dual_mov_b32 v26, v70 :: v_dual_mov_b32 v27, v71
	v_mov_b32_e32 v28, v64
	v_cmp_gt_i64_e32 vcc_lo, v[0:1], v[66:67]
	v_mov_b32_e32 v69, 0
	v_mov_b32_e32 v29, v65
	s_wait_alu 0xfffd
	v_dual_cndmask_b32 v1, v67, v1 :: v_dual_cndmask_b32 v0, v66, v0
	v_add_co_u32 v3, vcc_lo, v4, v3
	s_wait_alu 0xfffd
	v_add_co_ci_u32_e64 v2, null, v5, v2, vcc_lo
	v_mov_b32_e32 v77, v69
	s_delay_alu instid0(VALU_DEP_3) | instskip(SKIP_3) | instid1(VALU_DEP_4)
	v_add_co_u32 v0, vcc_lo, v3, v0
	v_dual_mov_b32 v83, v69 :: v_dual_mov_b32 v78, v69
	v_dual_mov_b32 v79, v69 :: v_dual_mov_b32 v80, v69
	;; [unrolled: 1-line block ×3, first 2 shown]
	v_and_b32_e32 v68, 0x60, v0
	s_wait_alu 0xfffd
	v_add_co_ci_u32_e64 v1, null, v2, v1, vcc_lo
	s_delay_alu instid0(VALU_DEP_2)
	v_cmpx_ne_u64_e32 0x60, v[68:69]
	s_cbranch_execz .LBB53_19
; %bb.16:
	v_lshrrev_b32_e32 v2, 5, v0
	v_dual_mov_b32 v77, 0 :: v_dual_mov_b32 v28, v64
	v_dual_mov_b32 v29, v65 :: v_dual_mov_b32 v26, v70
	s_delay_alu instid0(VALU_DEP_3) | instskip(SKIP_2) | instid1(VALU_DEP_3)
	v_dual_mov_b32 v27, v71 :: v_dual_add_nc_u32 v4, 1, v2
	v_lshlrev_b64_e32 v[2:3], 3, v[64:65]
	v_dual_mov_b32 v82, 0 :: v_dual_mov_b32 v81, 0
	v_dual_mov_b32 v79, 0 :: v_dual_and_b32 v4, 3, v4
	v_dual_mov_b32 v80, 0 :: v_dual_mov_b32 v83, 0
	s_delay_alu instid0(VALU_DEP_4) | instskip(NEXT) | instid1(VALU_DEP_3)
	v_add_co_u32 v2, vcc_lo, s8, v2
	v_sub_co_u32 v4, s7, 0, v4
	s_wait_alu 0xfffd
	v_add_co_ci_u32_e64 v3, null, s9, v3, vcc_lo
	s_wait_alu 0xf1ff
	v_sub_co_ci_u32_e64 v5, null, 0, 0, s7
	v_dual_mov_b32 v78, 0 :: v_dual_mov_b32 v69, 0
	s_mov_b32 s7, 0
.LBB53_17:                              ; =>This Inner Loop Header: Depth=1
	global_load_b64 v[22:23], v[2:3], off
	s_clause 0x7
	global_load_b128 v[6:9], v[26:27], off offset:48
	global_load_b128 v[10:13], v[26:27], off offset:32
	;; [unrolled: 1-line block ×3, first 2 shown]
	global_load_b128 v[18:21], v[26:27], off
	global_load_b128 v[30:33], v[26:27], off offset:112
	global_load_b128 v[34:37], v[26:27], off offset:96
	;; [unrolled: 1-line block ×4, first 2 shown]
	s_wait_loadcnt 0x8
	v_sub_co_u32 v22, vcc_lo, v22, v62
	s_wait_alu 0xfffd
	v_sub_co_ci_u32_e64 v23, null, v23, v63, vcc_lo
	s_delay_alu instid0(VALU_DEP_1) | instskip(SKIP_1) | instid1(VALU_DEP_1)
	v_lshlrev_b64_e32 v[22:23], 5, v[22:23]
	s_wait_kmcnt 0x0
	v_add_co_u32 v22, vcc_lo, s4, v22
	s_wait_alu 0xfffd
	s_delay_alu instid0(VALU_DEP_2)
	v_add_co_ci_u32_e64 v23, null, s5, v23, vcc_lo
	v_add_co_u32 v26, vcc_lo, 0x1000, v26
	s_wait_alu 0xfffd
	v_add_co_ci_u32_e64 v27, null, 0, v27, vcc_lo
	s_clause 0x1
	global_load_b128 v[46:49], v[22:23], off
	global_load_b128 v[50:53], v[22:23], off offset:16
	v_add_co_u32 v28, vcc_lo, v28, 32
	s_wait_alu 0xfffd
	v_add_co_ci_u32_e64 v29, null, 0, v29, vcc_lo
	v_add_co_u32 v4, vcc_lo, v4, 1
	s_wait_alu 0xfffd
	v_add_co_ci_u32_e64 v5, null, 0, v5, vcc_lo
	;; [unrolled: 3-line block ×3, first 2 shown]
	s_delay_alu instid0(VALU_DEP_3)
	v_cmp_eq_u64_e32 vcc_lo, 0, v[4:5]
	s_wait_alu 0xfffe
	s_or_b32 s7, vcc_lo, s7
	s_wait_loadcnt 0x1
	v_fmac_f32_e32 v78, v35, v46
	v_fmac_f32_e32 v77, v19, v46
	;; [unrolled: 1-line block ×4, first 2 shown]
	s_delay_alu instid0(VALU_DEP_4) | instskip(NEXT) | instid1(VALU_DEP_4)
	v_fmac_f32_e32 v78, v34, v47
	v_fmac_f32_e32 v77, v18, v47
	;; [unrolled: 1-line block ×4, first 2 shown]
	v_fma_f32 v19, -v19, v47, v82
	v_fmac_f32_e32 v78, v37, v48
	v_fmac_f32_e32 v77, v21, v48
	v_fma_f32 v18, -v35, v47, v80
	v_fmac_f32_e32 v69, v11, v46
	s_delay_alu instid0(VALU_DEP_4) | instskip(SKIP_1) | instid1(VALU_DEP_3)
	v_dual_fmac_f32 v79, v43, v46 :: v_dual_fmac_f32 v78, v36, v49
	v_fmac_f32_e32 v19, v20, v48
	v_dual_fmac_f32 v18, v36, v48 :: v_dual_fmac_f32 v69, v10, v47
	v_fma_f32 v10, -v43, v47, v81
	s_wait_loadcnt 0x0
	v_fmac_f32_e32 v78, v31, v50
	v_fma_f32 v19, -v21, v49, v19
	v_fmac_f32_e32 v69, v13, v48
	v_fmac_f32_e32 v10, v44, v48
	v_fma_f32 v11, -v11, v47, v83
	v_dual_fmac_f32 v78, v30, v51 :: v_dual_fmac_f32 v77, v20, v49
	s_delay_alu instid0(VALU_DEP_4) | instskip(NEXT) | instid1(VALU_DEP_4)
	v_fmac_f32_e32 v69, v12, v49
	v_fma_f32 v10, -v45, v49, v10
	s_delay_alu instid0(VALU_DEP_4) | instskip(SKIP_1) | instid1(VALU_DEP_4)
	v_fmac_f32_e32 v11, v12, v48
	v_fma_f32 v12, -v37, v49, v18
	v_dual_fmac_f32 v78, v33, v52 :: v_dual_fmac_f32 v69, v7, v50
	s_delay_alu instid0(VALU_DEP_4) | instskip(NEXT) | instid1(VALU_DEP_4)
	v_fmac_f32_e32 v10, v38, v50
	v_fma_f32 v11, -v13, v49, v11
	s_delay_alu instid0(VALU_DEP_4) | instskip(NEXT) | instid1(VALU_DEP_4)
	v_fmac_f32_e32 v12, v30, v50
	v_dual_fmac_f32 v77, v15, v50 :: v_dual_fmac_f32 v78, v32, v53
	v_fmac_f32_e32 v69, v6, v51
	s_delay_alu instid0(VALU_DEP_4) | instskip(SKIP_4) | instid1(VALU_DEP_4)
	v_fmac_f32_e32 v11, v6, v50
	v_fma_f32 v6, -v39, v51, v10
	v_fmac_f32_e32 v79, v42, v47
	v_fma_f32 v10, -v31, v51, v12
	v_fmac_f32_e32 v19, v14, v50
	v_dual_fmac_f32 v77, v14, v51 :: v_dual_fmac_f32 v6, v40, v52
	s_delay_alu instid0(VALU_DEP_4)
	v_fmac_f32_e32 v79, v45, v48
	v_fma_f32 v7, -v7, v51, v11
	v_fmac_f32_e32 v10, v32, v52
	v_fma_f32 v13, -v15, v51, v19
	v_fmac_f32_e32 v69, v9, v52
	v_fmac_f32_e32 v79, v44, v49
	v_fmac_f32_e32 v7, v8, v52
	v_fmac_f32_e32 v77, v17, v52
	v_fmac_f32_e32 v13, v16, v52
	v_fmac_f32_e32 v69, v8, v53
	v_fmac_f32_e32 v79, v39, v50
	v_fma_f32 v83, -v9, v53, v7
	v_fmac_f32_e32 v77, v16, v53
	v_fma_f32 v82, -v17, v53, v13
	v_fma_f32 v81, -v41, v53, v6
	v_fmac_f32_e32 v79, v38, v51
	v_fma_f32 v80, -v33, v53, v10
	s_delay_alu instid0(VALU_DEP_2) | instskip(NEXT) | instid1(VALU_DEP_1)
	v_fmac_f32_e32 v79, v41, v52
	v_fmac_f32_e32 v79, v40, v53
	s_wait_alu 0xfffe
	s_and_not1_b32 exec_lo, exec_lo, s7
	s_cbranch_execnz .LBB53_17
; %bb.18:
	s_or_b32 exec_lo, exec_lo, s7
.LBB53_19:
	s_wait_alu 0xfffe
	s_or_b32 exec_lo, exec_lo, s3
	s_delay_alu instid0(SALU_CYCLE_1)
	s_mov_b32 s3, exec_lo
	v_cmpx_lt_u64_e32 0x5f, v[0:1]
	s_cbranch_execz .LBB53_23
; %bb.20:
	v_lshlrev_b64_e32 v[0:1], 3, v[28:29]
	s_mov_b32 s7, 0
	s_delay_alu instid0(VALU_DEP_1) | instskip(SKIP_1) | instid1(VALU_DEP_2)
	v_add_co_u32 v0, vcc_lo, s8, v0
	s_wait_alu 0xfffd
	v_add_co_ci_u32_e64 v1, null, s9, v1, vcc_lo
	s_delay_alu instid0(VALU_DEP_2) | instskip(SKIP_1) | instid1(VALU_DEP_2)
	v_add_co_u32 v30, vcc_lo, 0x200, v0
	s_wait_alu 0xfffd
	v_add_co_ci_u32_e64 v31, null, 0, v1, vcc_lo
.LBB53_21:                              ; =>This Inner Loop Header: Depth=1
	s_clause 0x3
	global_load_b64 v[32:33], v[30:31], off offset:-512
	global_load_b64 v[54:55], v[30:31], off offset:-256
	global_load_b64 v[164:165], v[30:31], off
	global_load_b64 v[166:167], v[30:31], off offset:256
	s_clause 0x1f
	global_load_b128 v[34:37], v[26:27], off offset:48
	global_load_b128 v[38:41], v[26:27], off offset:32
	;; [unrolled: 1-line block ×3, first 2 shown]
	global_load_b128 v[46:49], v[26:27], off
	global_load_b128 v[50:53], v[26:27], off offset:112
	global_load_b128 v[72:75], v[26:27], off offset:96
	;; [unrolled: 1-line block ×28, first 2 shown]
	s_wait_loadcnt 0x23
	v_sub_co_u32 v32, vcc_lo, v32, v62
	s_wait_alu 0xfffd
	v_sub_co_ci_u32_e64 v33, null, v33, v63, vcc_lo
	s_wait_loadcnt 0x22
	v_sub_co_u32 v54, vcc_lo, v54, v62
	s_wait_alu 0xfffd
	v_sub_co_ci_u32_e64 v55, null, v55, v63, vcc_lo
	;; [unrolled: 4-line block ×3, first 2 shown]
	s_wait_loadcnt 0x20
	v_sub_co_u32 v166, vcc_lo, v166, v62
	v_lshlrev_b64_e32 v[32:33], 5, v[32:33]
	s_wait_alu 0xfffd
	v_sub_co_ci_u32_e64 v167, null, v167, v63, vcc_lo
	v_lshlrev_b64_e32 v[54:55], 5, v[54:55]
	v_lshlrev_b64_e32 v[164:165], 5, v[164:165]
	s_delay_alu instid0(VALU_DEP_3)
	v_lshlrev_b64_e32 v[166:167], 5, v[166:167]
	s_wait_kmcnt 0x0
	v_add_co_u32 v32, vcc_lo, s4, v32
	s_wait_alu 0xfffd
	v_add_co_ci_u32_e64 v33, null, s5, v33, vcc_lo
	v_add_co_u32 v54, vcc_lo, s4, v54
	s_wait_alu 0xfffd
	v_add_co_ci_u32_e64 v55, null, s5, v55, vcc_lo
	;; [unrolled: 3-line block ×4, first 2 shown]
	s_clause 0x1
	global_load_b128 v[164:167], v[32:33], off
	global_load_b128 v[168:171], v[32:33], off offset:16
	v_add_co_u32 v28, vcc_lo, 0x80, v28
	s_wait_alu 0xfffd
	v_add_co_ci_u32_e64 v29, null, 0, v29, vcc_lo
	v_add_co_u32 v26, vcc_lo, 0x4000, v26
	s_wait_alu 0xfffd
	v_add_co_ci_u32_e64 v27, null, 0, v27, vcc_lo
	;; [unrolled: 3-line block ×3, first 2 shown]
	v_cmp_ge_i64_e32 vcc_lo, v[28:29], v[66:67]
	s_wait_alu 0xfffe
	s_or_b32 s7, vcc_lo, s7
	s_wait_loadcnt 0x1
	v_fmac_f32_e32 v77, v47, v164
	s_delay_alu instid0(VALU_DEP_1) | instskip(NEXT) | instid1(VALU_DEP_1)
	v_dual_fmac_f32 v80, v72, v164 :: v_dual_fmac_f32 v77, v46, v165
	v_dual_fmac_f32 v82, v46, v164 :: v_dual_fmac_f32 v77, v49, v166
	s_delay_alu instid0(VALU_DEP_1) | instskip(NEXT) | instid1(VALU_DEP_2)
	v_fma_f32 v32, -v47, v165, v82
	v_fmac_f32_e32 v77, v48, v167
	s_delay_alu instid0(VALU_DEP_2) | instskip(NEXT) | instid1(VALU_DEP_1)
	v_fmac_f32_e32 v32, v48, v166
	v_fma_f32 v32, -v49, v167, v32
	s_clause 0x1
	global_load_b128 v[46:49], v[54:55], off
	global_load_b128 v[172:175], v[54:55], off offset:16
	v_fma_f32 v55, -v73, v165, v80
	v_fmac_f32_e32 v78, v73, v164
	s_wait_loadcnt 0x2
	v_fmac_f32_e32 v32, v42, v168
	s_delay_alu instid0(VALU_DEP_3) | instskip(NEXT) | instid1(VALU_DEP_3)
	v_fmac_f32_e32 v55, v74, v166
	v_dual_fmac_f32 v83, v38, v164 :: v_dual_fmac_f32 v78, v72, v165
	v_fmac_f32_e32 v81, v88, v164
	s_delay_alu instid0(VALU_DEP_4) | instskip(SKIP_1) | instid1(VALU_DEP_4)
	v_fma_f32 v32, -v43, v169, v32
	v_fmac_f32_e32 v79, v89, v164
	v_fma_f32 v33, -v39, v165, v83
	v_fmac_f32_e32 v78, v75, v166
	v_fma_f32 v54, -v89, v165, v81
	v_dual_fmac_f32 v69, v39, v164 :: v_dual_fmac_f32 v32, v44, v170
	s_delay_alu instid0(VALU_DEP_3) | instskip(NEXT) | instid1(VALU_DEP_3)
	v_dual_fmac_f32 v33, v40, v166 :: v_dual_fmac_f32 v78, v74, v167
	v_fmac_f32_e32 v54, v90, v166
	v_fma_f32 v55, -v75, v167, v55
	s_delay_alu instid0(VALU_DEP_4) | instskip(NEXT) | instid1(VALU_DEP_4)
	v_fma_f32 v32, -v45, v171, v32
	v_fma_f32 v33, -v41, v167, v33
	v_fmac_f32_e32 v78, v51, v168
	v_fma_f32 v54, -v91, v167, v54
	v_fmac_f32_e32 v69, v38, v165
	s_delay_alu instid0(VALU_DEP_4) | instskip(NEXT) | instid1(VALU_DEP_4)
	v_fmac_f32_e32 v33, v34, v168
	v_fmac_f32_e32 v78, v50, v169
	s_delay_alu instid0(VALU_DEP_3) | instskip(NEXT) | instid1(VALU_DEP_2)
	v_dual_fmac_f32 v54, v84, v168 :: v_dual_fmac_f32 v69, v41, v166
	v_dual_fmac_f32 v77, v43, v168 :: v_dual_fmac_f32 v78, v53, v170
	s_delay_alu instid0(VALU_DEP_2) | instskip(SKIP_2) | instid1(VALU_DEP_1)
	v_fmac_f32_e32 v69, v40, v167
	global_load_b128 v[38:41], v[176:177], off
	v_dual_fmac_f32 v78, v52, v171 :: v_dual_fmac_f32 v69, v35, v168
	v_fmac_f32_e32 v69, v34, v169
	v_fma_f32 v34, -v85, v169, v54
	s_delay_alu instid0(VALU_DEP_1) | instskip(NEXT) | instid1(VALU_DEP_1)
	v_dual_fmac_f32 v79, v88, v165 :: v_dual_fmac_f32 v34, v86, v170
	v_fmac_f32_e32 v79, v91, v166
	s_delay_alu instid0(VALU_DEP_2) | instskip(NEXT) | instid1(VALU_DEP_2)
	v_fma_f32 v34, -v87, v171, v34
	v_fmac_f32_e32 v79, v90, v167
	s_clause 0x2
	global_load_b128 v[88:91], v[176:177], off offset:16
	global_load_b128 v[72:75], v[178:179], off
	global_load_b128 v[164:167], v[178:179], off offset:16
	s_wait_loadcnt 0x5
	v_fmac_f32_e32 v32, v104, v46
	v_fmac_f32_e32 v34, v120, v46
	;; [unrolled: 1-line block ×4, first 2 shown]
	v_fma_f32 v33, -v35, v169, v33
	v_fma_f32 v32, -v105, v47, v32
	;; [unrolled: 1-line block ×3, first 2 shown]
	v_dual_fmac_f32 v78, v112, v47 :: v_dual_fmac_f32 v77, v42, v169
	s_delay_alu instid0(VALU_DEP_3) | instskip(NEXT) | instid1(VALU_DEP_3)
	v_dual_fmac_f32 v79, v84, v169 :: v_dual_fmac_f32 v32, v106, v48
	v_fmac_f32_e32 v34, v122, v48
	s_delay_alu instid0(VALU_DEP_3) | instskip(SKIP_1) | instid1(VALU_DEP_4)
	v_dual_fmac_f32 v78, v115, v48 :: v_dual_fmac_f32 v77, v45, v170
	v_fmac_f32_e32 v33, v36, v170
	v_fma_f32 v32, -v107, v49, v32
	s_delay_alu instid0(VALU_DEP_4) | instskip(NEXT) | instid1(VALU_DEP_4)
	v_fma_f32 v34, -v123, v49, v34
	v_dual_fmac_f32 v78, v114, v49 :: v_dual_fmac_f32 v79, v87, v170
	s_delay_alu instid0(VALU_DEP_4)
	v_fma_f32 v33, -v37, v171, v33
	s_wait_loadcnt 0x4
	v_dual_fmac_f32 v32, v100, v172 :: v_dual_fmac_f32 v69, v37, v170
	v_fmac_f32_e32 v34, v116, v172
	v_fmac_f32_e32 v78, v109, v172
	;; [unrolled: 1-line block ×3, first 2 shown]
	s_delay_alu instid0(VALU_DEP_4)
	v_fma_f32 v32, -v101, v173, v32
	v_fmac_f32_e32 v77, v44, v171
	v_fma_f32 v34, -v117, v173, v34
	v_fmac_f32_e32 v69, v36, v171
	v_fmac_f32_e32 v78, v108, v173
	v_fma_f32 v35, -v51, v169, v55
	v_fmac_f32_e32 v79, v86, v171
	v_fmac_f32_e32 v34, v118, v174
	;; [unrolled: 1-line block ×5, first 2 shown]
	s_delay_alu instid0(VALU_DEP_4) | instskip(NEXT) | instid1(VALU_DEP_4)
	v_fma_f32 v34, -v119, v175, v34
	v_fma_f32 v32, -v103, v175, v32
	s_delay_alu instid0(VALU_DEP_4) | instskip(NEXT) | instid1(VALU_DEP_4)
	v_fmac_f32_e32 v78, v110, v175
	v_fma_f32 v35, -v53, v171, v35
	s_wait_loadcnt 0x3
	v_fmac_f32_e32 v34, v140, v38
	v_fmac_f32_e32 v32, v128, v38
	;; [unrolled: 1-line block ×4, first 2 shown]
	s_delay_alu instid0(VALU_DEP_4) | instskip(NEXT) | instid1(VALU_DEP_3)
	v_fma_f32 v34, -v141, v39, v34
	v_dual_fmac_f32 v69, v97, v46 :: v_dual_fmac_f32 v78, v132, v39
	v_fmac_f32_e32 v79, v121, v46
	v_fma_f32 v32, -v129, v39, v32
	s_delay_alu instid0(VALU_DEP_3) | instskip(NEXT) | instid1(VALU_DEP_4)
	v_dual_fmac_f32 v34, v142, v40 :: v_dual_fmac_f32 v69, v96, v47
	v_dual_fmac_f32 v78, v135, v40 :: v_dual_fmac_f32 v35, v112, v46
	s_delay_alu instid0(VALU_DEP_3) | instskip(NEXT) | instid1(VALU_DEP_3)
	v_dual_fmac_f32 v33, v96, v46 :: v_dual_fmac_f32 v32, v130, v40
	v_fma_f32 v34, -v143, v41, v34
	s_delay_alu instid0(VALU_DEP_3) | instskip(NEXT) | instid1(VALU_DEP_3)
	v_dual_fmac_f32 v78, v134, v41 :: v_dual_fmac_f32 v77, v104, v47
	v_fma_f32 v33, -v97, v47, v33
	v_fma_f32 v35, -v113, v47, v35
	;; [unrolled: 1-line block ×3, first 2 shown]
	s_wait_loadcnt 0x2
	v_fmac_f32_e32 v78, v13, v88
	v_fmac_f32_e32 v77, v107, v48
	;; [unrolled: 1-line block ×5, first 2 shown]
	v_dual_fmac_f32 v78, v12, v89 :: v_dual_fmac_f32 v35, v114, v48
	s_delay_alu instid0(VALU_DEP_4) | instskip(NEXT) | instid1(VALU_DEP_2)
	v_fma_f32 v33, -v99, v49, v33
	v_dual_fmac_f32 v77, v106, v49 :: v_dual_fmac_f32 v78, v15, v90
	v_fmac_f32_e32 v69, v99, v48
	s_delay_alu instid0(VALU_DEP_3) | instskip(SKIP_1) | instid1(VALU_DEP_4)
	v_fmac_f32_e32 v33, v92, v172
	v_fma_f32 v35, -v115, v49, v35
	v_fmac_f32_e32 v78, v14, v91
	s_delay_alu instid0(VALU_DEP_4) | instskip(NEXT) | instid1(VALU_DEP_4)
	v_fmac_f32_e32 v69, v98, v49
	v_fma_f32 v33, -v93, v173, v33
	s_wait_loadcnt 0x1
	s_delay_alu instid0(VALU_DEP_3) | instskip(NEXT) | instid1(VALU_DEP_3)
	v_fmac_f32_e32 v78, v153, v72
	v_fmac_f32_e32 v69, v93, v172
	s_delay_alu instid0(VALU_DEP_2) | instskip(NEXT) | instid1(VALU_DEP_2)
	v_dual_fmac_f32 v33, v94, v174 :: v_dual_fmac_f32 v78, v152, v73
	v_fmac_f32_e32 v69, v92, v173
	s_delay_alu instid0(VALU_DEP_2) | instskip(NEXT) | instid1(VALU_DEP_3)
	v_fma_f32 v33, -v95, v175, v33
	v_fmac_f32_e32 v78, v155, v74
	s_delay_alu instid0(VALU_DEP_3) | instskip(NEXT) | instid1(VALU_DEP_2)
	v_fmac_f32_e32 v69, v95, v174
	v_dual_fmac_f32 v33, v124, v38 :: v_dual_fmac_f32 v78, v154, v75
	s_delay_alu instid0(VALU_DEP_2) | instskip(NEXT) | instid1(VALU_DEP_2)
	v_fmac_f32_e32 v69, v94, v175
	v_fma_f32 v33, -v125, v39, v33
	s_wait_loadcnt 0x0
	s_delay_alu instid0(VALU_DEP_3) | instskip(NEXT) | instid1(VALU_DEP_3)
	v_fmac_f32_e32 v78, v149, v164
	v_fmac_f32_e32 v69, v125, v38
	s_delay_alu instid0(VALU_DEP_2) | instskip(NEXT) | instid1(VALU_DEP_2)
	v_dual_fmac_f32 v33, v126, v40 :: v_dual_fmac_f32 v78, v148, v165
	v_fmac_f32_e32 v69, v124, v39
	s_delay_alu instid0(VALU_DEP_2) | instskip(NEXT) | instid1(VALU_DEP_3)
	v_fma_f32 v33, -v127, v41, v33
	v_fmac_f32_e32 v78, v151, v166
	s_delay_alu instid0(VALU_DEP_3) | instskip(NEXT) | instid1(VALU_DEP_2)
	v_fmac_f32_e32 v69, v127, v40
	v_dual_fmac_f32 v33, v8, v88 :: v_dual_fmac_f32 v78, v150, v167
	s_delay_alu instid0(VALU_DEP_2) | instskip(NEXT) | instid1(VALU_DEP_1)
	v_fmac_f32_e32 v69, v126, v41
	v_fmac_f32_e32 v69, v9, v88
	s_delay_alu instid0(VALU_DEP_3) | instskip(NEXT) | instid1(VALU_DEP_2)
	v_fma_f32 v9, -v9, v89, v33
	v_fmac_f32_e32 v69, v8, v89
	v_fma_f32 v8, -v137, v89, v34
	v_fmac_f32_e32 v79, v120, v47
	s_delay_alu instid0(VALU_DEP_4) | instskip(NEXT) | instid1(VALU_DEP_4)
	v_fmac_f32_e32 v9, v10, v90
	v_fmac_f32_e32 v69, v11, v90
	s_delay_alu instid0(VALU_DEP_3) | instskip(NEXT) | instid1(VALU_DEP_3)
	v_dual_fmac_f32 v8, v138, v90 :: v_dual_fmac_f32 v79, v123, v48
	v_fma_f32 v9, -v11, v91, v9
	s_delay_alu instid0(VALU_DEP_3) | instskip(NEXT) | instid1(VALU_DEP_3)
	v_fmac_f32_e32 v69, v10, v91
	v_fma_f32 v8, -v139, v91, v8
	s_delay_alu instid0(VALU_DEP_3) | instskip(NEXT) | instid1(VALU_DEP_3)
	v_fmac_f32_e32 v9, v20, v72
	v_fmac_f32_e32 v69, v21, v72
	s_delay_alu instid0(VALU_DEP_3) | instskip(NEXT) | instid1(VALU_DEP_3)
	v_fmac_f32_e32 v8, v160, v72
	v_fma_f32 v9, -v21, v73, v9
	s_delay_alu instid0(VALU_DEP_3) | instskip(NEXT) | instid1(VALU_DEP_3)
	v_fmac_f32_e32 v69, v20, v73
	v_fma_f32 v8, -v161, v73, v8
	v_fmac_f32_e32 v77, v101, v172
	s_delay_alu instid0(VALU_DEP_4) | instskip(NEXT) | instid1(VALU_DEP_4)
	v_fmac_f32_e32 v9, v22, v74
	v_fmac_f32_e32 v69, v23, v74
	s_delay_alu instid0(VALU_DEP_3) | instskip(NEXT) | instid1(VALU_DEP_3)
	v_dual_fmac_f32 v8, v162, v74 :: v_dual_fmac_f32 v77, v100, v173
	v_fma_f32 v9, -v23, v75, v9
	s_delay_alu instid0(VALU_DEP_3) | instskip(NEXT) | instid1(VALU_DEP_3)
	v_fmac_f32_e32 v69, v22, v75
	v_fma_f32 v8, -v163, v75, v8
	s_delay_alu instid0(VALU_DEP_3) | instskip(NEXT) | instid1(VALU_DEP_3)
	v_fmac_f32_e32 v9, v0, v164
	v_fmac_f32_e32 v69, v1, v164
	s_delay_alu instid0(VALU_DEP_3) | instskip(NEXT) | instid1(VALU_DEP_3)
	v_fmac_f32_e32 v8, v156, v164
	v_fma_f32 v1, -v1, v165, v9
	s_delay_alu instid0(VALU_DEP_3) | instskip(NEXT) | instid1(VALU_DEP_3)
	v_fmac_f32_e32 v69, v0, v165
	v_fma_f32 v0, -v157, v165, v8
	v_fmac_f32_e32 v35, v108, v172
	s_delay_alu instid0(VALU_DEP_4) | instskip(NEXT) | instid1(VALU_DEP_4)
	v_fmac_f32_e32 v1, v2, v166
	v_fmac_f32_e32 v69, v3, v166
	s_delay_alu instid0(VALU_DEP_4) | instskip(NEXT) | instid1(VALU_DEP_4)
	v_fmac_f32_e32 v0, v158, v166
	v_fma_f32 v35, -v109, v173, v35
	s_delay_alu instid0(VALU_DEP_4) | instskip(NEXT) | instid1(VALU_DEP_4)
	v_fma_f32 v83, -v3, v167, v1
	v_fmac_f32_e32 v69, v2, v167
	s_delay_alu instid0(VALU_DEP_4) | instskip(NEXT) | instid1(VALU_DEP_4)
	v_fma_f32 v81, -v159, v167, v0
	v_fmac_f32_e32 v35, v110, v174
	s_delay_alu instid0(VALU_DEP_1) | instskip(NEXT) | instid1(VALU_DEP_1)
	v_fma_f32 v35, -v111, v175, v35
	v_fmac_f32_e32 v35, v132, v38
	s_delay_alu instid0(VALU_DEP_1) | instskip(NEXT) | instid1(VALU_DEP_1)
	;; [unrolled: 3-line block ×5, first 2 shown]
	v_fma_f32 v10, -v15, v91, v13
	v_dual_fmac_f32 v77, v103, v174 :: v_dual_fmac_f32 v10, v152, v72
	s_delay_alu instid0(VALU_DEP_1) | instskip(NEXT) | instid1(VALU_DEP_2)
	v_fmac_f32_e32 v77, v102, v175
	v_fma_f32 v10, -v153, v73, v10
	s_delay_alu instid0(VALU_DEP_2) | instskip(NEXT) | instid1(VALU_DEP_1)
	v_fmac_f32_e32 v77, v129, v38
	v_dual_fmac_f32 v10, v154, v74 :: v_dual_fmac_f32 v77, v128, v39
	s_delay_alu instid0(VALU_DEP_1) | instskip(NEXT) | instid1(VALU_DEP_2)
	v_fma_f32 v10, -v155, v75, v10
	v_fmac_f32_e32 v77, v131, v40
	s_delay_alu instid0(VALU_DEP_1) | instskip(NEXT) | instid1(VALU_DEP_1)
	v_dual_fmac_f32 v10, v148, v164 :: v_dual_fmac_f32 v77, v130, v41
	v_fmac_f32_e32 v77, v17, v88
	v_fma_f32 v17, -v17, v89, v32
	s_delay_alu instid0(VALU_DEP_2) | instskip(NEXT) | instid1(VALU_DEP_2)
	v_fmac_f32_e32 v77, v16, v89
	v_fmac_f32_e32 v17, v18, v90
	s_delay_alu instid0(VALU_DEP_2) | instskip(NEXT) | instid1(VALU_DEP_2)
	v_fmac_f32_e32 v77, v19, v90
	v_fma_f32 v12, -v19, v91, v17
	v_fmac_f32_e32 v79, v122, v49
	s_delay_alu instid0(VALU_DEP_2) | instskip(NEXT) | instid1(VALU_DEP_2)
	v_dual_fmac_f32 v77, v18, v91 :: v_dual_fmac_f32 v12, v144, v72
	v_fmac_f32_e32 v79, v117, v172
	s_delay_alu instid0(VALU_DEP_2) | instskip(NEXT) | instid1(VALU_DEP_3)
	v_fmac_f32_e32 v77, v145, v72
	v_fma_f32 v11, -v145, v73, v12
	s_delay_alu instid0(VALU_DEP_2) | instskip(NEXT) | instid1(VALU_DEP_2)
	v_fmac_f32_e32 v77, v144, v73
	v_fmac_f32_e32 v11, v146, v74
	s_delay_alu instid0(VALU_DEP_2) | instskip(NEXT) | instid1(VALU_DEP_2)
	v_fmac_f32_e32 v77, v147, v74
	v_fma_f32 v11, -v147, v75, v11
	s_delay_alu instid0(VALU_DEP_2) | instskip(NEXT) | instid1(VALU_DEP_2)
	v_fmac_f32_e32 v77, v146, v75
	v_fmac_f32_e32 v11, v4, v164
	s_delay_alu instid0(VALU_DEP_2) | instskip(NEXT) | instid1(VALU_DEP_2)
	v_fmac_f32_e32 v77, v5, v164
	v_fma_f32 v5, -v5, v165, v11
	s_delay_alu instid0(VALU_DEP_2) | instskip(SKIP_2) | instid1(VALU_DEP_4)
	v_fmac_f32_e32 v77, v4, v165
	v_fma_f32 v4, -v149, v165, v10
	v_fmac_f32_e32 v79, v116, v173
	v_fmac_f32_e32 v5, v6, v166
	s_delay_alu instid0(VALU_DEP_4) | instskip(NEXT) | instid1(VALU_DEP_4)
	v_fmac_f32_e32 v77, v7, v166
	v_fmac_f32_e32 v4, v150, v166
	s_delay_alu instid0(VALU_DEP_4) | instskip(NEXT) | instid1(VALU_DEP_4)
	v_fmac_f32_e32 v79, v119, v174
	v_fma_f32 v82, -v7, v167, v5
	s_delay_alu instid0(VALU_DEP_4) | instskip(NEXT) | instid1(VALU_DEP_4)
	v_fmac_f32_e32 v77, v6, v167
	v_fma_f32 v80, -v151, v167, v4
	s_delay_alu instid0(VALU_DEP_4) | instskip(NEXT) | instid1(VALU_DEP_1)
	v_fmac_f32_e32 v79, v118, v175
	v_fmac_f32_e32 v79, v141, v38
	s_delay_alu instid0(VALU_DEP_1) | instskip(NEXT) | instid1(VALU_DEP_1)
	v_fmac_f32_e32 v79, v140, v39
	v_fmac_f32_e32 v79, v143, v40
	s_delay_alu instid0(VALU_DEP_1) | instskip(NEXT) | instid1(VALU_DEP_1)
	;; [unrolled: 3-line block ×7, first 2 shown]
	v_fmac_f32_e32 v79, v156, v165
	v_fmac_f32_e32 v79, v159, v166
	s_delay_alu instid0(VALU_DEP_1)
	v_fmac_f32_e32 v79, v158, v167
	s_wait_alu 0xfffe
	s_and_not1_b32 exec_lo, exec_lo, s7
	s_cbranch_execnz .LBB53_21
; %bb.22:
	s_or_b32 exec_lo, exec_lo, s7
.LBB53_23:
	s_wait_alu 0xfffe
	s_or_b32 exec_lo, exec_lo, s3
.LBB53_24:
	s_wait_alu 0xfffe
	s_or_b32 exec_lo, exec_lo, s6
	s_cbranch_execz .LBB53_26
	s_branch .LBB53_37
.LBB53_25:
                                        ; implicit-def: $vgpr77
                                        ; implicit-def: $vgpr82
                                        ; implicit-def: $vgpr80
                                        ; implicit-def: $vgpr78
                                        ; implicit-def: $vgpr81
                                        ; implicit-def: $vgpr79
                                        ; implicit-def: $vgpr83
                                        ; implicit-def: $vgpr69
.LBB53_26:
	v_dual_mov_b32 v77, 0 :: v_dual_mov_b32 v82, 0
	v_dual_mov_b32 v80, 0 :: v_dual_mov_b32 v81, 0
	;; [unrolled: 1-line block ×3, first 2 shown]
	v_mov_b32_e32 v83, 0
	v_mov_b32_e32 v69, 0
	s_and_saveexec_b32 s3, s2
	s_cbranch_execz .LBB53_36
; %bb.27:
	v_or_b32_e32 v0, 32, v76
	v_not_b32_e32 v3, v24
	v_not_b32_e32 v2, v25
	s_delay_alu instid0(VALU_DEP_3) | instskip(SKIP_2) | instid1(VALU_DEP_2)
	v_sub_co_u32 v0, vcc_lo, v0, v62
	s_wait_alu 0xfffd
	v_sub_co_ci_u32_e64 v1, null, 0, v63, vcc_lo
	v_add_co_u32 v0, vcc_lo, v0, v24
	s_wait_alu 0xfffd
	s_delay_alu instid0(VALU_DEP_2) | instskip(SKIP_3) | instid1(VALU_DEP_3)
	v_add_co_ci_u32_e64 v1, null, v1, v25, vcc_lo
	v_sub_co_u32 v4, vcc_lo, v62, v76
	s_wait_alu 0xfffd
	v_subrev_co_ci_u32_e64 v5, null, 0, v63, vcc_lo
	v_cmp_gt_i64_e64 s2, v[0:1], v[66:67]
	s_delay_alu instid0(VALU_DEP_3) | instskip(SKIP_1) | instid1(VALU_DEP_3)
	v_add_co_u32 v3, vcc_lo, v4, v3
	s_wait_alu 0xfffd
	v_add_co_ci_u32_e64 v2, null, v5, v2, vcc_lo
	s_wait_alu 0xf1ff
	s_delay_alu instid0(VALU_DEP_3) | instskip(SKIP_2) | instid1(VALU_DEP_2)
	v_cndmask_b32_e64 v0, v66, v0, s2
	v_cndmask_b32_e64 v1, v67, v1, s2
	s_mov_b32 s2, exec_lo
	v_add_co_u32 v0, vcc_lo, v3, v0
	v_mov_b32_e32 v69, 0
	s_wait_alu 0xfffd
	v_add_co_ci_u32_e64 v1, null, v2, v1, vcc_lo
	s_delay_alu instid0(VALU_DEP_2) | instskip(SKIP_3) | instid1(VALU_DEP_4)
	v_dual_mov_b32 v83, v69 :: v_dual_and_b32 v68, 0x60, v0
	v_dual_mov_b32 v78, v69 :: v_dual_mov_b32 v79, v69
	v_dual_mov_b32 v80, v69 :: v_dual_mov_b32 v81, v69
	;; [unrolled: 1-line block ×3, first 2 shown]
	v_cmpx_ne_u64_e32 0x60, v[68:69]
	s_cbranch_execz .LBB53_31
; %bb.28:
	v_lshrrev_b32_e32 v2, 5, v0
	v_dual_mov_b32 v77, 0 :: v_dual_mov_b32 v82, 0
	v_dual_mov_b32 v81, 0 :: v_dual_mov_b32 v80, 0
	s_delay_alu instid0(VALU_DEP_3) | instskip(SKIP_2) | instid1(VALU_DEP_3)
	v_dual_mov_b32 v79, 0 :: v_dual_add_nc_u32 v4, 1, v2
	v_lshlrev_b64_e32 v[2:3], 3, v[64:65]
	v_dual_mov_b32 v78, 0 :: v_dual_mov_b32 v83, 0
	v_dual_mov_b32 v69, 0 :: v_dual_and_b32 v4, 3, v4
	s_delay_alu instid0(VALU_DEP_3) | instskip(SKIP_1) | instid1(VALU_DEP_4)
	v_add_co_u32 v2, vcc_lo, s8, v2
	s_wait_alu 0xfffd
	v_add_co_ci_u32_e64 v3, null, s9, v3, vcc_lo
	s_delay_alu instid0(VALU_DEP_3)
	v_sub_co_u32 v4, s6, 0, v4
	s_wait_alu 0xf1ff
	v_sub_co_ci_u32_e64 v5, null, 0, 0, s6
	s_mov_b32 s6, 0
.LBB53_29:                              ; =>This Inner Loop Header: Depth=1
	global_load_b64 v[18:19], v[2:3], off
	s_clause 0x2
	global_load_b128 v[6:9], v[70:71], off offset:32
	global_load_b128 v[10:13], v[70:71], off offset:16
	global_load_b128 v[14:17], v[70:71], off
	s_wait_loadcnt 0x3
	v_sub_co_u32 v18, vcc_lo, v18, v62
	s_wait_alu 0xfffd
	v_sub_co_ci_u32_e64 v19, null, v19, v63, vcc_lo
	s_delay_alu instid0(VALU_DEP_1) | instskip(SKIP_1) | instid1(VALU_DEP_1)
	v_lshlrev_b64_e32 v[18:19], 5, v[18:19]
	s_wait_kmcnt 0x0
	v_add_co_u32 v22, vcc_lo, s4, v18
	s_wait_alu 0xfffd
	s_delay_alu instid0(VALU_DEP_2)
	v_add_co_ci_u32_e64 v23, null, s5, v19, vcc_lo
	s_clause 0x1
	global_load_b128 v[18:21], v[22:23], off
	global_load_b128 v[22:25], v[22:23], off offset:16
	s_clause 0x4
	global_load_b128 v[26:29], v[70:71], off offset:48
	global_load_b128 v[30:33], v[70:71], off offset:64
	;; [unrolled: 1-line block ×5, first 2 shown]
	v_add_co_u32 v70, vcc_lo, 0x1000, v70
	s_wait_alu 0xfffd
	v_add_co_ci_u32_e64 v71, null, 0, v71, vcc_lo
	v_add_co_u32 v64, vcc_lo, v64, 32
	s_wait_alu 0xfffd
	v_add_co_ci_u32_e64 v65, null, 0, v65, vcc_lo
	;; [unrolled: 3-line block ×4, first 2 shown]
	s_delay_alu instid0(VALU_DEP_3)
	v_cmp_eq_u64_e32 vcc_lo, 0, v[4:5]
	s_wait_alu 0xfffe
	s_or_b32 s6, vcc_lo, s6
	s_wait_loadcnt 0x6
	v_fmac_f32_e32 v78, v13, v18
	v_fmac_f32_e32 v77, v15, v18
	;; [unrolled: 1-line block ×4, first 2 shown]
	s_delay_alu instid0(VALU_DEP_4) | instskip(SKIP_3) | instid1(VALU_DEP_3)
	v_dual_fmac_f32 v81, v10, v18 :: v_dual_fmac_f32 v78, v12, v19
	v_fmac_f32_e32 v83, v16, v18
	v_dual_fmac_f32 v80, v12, v18 :: v_dual_fmac_f32 v77, v14, v19
	s_wait_loadcnt 0x4
	v_dual_fmac_f32 v78, v29, v20 :: v_dual_fmac_f32 v79, v11, v18
	s_delay_alu instid0(VALU_DEP_3) | instskip(NEXT) | instid1(VALU_DEP_2)
	v_fma_f32 v14, -v17, v19, v83
	v_dual_fmac_f32 v78, v28, v21 :: v_dual_fmac_f32 v79, v10, v19
	v_fma_f32 v10, -v13, v19, v80
	s_delay_alu instid0(VALU_DEP_3)
	v_fmac_f32_e32 v14, v8, v20
	v_fmac_f32_e32 v69, v16, v19
	v_fma_f32 v15, -v15, v19, v82
	s_wait_loadcnt 0x2
	v_fmac_f32_e32 v78, v37, v22
	v_fmac_f32_e32 v10, v28, v20
	v_fma_f32 v11, -v11, v19, v81
	v_fmac_f32_e32 v69, v9, v20
	s_delay_alu instid0(VALU_DEP_4) | instskip(NEXT) | instid1(VALU_DEP_3)
	v_dual_fmac_f32 v15, v6, v20 :: v_dual_fmac_f32 v78, v36, v23
	v_fmac_f32_e32 v11, v26, v20
	s_wait_loadcnt 0x0
	s_delay_alu instid0(VALU_DEP_2) | instskip(SKIP_1) | instid1(VALU_DEP_3)
	v_dual_fmac_f32 v69, v8, v21 :: v_dual_fmac_f32 v78, v45, v24
	v_fmac_f32_e32 v79, v27, v20
	v_fma_f32 v8, -v27, v21, v11
	s_delay_alu instid0(VALU_DEP_3) | instskip(NEXT) | instid1(VALU_DEP_3)
	v_dual_fmac_f32 v77, v7, v20 :: v_dual_fmac_f32 v78, v44, v25
	v_fmac_f32_e32 v79, v26, v21
	s_delay_alu instid0(VALU_DEP_3) | instskip(NEXT) | instid1(VALU_DEP_3)
	v_fmac_f32_e32 v8, v34, v22
	v_fmac_f32_e32 v77, v6, v21
	v_fma_f32 v6, -v9, v21, v14
	v_fma_f32 v9, -v29, v21, v10
	v_fmac_f32_e32 v79, v35, v22
	v_fma_f32 v8, -v35, v23, v8
	s_delay_alu instid0(VALU_DEP_4) | instskip(SKIP_1) | instid1(VALU_DEP_3)
	v_fmac_f32_e32 v6, v32, v22
	v_fma_f32 v7, -v7, v21, v15
	v_dual_fmac_f32 v9, v36, v22 :: v_dual_fmac_f32 v8, v42, v24
	v_fmac_f32_e32 v69, v33, v22
	s_delay_alu instid0(VALU_DEP_4) | instskip(NEXT) | instid1(VALU_DEP_4)
	v_fma_f32 v6, -v33, v23, v6
	v_fmac_f32_e32 v7, v30, v22
	s_delay_alu instid0(VALU_DEP_4)
	v_fma_f32 v9, -v37, v23, v9
	v_fma_f32 v81, -v43, v25, v8
	v_fmac_f32_e32 v69, v32, v23
	v_dual_fmac_f32 v6, v40, v24 :: v_dual_fmac_f32 v77, v31, v22
	v_fma_f32 v7, -v31, v23, v7
	v_fmac_f32_e32 v9, v44, v24
	s_delay_alu instid0(VALU_DEP_4)
	v_fmac_f32_e32 v69, v41, v24
	v_fmac_f32_e32 v79, v34, v23
	;; [unrolled: 1-line block ×4, first 2 shown]
	v_fma_f32 v83, -v41, v25, v6
	v_fmac_f32_e32 v69, v40, v25
	v_fmac_f32_e32 v79, v43, v24
	;; [unrolled: 1-line block ×3, first 2 shown]
	v_fma_f32 v82, -v39, v25, v7
	v_fma_f32 v80, -v45, v25, v9
	s_delay_alu instid0(VALU_DEP_4) | instskip(NEXT) | instid1(VALU_DEP_4)
	v_fmac_f32_e32 v79, v42, v25
	v_fmac_f32_e32 v77, v38, v25
	s_wait_alu 0xfffe
	s_and_not1_b32 exec_lo, exec_lo, s6
	s_cbranch_execnz .LBB53_29
; %bb.30:
	s_or_b32 exec_lo, exec_lo, s6
.LBB53_31:
	s_wait_alu 0xfffe
	s_or_b32 exec_lo, exec_lo, s2
	s_delay_alu instid0(SALU_CYCLE_1)
	s_mov_b32 s2, exec_lo
	v_cmpx_lt_u64_e32 0x5f, v[0:1]
	s_cbranch_execz .LBB53_35
; %bb.32:
	v_lshlrev_b64_e32 v[0:1], 3, v[64:65]
	s_mov_b32 s6, 0
	s_delay_alu instid0(VALU_DEP_1) | instskip(SKIP_1) | instid1(VALU_DEP_2)
	v_add_co_u32 v0, vcc_lo, s8, v0
	s_wait_alu 0xfffd
	v_add_co_ci_u32_e64 v1, null, s9, v1, vcc_lo
	s_delay_alu instid0(VALU_DEP_2) | instskip(SKIP_1) | instid1(VALU_DEP_2)
	v_add_co_u32 v72, vcc_lo, 0x200, v0
	s_wait_alu 0xfffd
	v_add_co_ci_u32_e64 v73, null, 0, v1, vcc_lo
.LBB53_33:                              ; =>This Inner Loop Header: Depth=1
	global_load_b64 v[74:75], v[72:73], off offset:-512
	s_clause 0xd
	global_load_b128 v[16:19], v[70:71], off offset:48
	global_load_b128 v[44:47], v[70:71], off offset:32
	;; [unrolled: 1-line block ×3, first 2 shown]
	global_load_b128 v[52:55], v[70:71], off
	global_load_b128 v[28:31], v[70:71], off offset:112
	global_load_b128 v[32:35], v[70:71], off offset:96
	;; [unrolled: 1-line block ×10, first 2 shown]
	s_clause 0x2
	global_load_b64 v[140:141], v[72:73], off offset:-256
	global_load_b64 v[142:143], v[72:73], off
	global_load_b64 v[144:145], v[72:73], off offset:256
	s_clause 0xb
	global_load_b128 v[84:87], v[70:71], off offset:4176
	global_load_b128 v[88:91], v[70:71], off offset:4160
	;; [unrolled: 1-line block ×12, first 2 shown]
	s_wait_loadcnt 0x1d
	v_sub_co_u32 v74, vcc_lo, v74, v62
	s_wait_alu 0xfffd
	v_sub_co_ci_u32_e64 v75, null, v75, v63, vcc_lo
	s_delay_alu instid0(VALU_DEP_1) | instskip(SKIP_1) | instid1(VALU_DEP_1)
	v_lshlrev_b64_e32 v[74:75], 5, v[74:75]
	s_wait_kmcnt 0x0
	v_add_co_u32 v74, vcc_lo, s4, v74
	s_wait_alu 0xfffd
	s_delay_alu instid0(VALU_DEP_2)
	v_add_co_ci_u32_e64 v75, null, s5, v75, vcc_lo
	s_clause 0x1
	global_load_b128 v[132:135], v[74:75], off
	global_load_b128 v[136:139], v[74:75], off offset:16
	s_wait_loadcnt 0x1
	v_fmac_f32_e32 v69, v55, v132
	v_fmac_f32_e32 v82, v52, v132
	;; [unrolled: 1-line block ×6, first 2 shown]
	v_fma_f32 v68, -v53, v133, v82
	v_fmac_f32_e32 v83, v54, v132
	v_fmac_f32_e32 v80, v50, v132
	;; [unrolled: 1-line block ×5, first 2 shown]
	v_fma_f32 v74, -v55, v133, v83
	v_fma_f32 v146, -v51, v133, v80
	v_fmac_f32_e32 v81, v48, v132
	global_load_b128 v[52:55], v[70:71], off offset:12304
	v_fma_f32 v68, -v45, v135, v68
	v_fmac_f32_e32 v74, v46, v134
	v_fmac_f32_e32 v146, v18, v134
	v_fma_f32 v132, -v49, v133, v81
	s_wait_loadcnt 0x1
	v_dual_fmac_f32 v69, v47, v134 :: v_dual_fmac_f32 v68, v40, v136
	v_fma_f32 v147, -v47, v135, v74
	v_sub_co_u32 v74, vcc_lo, v140, v62
	s_wait_alu 0xfffd
	v_sub_co_ci_u32_e64 v75, null, v141, v63, vcc_lo
	v_sub_co_u32 v80, vcc_lo, v142, v62
	s_wait_alu 0xfffd
	v_sub_co_ci_u32_e64 v81, null, v143, v63, vcc_lo
	;; [unrolled: 3-line block ×3, first 2 shown]
	v_lshlrev_b64_e32 v[74:75], 5, v[74:75]
	v_lshlrev_b64_e32 v[80:81], 5, v[80:81]
	v_dual_fmac_f32 v69, v46, v135 :: v_dual_fmac_f32 v78, v19, v134
	v_fmac_f32_e32 v132, v16, v134
	v_fmac_f32_e32 v79, v48, v133
	v_lshlrev_b64_e32 v[82:83], 5, v[82:83]
	v_add_co_u32 v74, vcc_lo, s4, v74
	v_dual_fmac_f32 v77, v45, v134 :: v_dual_fmac_f32 v78, v18, v135
	s_wait_alu 0xfffd
	v_add_co_ci_u32_e64 v75, null, s5, v75, vcc_lo
	v_add_co_u32 v140, vcc_lo, s4, v80
	v_fma_f32 v144, -v17, v135, v132
	v_fmac_f32_e32 v79, v17, v134
	s_wait_alu 0xfffd
	v_add_co_ci_u32_e64 v141, null, s5, v81, vcc_lo
	v_add_co_u32 v142, vcc_lo, s4, v82
	global_load_b128 v[48:51], v[70:71], off offset:12288
	v_dual_fmac_f32 v77, v44, v135 :: v_dual_fmac_f32 v78, v39, v136
	global_load_b128 v[44:47], v[70:71], off offset:12368
	s_wait_alu 0xfffd
	v_add_co_ci_u32_e64 v143, null, s5, v83, vcc_lo
	v_fma_f32 v145, -v19, v135, v146
	v_fmac_f32_e32 v144, v36, v136
	v_dual_fmac_f32 v79, v16, v135 :: v_dual_fmac_f32 v78, v38, v137
	s_clause 0x2
	global_load_b128 v[16:19], v[74:75], off
	global_load_b128 v[80:83], v[74:75], off offset:16
	global_load_b128 v[132:135], v[140:141], off
	v_fmac_f32_e32 v147, v42, v136
	v_fma_f32 v68, -v41, v137, v68
	v_dual_fmac_f32 v77, v41, v136 :: v_dual_fmac_f32 v78, v31, v138
	v_fmac_f32_e32 v79, v37, v136
	s_delay_alu instid0(VALU_DEP_4)
	v_fma_f32 v74, -v43, v137, v147
	v_fmac_f32_e32 v69, v43, v136
	v_fma_f32 v75, -v37, v137, v144
	v_fmac_f32_e32 v68, v32, v138
	v_fmac_f32_e32 v78, v30, v139
	;; [unrolled: 1-line block ×3, first 2 shown]
	s_delay_alu instid0(VALU_DEP_4) | instskip(NEXT) | instid1(VALU_DEP_4)
	v_fmac_f32_e32 v75, v28, v138
	v_fma_f32 v68, -v33, v139, v68
	v_fmac_f32_e32 v69, v42, v137
	s_delay_alu instid0(VALU_DEP_4) | instskip(SKIP_1) | instid1(VALU_DEP_1)
	v_fma_f32 v74, -v35, v139, v74
	s_wait_loadcnt 0x2
	v_dual_fmac_f32 v79, v36, v137 :: v_dual_fmac_f32 v74, v14, v16
	v_fmac_f32_e32 v78, v11, v16
	v_dual_fmac_f32 v68, v12, v16 :: v_dual_fmac_f32 v69, v35, v138
	v_fma_f32 v75, -v29, v139, v75
	s_delay_alu instid0(VALU_DEP_3) | instskip(SKIP_1) | instid1(VALU_DEP_2)
	v_fmac_f32_e32 v78, v10, v17
	v_fmac_f32_e32 v145, v38, v136
	v_dual_fmac_f32 v75, v8, v16 :: v_dual_fmac_f32 v78, v3, v18
	s_delay_alu instid0(VALU_DEP_2)
	v_fma_f32 v136, -v39, v137, v145
	v_fmac_f32_e32 v77, v40, v137
	s_clause 0x1
	global_load_b128 v[40:43], v[140:141], off offset:16
	global_load_b128 v[36:39], v[142:143], off
	v_dual_fmac_f32 v79, v29, v138 :: v_dual_fmac_f32 v78, v2, v19
	v_fmac_f32_e32 v136, v30, v138
	v_fmac_f32_e32 v69, v34, v139
	s_wait_loadcnt 0x3
	s_delay_alu instid0(VALU_DEP_3) | instskip(NEXT) | instid1(VALU_DEP_3)
	v_dual_fmac_f32 v79, v28, v139 :: v_dual_fmac_f32 v78, v87, v80
	v_fma_f32 v144, -v31, v139, v136
	s_delay_alu instid0(VALU_DEP_2) | instskip(NEXT) | instid1(VALU_DEP_1)
	v_dual_fmac_f32 v77, v33, v138 :: v_dual_fmac_f32 v78, v86, v81
	v_dual_fmac_f32 v144, v10, v16 :: v_dual_fmac_f32 v77, v32, v139
	global_load_b128 v[32:35], v[70:71], off offset:12352
	global_load_b128 v[140:143], v[142:143], off offset:16
	s_clause 0x1
	global_load_b128 v[28:31], v[70:71], off offset:12384
	global_load_b128 v[136:139], v[70:71], off offset:12400
	v_dual_fmac_f32 v79, v9, v16 :: v_dual_fmac_f32 v78, v23, v82
	v_fmac_f32_e32 v77, v13, v16
	v_fma_f32 v13, -v13, v17, v68
	v_fma_f32 v9, -v9, v17, v75
	s_delay_alu instid0(VALU_DEP_4) | instskip(SKIP_1) | instid1(VALU_DEP_4)
	v_fmac_f32_e32 v79, v8, v17
	v_fma_f32 v8, -v11, v17, v144
	v_dual_fmac_f32 v78, v22, v83 :: v_dual_fmac_f32 v13, v4, v18
	s_delay_alu instid0(VALU_DEP_4) | instskip(NEXT) | instid1(VALU_DEP_4)
	v_fmac_f32_e32 v9, v0, v18
	v_fmac_f32_e32 v79, v1, v18
	s_delay_alu instid0(VALU_DEP_4) | instskip(SKIP_2) | instid1(VALU_DEP_3)
	v_dual_fmac_f32 v8, v2, v18 :: v_dual_fmac_f32 v77, v12, v17
	v_fma_f32 v12, -v15, v17, v74
	s_wait_loadcnt 0x6
	v_dual_fmac_f32 v78, v103, v132 :: v_dual_fmac_f32 v79, v0, v19
	s_delay_alu instid0(VALU_DEP_3) | instskip(SKIP_3) | instid1(VALU_DEP_4)
	v_fma_f32 v0, -v3, v19, v8
	v_fma_f32 v1, -v1, v19, v9
	v_fmac_f32_e32 v12, v6, v18
	v_add_co_u32 v70, vcc_lo, 0x4000, v70
	v_fmac_f32_e32 v0, v86, v80
	s_wait_alu 0xfffd
	v_add_co_ci_u32_e64 v71, null, 0, v71, vcc_lo
	v_add_co_u32 v64, vcc_lo, 0x80, v64
	s_delay_alu instid0(VALU_DEP_3) | instskip(SKIP_3) | instid1(VALU_DEP_3)
	v_fma_f32 v0, -v87, v81, v0
	s_wait_alu 0xfffd
	v_add_co_ci_u32_e64 v65, null, 0, v65, vcc_lo
	v_add_co_u32 v72, vcc_lo, 0x400, v72
	v_fmac_f32_e32 v0, v22, v82
	v_fmac_f32_e32 v78, v102, v133
	s_wait_alu 0xfffd
	v_add_co_ci_u32_e64 v73, null, 0, v73, vcc_lo
	v_cmp_ge_i64_e32 vcc_lo, v[64:65], v[66:67]
	v_fma_f32 v0, -v23, v83, v0
	v_fmac_f32_e32 v77, v5, v18
	v_fma_f32 v5, -v5, v19, v13
	v_fmac_f32_e32 v78, v95, v134
	s_delay_alu instid0(VALU_DEP_4) | instskip(SKIP_2) | instid1(VALU_DEP_2)
	v_fmac_f32_e32 v0, v102, v132
	s_wait_alu 0xfffe
	s_or_b32 s6, vcc_lo, s6
	v_dual_fmac_f32 v5, v88, v80 :: v_dual_fmac_f32 v78, v94, v135
	s_delay_alu instid0(VALU_DEP_2) | instskip(SKIP_1) | instid1(VALU_DEP_3)
	v_fma_f32 v0, -v103, v133, v0
	v_fmac_f32_e32 v77, v4, v19
	v_fma_f32 v2, -v89, v81, v5
	v_fmac_f32_e32 v69, v15, v16
	;; [unrolled: 2-line block ×3, first 2 shown]
	s_delay_alu instid0(VALU_DEP_4) | instskip(NEXT) | instid1(VALU_DEP_3)
	v_fmac_f32_e32 v2, v24, v82
	v_fmac_f32_e32 v4, v90, v80
	s_delay_alu instid0(VALU_DEP_3) | instskip(NEXT) | instid1(VALU_DEP_3)
	v_fma_f32 v0, -v95, v135, v0
	v_fma_f32 v2, -v25, v83, v2
	v_fmac_f32_e32 v69, v14, v17
	s_delay_alu instid0(VALU_DEP_4) | instskip(NEXT) | instid1(VALU_DEP_2)
	v_fma_f32 v3, -v91, v81, v4
	v_dual_fmac_f32 v2, v104, v132 :: v_dual_fmac_f32 v69, v7, v18
	s_delay_alu instid0(VALU_DEP_1) | instskip(NEXT) | instid1(VALU_DEP_1)
	v_fma_f32 v2, -v105, v133, v2
	v_dual_fmac_f32 v69, v6, v19 :: v_dual_fmac_f32 v2, v96, v134
	s_delay_alu instid0(VALU_DEP_1) | instskip(SKIP_1) | instid1(VALU_DEP_1)
	v_fma_f32 v2, -v97, v135, v2
	s_wait_loadcnt 0x5
	v_dual_fmac_f32 v3, v26, v82 :: v_dual_fmac_f32 v2, v120, v40
	v_fmac_f32_e32 v0, v118, v40
	v_fmac_f32_e32 v78, v119, v40
	s_delay_alu instid0(VALU_DEP_3) | instskip(NEXT) | instid1(VALU_DEP_4)
	v_fma_f32 v3, -v27, v83, v3
	v_fma_f32 v2, -v121, v41, v2
	v_fmac_f32_e32 v77, v89, v80
	v_fma_f32 v0, -v119, v41, v0
	v_dual_fmac_f32 v69, v91, v80 :: v_dual_fmac_f32 v78, v118, v41
	s_delay_alu instid0(VALU_DEP_4) | instskip(NEXT) | instid1(VALU_DEP_3)
	v_fmac_f32_e32 v2, v112, v42
	v_dual_fmac_f32 v77, v88, v81 :: v_dual_fmac_f32 v0, v110, v42
	s_delay_alu instid0(VALU_DEP_3) | instskip(NEXT) | instid1(VALU_DEP_4)
	v_fmac_f32_e32 v69, v90, v81
	v_dual_fmac_f32 v1, v84, v80 :: v_dual_fmac_f32 v78, v111, v42
	v_fmac_f32_e32 v79, v85, v80
	s_delay_alu instid0(VALU_DEP_4) | instskip(SKIP_1) | instid1(VALU_DEP_4)
	v_fma_f32 v0, -v111, v43, v0
	v_fma_f32 v2, -v113, v43, v2
	;; [unrolled: 1-line block ×3, first 2 shown]
	s_delay_alu instid0(VALU_DEP_4) | instskip(SKIP_3) | instid1(VALU_DEP_3)
	v_dual_fmac_f32 v78, v110, v43 :: v_dual_fmac_f32 v79, v84, v81
	s_wait_loadcnt 0x4
	v_dual_fmac_f32 v0, v54, v36 :: v_dual_fmac_f32 v77, v25, v82
	v_fmac_f32_e32 v2, v48, v36
	v_dual_fmac_f32 v1, v20, v82 :: v_dual_fmac_f32 v78, v55, v36
	v_fmac_f32_e32 v69, v27, v82
	s_delay_alu instid0(VALU_DEP_4) | instskip(SKIP_4) | instid1(VALU_DEP_4)
	v_fma_f32 v0, -v55, v37, v0
	v_fmac_f32_e32 v77, v24, v83
	v_fma_f32 v2, -v49, v37, v2
	v_fmac_f32_e32 v78, v54, v37
	v_fmac_f32_e32 v69, v26, v83
	v_dual_fmac_f32 v0, v126, v38 :: v_dual_fmac_f32 v77, v105, v132
	s_delay_alu instid0(VALU_DEP_4) | instskip(NEXT) | instid1(VALU_DEP_4)
	v_fmac_f32_e32 v2, v128, v38
	v_fmac_f32_e32 v78, v127, v38
	;; [unrolled: 1-line block ×3, first 2 shown]
	s_delay_alu instid0(VALU_DEP_4)
	v_fma_f32 v0, -v127, v39, v0
	v_fma_f32 v1, -v21, v83, v1
	;; [unrolled: 1-line block ×3, first 2 shown]
	v_dual_fmac_f32 v78, v126, v39 :: v_dual_fmac_f32 v77, v104, v133
	s_wait_loadcnt 0x2
	v_dual_fmac_f32 v79, v20, v83 :: v_dual_fmac_f32 v0, v46, v140
	s_delay_alu instid0(VALU_DEP_3) | instskip(NEXT) | instid1(VALU_DEP_3)
	v_fmac_f32_e32 v2, v32, v140
	v_fmac_f32_e32 v78, v47, v140
	;; [unrolled: 1-line block ×4, first 2 shown]
	v_fma_f32 v0, -v47, v141, v0
	s_delay_alu instid0(VALU_DEP_4) | instskip(NEXT) | instid1(VALU_DEP_4)
	v_dual_fmac_f32 v1, v100, v132 :: v_dual_fmac_f32 v78, v46, v141
	v_fmac_f32_e32 v69, v106, v133
	v_fmac_f32_e32 v79, v101, v132
	v_fma_f32 v2, -v33, v141, v2
	v_fmac_f32_e32 v3, v106, v132
	s_wait_loadcnt 0x0
	v_fmac_f32_e32 v0, v138, v142
	v_fma_f32 v1, -v101, v133, v1
	v_dual_fmac_f32 v78, v139, v142 :: v_dual_fmac_f32 v79, v100, v133
	v_fmac_f32_e32 v2, v28, v142
	v_fma_f32 v3, -v107, v133, v3
	v_fmac_f32_e32 v69, v99, v134
	s_delay_alu instid0(VALU_DEP_4) | instskip(SKIP_1) | instid1(VALU_DEP_4)
	v_dual_fmac_f32 v1, v92, v134 :: v_dual_fmac_f32 v78, v138, v143
	v_fmac_f32_e32 v79, v93, v134
	v_fmac_f32_e32 v3, v98, v134
	v_fmac_f32_e32 v77, v96, v135
	v_fmac_f32_e32 v69, v98, v135
	v_fma_f32 v1, -v93, v135, v1
	v_fmac_f32_e32 v79, v92, v135
	v_fma_f32 v3, -v99, v135, v3
	v_fmac_f32_e32 v77, v121, v40
	v_fmac_f32_e32 v69, v123, v40
	v_fmac_f32_e32 v1, v116, v40
	v_fmac_f32_e32 v79, v117, v40
	v_fmac_f32_e32 v3, v122, v40
	v_fmac_f32_e32 v77, v120, v41
	v_fmac_f32_e32 v69, v122, v41
	v_fma_f32 v1, -v117, v41, v1
	v_fmac_f32_e32 v79, v116, v41
	v_fma_f32 v3, -v123, v41, v3
	v_fmac_f32_e32 v77, v113, v42
	v_fmac_f32_e32 v69, v115, v42
	v_fmac_f32_e32 v1, v108, v42
	;; [unrolled: 10-line block ×6, first 2 shown]
	v_fmac_f32_e32 v79, v137, v142
	v_fmac_f32_e32 v3, v30, v142
	v_fma_f32 v82, -v29, v143, v2
	v_fmac_f32_e32 v77, v28, v143
	v_fmac_f32_e32 v69, v30, v143
	v_fma_f32 v81, -v137, v143, v1
	v_fma_f32 v83, -v31, v143, v3
	v_fmac_f32_e32 v79, v136, v143
	v_fma_f32 v80, -v139, v143, v0
	s_wait_alu 0xfffe
	s_and_not1_b32 exec_lo, exec_lo, s6
	s_cbranch_execnz .LBB53_33
; %bb.34:
	s_or_b32 exec_lo, exec_lo, s6
.LBB53_35:
	s_wait_alu 0xfffe
	s_or_b32 exec_lo, exec_lo, s2
.LBB53_36:
	s_wait_alu 0xfffe
	s_or_b32 exec_lo, exec_lo, s3
.LBB53_37:
	v_mbcnt_lo_u32_b32 v0, -1, 0
	s_delay_alu instid0(VALU_DEP_1) | instskip(SKIP_2) | instid1(VALU_DEP_3)
	v_xor_b32_e32 v1, 16, v0
	v_xor_b32_e32 v9, 8, v0
	;; [unrolled: 1-line block ×3, first 2 shown]
	v_cmp_gt_i32_e32 vcc_lo, 32, v1
	s_wait_alu 0xfffd
	v_cndmask_b32_e32 v1, v0, v1, vcc_lo
	v_cmp_gt_i32_e32 vcc_lo, 32, v9
	s_delay_alu instid0(VALU_DEP_2)
	v_lshlrev_b32_e32 v1, 2, v1
	ds_bpermute_b32 v4, v1, v83
	s_wait_dscnt 0x0
	v_add_f32_e32 v4, v83, v4
	ds_bpermute_b32 v2, v1, v82
	ds_bpermute_b32 v6, v1, v81
	;; [unrolled: 1-line block ×3, first 2 shown]
	s_wait_alu 0xfffd
	v_cndmask_b32_e32 v9, v0, v9, vcc_lo
	ds_bpermute_b32 v3, v1, v77
	ds_bpermute_b32 v5, v1, v69
	;; [unrolled: 1-line block ×4, first 2 shown]
	v_cmp_gt_i32_e32 vcc_lo, 32, v17
	s_wait_dscnt 0x6
	s_wait_alu 0xfffd
	v_dual_cndmask_b32 v17, v0, v17 :: v_dual_add_f32 v2, v82, v2
	s_wait_dscnt 0x5
	v_dual_add_f32 v6, v81, v6 :: v_dual_lshlrev_b32 v9, 2, v9
	s_wait_dscnt 0x4
	v_add_f32_e32 v8, v80, v8
	ds_bpermute_b32 v10, v9, v2
	s_wait_dscnt 0x4
	v_add_f32_e32 v3, v77, v3
	ds_bpermute_b32 v12, v9, v4
	ds_bpermute_b32 v14, v9, v6
	;; [unrolled: 1-line block ×3, first 2 shown]
	s_wait_dscnt 0x6
	v_add_f32_e32 v5, v69, v5
	s_wait_dscnt 0x5
	v_add_f32_e32 v7, v79, v7
	;; [unrolled: 2-line block ×4, first 2 shown]
	ds_bpermute_b32 v11, v9, v3
	s_wait_dscnt 0x3
	v_dual_add_f32 v4, v4, v12 :: v_dual_lshlrev_b32 v17, 2, v17
	ds_bpermute_b32 v13, v9, v5
	s_wait_dscnt 0x3
	v_add_f32_e32 v6, v6, v14
	ds_bpermute_b32 v15, v9, v7
	s_wait_dscnt 0x3
	v_add_f32_e32 v8, v8, v16
	;; [unrolled: 3-line block ×4, first 2 shown]
	s_wait_dscnt 0x0
	v_dual_add_f32 v4, v4, v11 :: v_dual_add_f32 v1, v1, v9
	ds_bpermute_b32 v9, v17, v2
	ds_bpermute_b32 v15, v17, v8
	v_add_f32_e32 v5, v5, v13
	ds_bpermute_b32 v13, v17, v6
	ds_bpermute_b32 v16, v17, v1
	s_wait_dscnt 0x3
	v_add_f32_e32 v2, v2, v9
	ds_bpermute_b32 v10, v17, v3
	s_wait_dscnt 0x3
	v_add_f32_e32 v8, v8, v15
	;; [unrolled: 3-line block ×3, first 2 shown]
	ds_bpermute_b32 v14, v17, v7
	v_xor_b32_e32 v17, 2, v0
	s_wait_dscnt 0x3
	v_add_f32_e32 v9, v1, v16
	s_delay_alu instid0(VALU_DEP_2) | instskip(SKIP_2) | instid1(VALU_DEP_1)
	v_cmp_gt_i32_e32 vcc_lo, 32, v17
	s_wait_alu 0xfffd
	v_cndmask_b32_e32 v17, v0, v17, vcc_lo
	v_lshlrev_b32_e32 v17, 2, v17
	s_wait_dscnt 0x2
	v_add_f32_e32 v3, v3, v10
	ds_bpermute_b32 v1, v17, v2
	s_wait_dscnt 0x2
	v_add_f32_e32 v5, v5, v12
	ds_bpermute_b32 v13, v17, v6
	;; [unrolled: 3-line block ×3, first 2 shown]
	ds_bpermute_b32 v11, v17, v4
	ds_bpermute_b32 v12, v17, v5
	;; [unrolled: 1-line block ×5, first 2 shown]
	v_xor_b32_e32 v17, 1, v0
	s_delay_alu instid0(VALU_DEP_1) | instskip(SKIP_4) | instid1(VALU_DEP_2)
	v_cmp_gt_i32_e32 vcc_lo, 32, v17
	s_wait_alu 0xfffd
	v_cndmask_b32_e32 v0, v0, v17, vcc_lo
	v_cmp_eq_u32_e32 vcc_lo, 31, v76
	s_wait_dscnt 0x7
	v_dual_add_f32 v0, v2, v1 :: v_dual_lshlrev_b32 v17, 2, v0
	s_wait_dscnt 0x4
	v_dual_add_f32 v1, v3, v10 :: v_dual_add_f32 v2, v4, v11
	s_wait_dscnt 0x3
	v_dual_add_f32 v3, v5, v12 :: v_dual_add_f32 v4, v6, v13
	;; [unrolled: 2-line block ×3, first 2 shown]
	s_wait_dscnt 0x0
	v_add_f32_e32 v7, v9, v16
	ds_bpermute_b32 v8, v17, v0
	ds_bpermute_b32 v9, v17, v1
	;; [unrolled: 1-line block ×8, first 2 shown]
	s_and_b32 exec_lo, exec_lo, vcc_lo
	s_cbranch_execz .LBB53_8
; %bb.38:
	s_load_b64 s[2:3], s[0:1], 0x58
	s_wait_dscnt 0x7
	v_add_f32_e32 v8, v0, v8
	s_wait_dscnt 0x6
	v_add_f32_e32 v0, v1, v9
	s_wait_dscnt 0x4
	v_dual_add_f32 v10, v2, v10 :: v_dual_add_f32 v1, v3, v11
	s_wait_dscnt 0x2
	v_dual_add_f32 v11, v4, v12 :: v_dual_add_f32 v2, v5, v13
	v_mul_f32_e32 v5, v58, v0
	s_wait_dscnt 0x0
	v_add_f32_e32 v3, v7, v15
	v_mul_f32_e64 v4, v0, -v59
	v_add_f32_e32 v12, v6, v14
	v_mul_f32_e64 v6, v1, -v59
	v_mul_f32_e32 v7, v58, v1
	v_mul_f32_e64 v0, v2, -v59
	v_mul_f32_e32 v1, v58, v2
	;; [unrolled: 2-line block ×3, first 2 shown]
	v_cmp_eq_f32_e32 vcc_lo, 0, v56
	v_cmp_eq_f32_e64 s0, 0, v57
	v_dual_fmac_f32 v4, v58, v8 :: v_dual_fmac_f32 v7, v59, v10
	v_fmac_f32_e32 v5, v59, v8
	v_lshlrev_b64_e32 v[8:9], 5, v[60:61]
	v_dual_fmac_f32 v6, v58, v10 :: v_dual_fmac_f32 v1, v59, v11
	v_dual_fmac_f32 v0, v58, v11 :: v_dual_fmac_f32 v3, v59, v12
	v_fmac_f32_e32 v2, v58, v12
	s_and_b32 s0, vcc_lo, s0
	s_wait_alu 0xfffe
	s_and_saveexec_b32 s1, s0
	s_wait_alu 0xfffe
	s_xor_b32 s0, exec_lo, s1
	s_cbranch_execz .LBB53_40
; %bb.39:
	s_wait_kmcnt 0x0
	v_add_co_u32 v8, vcc_lo, s2, v8
	s_wait_alu 0xfffd
	v_add_co_ci_u32_e64 v9, null, s3, v9, vcc_lo
                                        ; implicit-def: $vgpr56_vgpr57
	s_clause 0x1
	global_store_b128 v[8:9], v[4:7], off
	global_store_b128 v[8:9], v[0:3], off offset:16
                                        ; implicit-def: $vgpr4
                                        ; implicit-def: $vgpr8_vgpr9
                                        ; implicit-def: $vgpr0
.LBB53_40:
	s_wait_alu 0xfffe
	s_and_not1_saveexec_b32 s0, s0
	s_cbranch_execz .LBB53_8
; %bb.41:
	s_wait_kmcnt 0x0
	v_add_co_u32 v16, vcc_lo, s2, v8
	s_wait_alu 0xfffd
	v_add_co_ci_u32_e64 v17, null, s3, v9, vcc_lo
	s_clause 0x1
	global_load_b128 v[8:11], v[16:17], off
	global_load_b128 v[12:15], v[16:17], off offset:16
	s_wait_loadcnt 0x1
	v_dual_fmac_f32 v4, v56, v8 :: v_dual_fmac_f32 v7, v57, v10
	v_dual_fmac_f32 v5, v57, v8 :: v_dual_fmac_f32 v6, v56, v10
	s_wait_loadcnt 0x0
	v_dual_fmac_f32 v0, v56, v12 :: v_dual_fmac_f32 v3, v57, v14
	v_dual_fmac_f32 v1, v57, v12 :: v_dual_fmac_f32 v2, v56, v14
	v_fma_f32 v4, -v57, v9, v4
	v_fmac_f32_e32 v5, v56, v9
	v_fma_f32 v6, -v57, v11, v6
	v_fmac_f32_e32 v7, v56, v11
	v_fma_f32 v0, -v57, v13, v0
	v_fmac_f32_e32 v1, v56, v13
	v_fma_f32 v2, -v57, v15, v2
	v_fmac_f32_e32 v3, v56, v15
	s_clause 0x1
	global_store_b128 v[16:17], v[4:7], off
	global_store_b128 v[16:17], v[0:3], off offset:16
	s_nop 0
	s_sendmsg sendmsg(MSG_DEALLOC_VGPRS)
	s_endpgm
	.section	.rodata,"a",@progbits
	.p2align	6, 0x0
	.amdhsa_kernel _ZN9rocsparseL18bsrxmvn_4x4_kernelILj128ELj32E21rocsparse_complex_numIfEllS2_S2_S2_EEvT3_20rocsparse_direction_NS_24const_host_device_scalarIT1_EES3_PKS3_PKT2_SC_S9_PKT4_PKT5_S7_PT6_21rocsparse_index_base_b
		.amdhsa_group_segment_fixed_size 0
		.amdhsa_private_segment_fixed_size 0
		.amdhsa_kernarg_size 104
		.amdhsa_user_sgpr_count 2
		.amdhsa_user_sgpr_dispatch_ptr 0
		.amdhsa_user_sgpr_queue_ptr 0
		.amdhsa_user_sgpr_kernarg_segment_ptr 1
		.amdhsa_user_sgpr_dispatch_id 0
		.amdhsa_user_sgpr_private_segment_size 0
		.amdhsa_wavefront_size32 1
		.amdhsa_uses_dynamic_stack 0
		.amdhsa_enable_private_segment 0
		.amdhsa_system_sgpr_workgroup_id_x 1
		.amdhsa_system_sgpr_workgroup_id_y 0
		.amdhsa_system_sgpr_workgroup_id_z 0
		.amdhsa_system_sgpr_workgroup_info 0
		.amdhsa_system_vgpr_workitem_id 0
		.amdhsa_next_free_vgpr 180
		.amdhsa_next_free_sgpr 12
		.amdhsa_reserve_vcc 1
		.amdhsa_float_round_mode_32 0
		.amdhsa_float_round_mode_16_64 0
		.amdhsa_float_denorm_mode_32 3
		.amdhsa_float_denorm_mode_16_64 3
		.amdhsa_fp16_overflow 0
		.amdhsa_workgroup_processor_mode 1
		.amdhsa_memory_ordered 1
		.amdhsa_forward_progress 1
		.amdhsa_inst_pref_size 70
		.amdhsa_round_robin_scheduling 0
		.amdhsa_exception_fp_ieee_invalid_op 0
		.amdhsa_exception_fp_denorm_src 0
		.amdhsa_exception_fp_ieee_div_zero 0
		.amdhsa_exception_fp_ieee_overflow 0
		.amdhsa_exception_fp_ieee_underflow 0
		.amdhsa_exception_fp_ieee_inexact 0
		.amdhsa_exception_int_div_zero 0
	.end_amdhsa_kernel
	.section	.text._ZN9rocsparseL18bsrxmvn_4x4_kernelILj128ELj32E21rocsparse_complex_numIfEllS2_S2_S2_EEvT3_20rocsparse_direction_NS_24const_host_device_scalarIT1_EES3_PKS3_PKT2_SC_S9_PKT4_PKT5_S7_PT6_21rocsparse_index_base_b,"axG",@progbits,_ZN9rocsparseL18bsrxmvn_4x4_kernelILj128ELj32E21rocsparse_complex_numIfEllS2_S2_S2_EEvT3_20rocsparse_direction_NS_24const_host_device_scalarIT1_EES3_PKS3_PKT2_SC_S9_PKT4_PKT5_S7_PT6_21rocsparse_index_base_b,comdat
.Lfunc_end53:
	.size	_ZN9rocsparseL18bsrxmvn_4x4_kernelILj128ELj32E21rocsparse_complex_numIfEllS2_S2_S2_EEvT3_20rocsparse_direction_NS_24const_host_device_scalarIT1_EES3_PKS3_PKT2_SC_S9_PKT4_PKT5_S7_PT6_21rocsparse_index_base_b, .Lfunc_end53-_ZN9rocsparseL18bsrxmvn_4x4_kernelILj128ELj32E21rocsparse_complex_numIfEllS2_S2_S2_EEvT3_20rocsparse_direction_NS_24const_host_device_scalarIT1_EES3_PKS3_PKT2_SC_S9_PKT4_PKT5_S7_PT6_21rocsparse_index_base_b
                                        ; -- End function
	.set _ZN9rocsparseL18bsrxmvn_4x4_kernelILj128ELj32E21rocsparse_complex_numIfEllS2_S2_S2_EEvT3_20rocsparse_direction_NS_24const_host_device_scalarIT1_EES3_PKS3_PKT2_SC_S9_PKT4_PKT5_S7_PT6_21rocsparse_index_base_b.num_vgpr, 180
	.set _ZN9rocsparseL18bsrxmvn_4x4_kernelILj128ELj32E21rocsparse_complex_numIfEllS2_S2_S2_EEvT3_20rocsparse_direction_NS_24const_host_device_scalarIT1_EES3_PKS3_PKT2_SC_S9_PKT4_PKT5_S7_PT6_21rocsparse_index_base_b.num_agpr, 0
	.set _ZN9rocsparseL18bsrxmvn_4x4_kernelILj128ELj32E21rocsparse_complex_numIfEllS2_S2_S2_EEvT3_20rocsparse_direction_NS_24const_host_device_scalarIT1_EES3_PKS3_PKT2_SC_S9_PKT4_PKT5_S7_PT6_21rocsparse_index_base_b.numbered_sgpr, 12
	.set _ZN9rocsparseL18bsrxmvn_4x4_kernelILj128ELj32E21rocsparse_complex_numIfEllS2_S2_S2_EEvT3_20rocsparse_direction_NS_24const_host_device_scalarIT1_EES3_PKS3_PKT2_SC_S9_PKT4_PKT5_S7_PT6_21rocsparse_index_base_b.num_named_barrier, 0
	.set _ZN9rocsparseL18bsrxmvn_4x4_kernelILj128ELj32E21rocsparse_complex_numIfEllS2_S2_S2_EEvT3_20rocsparse_direction_NS_24const_host_device_scalarIT1_EES3_PKS3_PKT2_SC_S9_PKT4_PKT5_S7_PT6_21rocsparse_index_base_b.private_seg_size, 0
	.set _ZN9rocsparseL18bsrxmvn_4x4_kernelILj128ELj32E21rocsparse_complex_numIfEllS2_S2_S2_EEvT3_20rocsparse_direction_NS_24const_host_device_scalarIT1_EES3_PKS3_PKT2_SC_S9_PKT4_PKT5_S7_PT6_21rocsparse_index_base_b.uses_vcc, 1
	.set _ZN9rocsparseL18bsrxmvn_4x4_kernelILj128ELj32E21rocsparse_complex_numIfEllS2_S2_S2_EEvT3_20rocsparse_direction_NS_24const_host_device_scalarIT1_EES3_PKS3_PKT2_SC_S9_PKT4_PKT5_S7_PT6_21rocsparse_index_base_b.uses_flat_scratch, 0
	.set _ZN9rocsparseL18bsrxmvn_4x4_kernelILj128ELj32E21rocsparse_complex_numIfEllS2_S2_S2_EEvT3_20rocsparse_direction_NS_24const_host_device_scalarIT1_EES3_PKS3_PKT2_SC_S9_PKT4_PKT5_S7_PT6_21rocsparse_index_base_b.has_dyn_sized_stack, 0
	.set _ZN9rocsparseL18bsrxmvn_4x4_kernelILj128ELj32E21rocsparse_complex_numIfEllS2_S2_S2_EEvT3_20rocsparse_direction_NS_24const_host_device_scalarIT1_EES3_PKS3_PKT2_SC_S9_PKT4_PKT5_S7_PT6_21rocsparse_index_base_b.has_recursion, 0
	.set _ZN9rocsparseL18bsrxmvn_4x4_kernelILj128ELj32E21rocsparse_complex_numIfEllS2_S2_S2_EEvT3_20rocsparse_direction_NS_24const_host_device_scalarIT1_EES3_PKS3_PKT2_SC_S9_PKT4_PKT5_S7_PT6_21rocsparse_index_base_b.has_indirect_call, 0
	.section	.AMDGPU.csdata,"",@progbits
; Kernel info:
; codeLenInByte = 8948
; TotalNumSgprs: 14
; NumVgprs: 180
; ScratchSize: 0
; MemoryBound: 0
; FloatMode: 240
; IeeeMode: 1
; LDSByteSize: 0 bytes/workgroup (compile time only)
; SGPRBlocks: 0
; VGPRBlocks: 22
; NumSGPRsForWavesPerEU: 14
; NumVGPRsForWavesPerEU: 180
; Occupancy: 8
; WaveLimiterHint : 1
; COMPUTE_PGM_RSRC2:SCRATCH_EN: 0
; COMPUTE_PGM_RSRC2:USER_SGPR: 2
; COMPUTE_PGM_RSRC2:TRAP_HANDLER: 0
; COMPUTE_PGM_RSRC2:TGID_X_EN: 1
; COMPUTE_PGM_RSRC2:TGID_Y_EN: 0
; COMPUTE_PGM_RSRC2:TGID_Z_EN: 0
; COMPUTE_PGM_RSRC2:TIDIG_COMP_CNT: 0
	.section	.text._ZN9rocsparseL18bsrxmvn_4x4_kernelILj128ELj64E21rocsparse_complex_numIfEllS2_S2_S2_EEvT3_20rocsparse_direction_NS_24const_host_device_scalarIT1_EES3_PKS3_PKT2_SC_S9_PKT4_PKT5_S7_PT6_21rocsparse_index_base_b,"axG",@progbits,_ZN9rocsparseL18bsrxmvn_4x4_kernelILj128ELj64E21rocsparse_complex_numIfEllS2_S2_S2_EEvT3_20rocsparse_direction_NS_24const_host_device_scalarIT1_EES3_PKS3_PKT2_SC_S9_PKT4_PKT5_S7_PT6_21rocsparse_index_base_b,comdat
	.globl	_ZN9rocsparseL18bsrxmvn_4x4_kernelILj128ELj64E21rocsparse_complex_numIfEllS2_S2_S2_EEvT3_20rocsparse_direction_NS_24const_host_device_scalarIT1_EES3_PKS3_PKT2_SC_S9_PKT4_PKT5_S7_PT6_21rocsparse_index_base_b ; -- Begin function _ZN9rocsparseL18bsrxmvn_4x4_kernelILj128ELj64E21rocsparse_complex_numIfEllS2_S2_S2_EEvT3_20rocsparse_direction_NS_24const_host_device_scalarIT1_EES3_PKS3_PKT2_SC_S9_PKT4_PKT5_S7_PT6_21rocsparse_index_base_b
	.p2align	8
	.type	_ZN9rocsparseL18bsrxmvn_4x4_kernelILj128ELj64E21rocsparse_complex_numIfEllS2_S2_S2_EEvT3_20rocsparse_direction_NS_24const_host_device_scalarIT1_EES3_PKS3_PKT2_SC_S9_PKT4_PKT5_S7_PT6_21rocsparse_index_base_b,@function
_ZN9rocsparseL18bsrxmvn_4x4_kernelILj128ELj64E21rocsparse_complex_numIfEllS2_S2_S2_EEvT3_20rocsparse_direction_NS_24const_host_device_scalarIT1_EES3_PKS3_PKT2_SC_S9_PKT4_PKT5_S7_PT6_21rocsparse_index_base_b: ; @_ZN9rocsparseL18bsrxmvn_4x4_kernelILj128ELj64E21rocsparse_complex_numIfEllS2_S2_S2_EEvT3_20rocsparse_direction_NS_24const_host_device_scalarIT1_EES3_PKS3_PKT2_SC_S9_PKT4_PKT5_S7_PT6_21rocsparse_index_base_b
; %bb.0:
	s_clause 0x2
	s_load_b64 s[8:9], s[0:1], 0x60
	s_load_b128 s[4:7], s[0:1], 0x10
	s_load_b64 s[2:3], s[0:1], 0x50
	s_add_nc_u64 s[10:11], s[0:1], 16
	s_wait_kmcnt 0x0
	s_bitcmp1_b32 s9, 0
	s_cselect_b32 s4, s10, s4
	s_cselect_b32 s5, s11, s5
	s_delay_alu instid0(SALU_CYCLE_1)
	v_dual_mov_b32 v1, s4 :: v_dual_mov_b32 v2, s5
	s_add_nc_u64 s[4:5], s[0:1], 0x50
	s_wait_alu 0xfffe
	s_cselect_b32 s2, s4, s2
	s_cselect_b32 s3, s5, s3
	flat_load_b64 v[58:59], v[1:2]
	v_dual_mov_b32 v1, s2 :: v_dual_mov_b32 v2, s3
	flat_load_b64 v[56:57], v[1:2]
	s_wait_loadcnt_dscnt 0x101
	v_cmp_eq_f32_e32 vcc_lo, 0, v58
	v_cmp_eq_f32_e64 s2, 0, v59
	s_and_b32 s4, vcc_lo, s2
	s_mov_b32 s2, -1
	s_wait_alu 0xfffe
	s_and_saveexec_b32 s3, s4
	s_cbranch_execz .LBB54_2
; %bb.1:
	s_wait_loadcnt_dscnt 0x0
	v_cmp_neq_f32_e32 vcc_lo, 1.0, v56
	v_cmp_neq_f32_e64 s2, 0, v57
	s_or_b32 s2, vcc_lo, s2
	s_wait_alu 0xfffe
	s_or_not1_b32 s2, s2, exec_lo
.LBB54_2:
	s_wait_alu 0xfffe
	s_or_b32 exec_lo, exec_lo, s3
	s_and_saveexec_b32 s3, s2
	s_cbranch_execz .LBB54_8
; %bb.3:
	s_load_b64 s[2:3], s[0:1], 0x20
	v_lshrrev_b32_e32 v1, 6, v0
	v_mov_b32_e32 v2, 0
	s_delay_alu instid0(VALU_DEP_2)
	v_lshl_or_b32 v1, ttmp9, 1, v1
	s_wait_kmcnt 0x0
	s_cmp_lg_u64 s[2:3], 0
	s_cbranch_scc0 .LBB54_9
; %bb.4:
	s_delay_alu instid0(VALU_DEP_1)
	v_cmp_gt_i64_e32 vcc_lo, s[6:7], v[1:2]
	s_mov_b32 s5, 0
	s_mov_b32 s4, 0
                                        ; implicit-def: $vgpr60_vgpr61
                                        ; implicit-def: $vgpr62_vgpr63
	s_and_saveexec_b32 s6, vcc_lo
	s_wait_alu 0xfffe
	s_xor_b32 s6, exec_lo, s6
	s_cbranch_execz .LBB54_6
; %bb.5:
	v_lshlrev_b64_e32 v[3:4], 3, v[1:2]
	s_mov_b32 s9, 0
	s_mov_b32 s4, exec_lo
	v_dual_mov_b32 v63, s9 :: v_dual_mov_b32 v62, s8
	s_delay_alu instid0(VALU_DEP_2) | instskip(NEXT) | instid1(VALU_DEP_1)
	v_add_co_u32 v3, vcc_lo, s2, v3
	v_add_co_ci_u32_e64 v4, null, s3, v4, vcc_lo
	global_load_b64 v[3:4], v[3:4], off
	s_wait_loadcnt 0x0
	v_sub_co_u32 v60, vcc_lo, v3, s8
	s_wait_alu 0xfffd
	v_subrev_co_ci_u32_e64 v61, null, 0, v4, vcc_lo
.LBB54_6:
	s_wait_alu 0xfffe
	s_or_b32 exec_lo, exec_lo, s6
	s_delay_alu instid0(SALU_CYCLE_1)
	s_and_b32 vcc_lo, exec_lo, s5
	s_wait_alu 0xfffe
	s_cbranch_vccnz .LBB54_10
.LBB54_7:
	s_wait_alu 0xfffe
	s_and_b32 exec_lo, exec_lo, s4
	s_cbranch_execnz .LBB54_13
.LBB54_8:
	s_nop 0
	s_sendmsg sendmsg(MSG_DEALLOC_VGPRS)
	s_endpgm
.LBB54_9:
	s_mov_b32 s4, 0
                                        ; implicit-def: $vgpr60_vgpr61
                                        ; implicit-def: $vgpr62_vgpr63
	s_cbranch_execz .LBB54_7
.LBB54_10:
	s_load_b64 s[2:3], s[0:1], 0x0
	s_wait_kmcnt 0x0
	v_cmp_gt_i64_e32 vcc_lo, s[2:3], v[1:2]
	s_and_saveexec_b32 s2, vcc_lo
; %bb.11:
	s_mov_b32 s9, 0
	s_or_b32 s4, s4, exec_lo
; %bb.12:
	s_wait_alu 0xfffe
	s_or_b32 exec_lo, exec_lo, s2
	v_dual_mov_b32 v63, s9 :: v_dual_mov_b32 v62, s8
	v_dual_mov_b32 v61, v2 :: v_dual_mov_b32 v60, v1
	s_and_b32 exec_lo, exec_lo, s4
	s_cbranch_execz .LBB54_8
.LBB54_13:
	s_load_b256 s[4:11], s[0:1], 0x28
	s_delay_alu instid0(VALU_DEP_1) | instskip(SKIP_3) | instid1(VALU_DEP_2)
	v_lshlrev_b64_e32 v[1:2], 3, v[60:61]
	v_dual_mov_b32 v77, 0 :: v_dual_and_b32 v76, 63, v0
	s_load_b32 s3, s[0:1], 0x8
	s_wait_kmcnt 0x0
	v_add_co_u32 v3, vcc_lo, s4, v1
	s_wait_alu 0xfffd
	v_add_co_ci_u32_e64 v4, null, s5, v2, vcc_lo
	v_add_co_u32 v1, vcc_lo, s6, v1
	s_wait_alu 0xfffd
	v_add_co_ci_u32_e64 v2, null, s7, v2, vcc_lo
	v_add_co_u32 v5, vcc_lo, v3, 8
	global_load_b64 v[24:25], v[3:4], off
	s_wait_alu 0xfffd
	v_add_co_ci_u32_e64 v6, null, 0, v4, vcc_lo
	s_cmp_eq_u64 s[6:7], 0
	s_load_b64 s[4:5], s[0:1], 0x48
	s_cselect_b32 vcc_lo, -1, 0
	s_cmp_eq_u32 s3, 1
	s_wait_alu 0xfffe
	v_dual_cndmask_b32 v2, v2, v6 :: v_dual_cndmask_b32 v1, v1, v5
	global_load_b64 v[1:2], v[1:2], off
	s_wait_loadcnt 0x1
	v_sub_co_u32 v0, vcc_lo, v24, v62
	s_wait_alu 0xfffd
	v_sub_co_ci_u32_e64 v3, null, v25, v63, vcc_lo
	s_delay_alu instid0(VALU_DEP_2) | instskip(SKIP_1) | instid1(VALU_DEP_2)
	v_add_co_u32 v66, vcc_lo, v0, v76
	s_wait_alu 0xfffd
	v_add_co_ci_u32_e64 v67, null, 0, v3, vcc_lo
	s_wait_loadcnt 0x0
	v_sub_co_u32 v68, vcc_lo, v1, v62
	s_delay_alu instid0(VALU_DEP_2) | instskip(SKIP_2) | instid1(VALU_DEP_2)
	v_lshlrev_b64_e32 v[0:1], 7, v[66:67]
	s_wait_alu 0xfffd
	v_sub_co_ci_u32_e64 v69, null, v2, v63, vcc_lo
	v_add_co_u32 v70, vcc_lo, s10, v0
	s_delay_alu instid0(VALU_DEP_2)
	v_cmp_lt_i64_e64 s2, v[66:67], v[68:69]
	s_wait_alu 0xfffd
	v_add_co_ci_u32_e64 v71, null, s11, v1, vcc_lo
	s_cbranch_scc1 .LBB54_25
; %bb.14:
	v_dual_mov_b32 v82, 0 :: v_dual_mov_b32 v81, 0
	v_dual_mov_b32 v80, 0 :: v_dual_mov_b32 v79, 0
	;; [unrolled: 1-line block ×3, first 2 shown]
	v_mov_b32_e32 v65, 0
	s_and_saveexec_b32 s6, s2
	s_cbranch_execz .LBB54_24
; %bb.15:
	v_or_b32_e32 v0, 64, v76
	v_not_b32_e32 v3, v24
	v_sub_co_u32 v4, s3, v62, v76
	v_not_b32_e32 v2, v25
	s_delay_alu instid0(VALU_DEP_4)
	v_sub_co_u32 v0, vcc_lo, v0, v62
	s_wait_alu 0xfffd
	v_sub_co_ci_u32_e64 v1, null, 0, v63, vcc_lo
	s_wait_alu 0xf1ff
	v_subrev_co_ci_u32_e64 v5, null, 0, v63, s3
	v_add_co_u32 v0, vcc_lo, v0, v24
	s_wait_alu 0xfffd
	v_add_co_ci_u32_e64 v1, null, v1, v25, vcc_lo
	s_mov_b32 s3, exec_lo
	v_dual_mov_b32 v26, v70 :: v_dual_mov_b32 v27, v71
	v_mov_b32_e32 v28, v66
	v_cmp_gt_i64_e32 vcc_lo, v[0:1], v[68:69]
	v_mov_b32_e32 v65, 0
	v_mov_b32_e32 v29, v67
	s_wait_alu 0xfffd
	v_dual_cndmask_b32 v1, v69, v1 :: v_dual_cndmask_b32 v0, v68, v0
	v_add_co_u32 v3, vcc_lo, v4, v3
	s_wait_alu 0xfffd
	v_add_co_ci_u32_e64 v2, null, v5, v2, vcc_lo
	v_mov_b32_e32 v77, v65
	s_delay_alu instid0(VALU_DEP_3) | instskip(SKIP_3) | instid1(VALU_DEP_4)
	v_add_co_u32 v0, vcc_lo, v3, v0
	v_dual_mov_b32 v83, v65 :: v_dual_mov_b32 v78, v65
	v_dual_mov_b32 v79, v65 :: v_dual_mov_b32 v80, v65
	;; [unrolled: 1-line block ×3, first 2 shown]
	v_and_b32_e32 v64, 0xc0, v0
	s_wait_alu 0xfffd
	v_add_co_ci_u32_e64 v1, null, v2, v1, vcc_lo
	s_delay_alu instid0(VALU_DEP_2)
	v_cmpx_ne_u64_e32 0xc0, v[64:65]
	s_cbranch_execz .LBB54_19
; %bb.16:
	v_lshrrev_b32_e32 v2, 6, v0
	v_dual_mov_b32 v77, 0 :: v_dual_mov_b32 v28, v66
	v_dual_mov_b32 v29, v67 :: v_dual_mov_b32 v26, v70
	s_delay_alu instid0(VALU_DEP_3) | instskip(SKIP_2) | instid1(VALU_DEP_3)
	v_dual_mov_b32 v27, v71 :: v_dual_add_nc_u32 v4, 1, v2
	v_lshlrev_b64_e32 v[2:3], 3, v[66:67]
	v_dual_mov_b32 v82, 0 :: v_dual_mov_b32 v81, 0
	v_dual_mov_b32 v79, 0 :: v_dual_and_b32 v4, 3, v4
	v_dual_mov_b32 v80, 0 :: v_dual_mov_b32 v83, 0
	s_delay_alu instid0(VALU_DEP_4) | instskip(NEXT) | instid1(VALU_DEP_3)
	v_add_co_u32 v2, vcc_lo, s8, v2
	v_sub_co_u32 v4, s7, 0, v4
	s_wait_alu 0xfffd
	v_add_co_ci_u32_e64 v3, null, s9, v3, vcc_lo
	s_wait_alu 0xf1ff
	v_sub_co_ci_u32_e64 v5, null, 0, 0, s7
	v_dual_mov_b32 v78, 0 :: v_dual_mov_b32 v65, 0
	s_mov_b32 s7, 0
.LBB54_17:                              ; =>This Inner Loop Header: Depth=1
	global_load_b64 v[22:23], v[2:3], off
	s_clause 0x7
	global_load_b128 v[6:9], v[26:27], off offset:48
	global_load_b128 v[10:13], v[26:27], off offset:32
	global_load_b128 v[14:17], v[26:27], off offset:16
	global_load_b128 v[18:21], v[26:27], off
	global_load_b128 v[30:33], v[26:27], off offset:112
	global_load_b128 v[34:37], v[26:27], off offset:96
	;; [unrolled: 1-line block ×4, first 2 shown]
	s_wait_loadcnt 0x8
	v_sub_co_u32 v22, vcc_lo, v22, v62
	s_wait_alu 0xfffd
	v_sub_co_ci_u32_e64 v23, null, v23, v63, vcc_lo
	s_delay_alu instid0(VALU_DEP_1) | instskip(SKIP_1) | instid1(VALU_DEP_1)
	v_lshlrev_b64_e32 v[22:23], 5, v[22:23]
	s_wait_kmcnt 0x0
	v_add_co_u32 v22, vcc_lo, s4, v22
	s_wait_alu 0xfffd
	s_delay_alu instid0(VALU_DEP_2)
	v_add_co_ci_u32_e64 v23, null, s5, v23, vcc_lo
	v_add_co_u32 v26, vcc_lo, 0x2000, v26
	s_wait_alu 0xfffd
	v_add_co_ci_u32_e64 v27, null, 0, v27, vcc_lo
	s_clause 0x1
	global_load_b128 v[46:49], v[22:23], off
	global_load_b128 v[50:53], v[22:23], off offset:16
	v_add_co_u32 v28, vcc_lo, v28, 64
	s_wait_alu 0xfffd
	v_add_co_ci_u32_e64 v29, null, 0, v29, vcc_lo
	v_add_co_u32 v4, vcc_lo, v4, 1
	s_wait_alu 0xfffd
	v_add_co_ci_u32_e64 v5, null, 0, v5, vcc_lo
	;; [unrolled: 3-line block ×3, first 2 shown]
	s_delay_alu instid0(VALU_DEP_3)
	v_cmp_eq_u64_e32 vcc_lo, 0, v[4:5]
	s_wait_alu 0xfffe
	s_or_b32 s7, vcc_lo, s7
	s_wait_loadcnt 0x1
	v_fmac_f32_e32 v78, v35, v46
	v_fmac_f32_e32 v77, v19, v46
	;; [unrolled: 1-line block ×4, first 2 shown]
	s_delay_alu instid0(VALU_DEP_4) | instskip(NEXT) | instid1(VALU_DEP_4)
	v_fmac_f32_e32 v78, v34, v47
	v_fmac_f32_e32 v77, v18, v47
	;; [unrolled: 1-line block ×4, first 2 shown]
	v_fma_f32 v19, -v19, v47, v82
	v_fmac_f32_e32 v78, v37, v48
	v_fmac_f32_e32 v77, v21, v48
	v_fma_f32 v18, -v35, v47, v80
	v_fmac_f32_e32 v65, v11, v46
	s_delay_alu instid0(VALU_DEP_4) | instskip(SKIP_1) | instid1(VALU_DEP_3)
	v_dual_fmac_f32 v79, v43, v46 :: v_dual_fmac_f32 v78, v36, v49
	v_fmac_f32_e32 v19, v20, v48
	v_dual_fmac_f32 v18, v36, v48 :: v_dual_fmac_f32 v65, v10, v47
	v_fma_f32 v10, -v43, v47, v81
	s_wait_loadcnt 0x0
	v_fmac_f32_e32 v78, v31, v50
	v_fma_f32 v19, -v21, v49, v19
	v_fmac_f32_e32 v65, v13, v48
	v_fmac_f32_e32 v10, v44, v48
	v_fma_f32 v11, -v11, v47, v83
	v_dual_fmac_f32 v78, v30, v51 :: v_dual_fmac_f32 v77, v20, v49
	s_delay_alu instid0(VALU_DEP_4) | instskip(NEXT) | instid1(VALU_DEP_4)
	v_fmac_f32_e32 v65, v12, v49
	v_fma_f32 v10, -v45, v49, v10
	s_delay_alu instid0(VALU_DEP_4) | instskip(SKIP_1) | instid1(VALU_DEP_4)
	v_fmac_f32_e32 v11, v12, v48
	v_fma_f32 v12, -v37, v49, v18
	v_dual_fmac_f32 v78, v33, v52 :: v_dual_fmac_f32 v65, v7, v50
	s_delay_alu instid0(VALU_DEP_4) | instskip(NEXT) | instid1(VALU_DEP_4)
	v_fmac_f32_e32 v10, v38, v50
	v_fma_f32 v11, -v13, v49, v11
	s_delay_alu instid0(VALU_DEP_4) | instskip(NEXT) | instid1(VALU_DEP_4)
	v_fmac_f32_e32 v12, v30, v50
	v_dual_fmac_f32 v77, v15, v50 :: v_dual_fmac_f32 v78, v32, v53
	v_fmac_f32_e32 v65, v6, v51
	s_delay_alu instid0(VALU_DEP_4) | instskip(SKIP_4) | instid1(VALU_DEP_4)
	v_fmac_f32_e32 v11, v6, v50
	v_fma_f32 v6, -v39, v51, v10
	v_fmac_f32_e32 v79, v42, v47
	v_fma_f32 v10, -v31, v51, v12
	v_fmac_f32_e32 v19, v14, v50
	v_dual_fmac_f32 v77, v14, v51 :: v_dual_fmac_f32 v6, v40, v52
	s_delay_alu instid0(VALU_DEP_4)
	v_fmac_f32_e32 v79, v45, v48
	v_fma_f32 v7, -v7, v51, v11
	v_fmac_f32_e32 v10, v32, v52
	v_fma_f32 v13, -v15, v51, v19
	v_fmac_f32_e32 v65, v9, v52
	v_fmac_f32_e32 v79, v44, v49
	;; [unrolled: 1-line block ×7, first 2 shown]
	v_fma_f32 v83, -v9, v53, v7
	v_fmac_f32_e32 v77, v16, v53
	v_fma_f32 v82, -v17, v53, v13
	v_fma_f32 v81, -v41, v53, v6
	v_fmac_f32_e32 v79, v38, v51
	v_fma_f32 v80, -v33, v53, v10
	s_delay_alu instid0(VALU_DEP_2) | instskip(NEXT) | instid1(VALU_DEP_1)
	v_fmac_f32_e32 v79, v41, v52
	v_fmac_f32_e32 v79, v40, v53
	s_wait_alu 0xfffe
	s_and_not1_b32 exec_lo, exec_lo, s7
	s_cbranch_execnz .LBB54_17
; %bb.18:
	s_or_b32 exec_lo, exec_lo, s7
.LBB54_19:
	s_wait_alu 0xfffe
	s_or_b32 exec_lo, exec_lo, s3
	s_delay_alu instid0(SALU_CYCLE_1)
	s_mov_b32 s3, exec_lo
	v_cmpx_lt_u64_e32 0xbf, v[0:1]
	s_cbranch_execz .LBB54_23
; %bb.20:
	v_lshlrev_b64_e32 v[0:1], 3, v[28:29]
	s_mov_b32 s7, 0
	s_delay_alu instid0(VALU_DEP_1) | instskip(SKIP_1) | instid1(VALU_DEP_2)
	v_add_co_u32 v0, vcc_lo, s8, v0
	s_wait_alu 0xfffd
	v_add_co_ci_u32_e64 v1, null, s9, v1, vcc_lo
	s_delay_alu instid0(VALU_DEP_2) | instskip(SKIP_1) | instid1(VALU_DEP_2)
	v_add_co_u32 v30, vcc_lo, 0x400, v0
	s_wait_alu 0xfffd
	v_add_co_ci_u32_e64 v31, null, 0, v1, vcc_lo
.LBB54_21:                              ; =>This Inner Loop Header: Depth=1
	s_clause 0x3
	global_load_b64 v[32:33], v[30:31], off offset:-1024
	global_load_b64 v[54:55], v[30:31], off offset:-512
	global_load_b64 v[164:165], v[30:31], off
	global_load_b64 v[166:167], v[30:31], off offset:512
	s_clause 0x1f
	global_load_b128 v[34:37], v[26:27], off offset:48
	global_load_b128 v[38:41], v[26:27], off offset:32
	;; [unrolled: 1-line block ×3, first 2 shown]
	global_load_b128 v[46:49], v[26:27], off
	global_load_b128 v[50:53], v[26:27], off offset:112
	global_load_b128 v[72:75], v[26:27], off offset:96
	global_load_b128 v[84:87], v[26:27], off offset:80
	global_load_b128 v[88:91], v[26:27], off offset:64
	global_load_b128 v[92:95], v[26:27], off offset:8240
	global_load_b128 v[96:99], v[26:27], off offset:8224
	global_load_b128 v[100:103], v[26:27], off offset:8208
	global_load_b128 v[104:107], v[26:27], off offset:8192
	global_load_b128 v[108:111], v[26:27], off offset:8304
	global_load_b128 v[112:115], v[26:27], off offset:8288
	global_load_b128 v[116:119], v[26:27], off offset:8272
	global_load_b128 v[120:123], v[26:27], off offset:8256
	global_load_b128 v[8:11], v[26:27], off offset:16432
	global_load_b128 v[124:127], v[26:27], off offset:16416
	global_load_b128 v[16:19], v[26:27], off offset:16400
	global_load_b128 v[128:131], v[26:27], off offset:16384
	global_load_b128 v[12:15], v[26:27], off offset:16496
	global_load_b128 v[132:135], v[26:27], off offset:16480
	global_load_b128 v[136:139], v[26:27], off offset:16464
	global_load_b128 v[140:143], v[26:27], off offset:16448
	global_load_b128 v[0:3], v[26:27], off offset:24624
	global_load_b128 v[20:23], v[26:27], off offset:24608
	global_load_b128 v[4:7], v[26:27], off offset:24592
	global_load_b128 v[144:147], v[26:27], off offset:24576
	global_load_b128 v[148:151], v[26:27], off offset:24688
	global_load_b128 v[152:155], v[26:27], off offset:24672
	global_load_b128 v[156:159], v[26:27], off offset:24656
	global_load_b128 v[160:163], v[26:27], off offset:24640
	s_wait_loadcnt 0x23
	v_sub_co_u32 v32, vcc_lo, v32, v62
	s_wait_alu 0xfffd
	v_sub_co_ci_u32_e64 v33, null, v33, v63, vcc_lo
	s_wait_loadcnt 0x22
	v_sub_co_u32 v54, vcc_lo, v54, v62
	s_wait_alu 0xfffd
	v_sub_co_ci_u32_e64 v55, null, v55, v63, vcc_lo
	;; [unrolled: 4-line block ×3, first 2 shown]
	s_wait_loadcnt 0x20
	v_sub_co_u32 v166, vcc_lo, v166, v62
	v_lshlrev_b64_e32 v[32:33], 5, v[32:33]
	s_wait_alu 0xfffd
	v_sub_co_ci_u32_e64 v167, null, v167, v63, vcc_lo
	v_lshlrev_b64_e32 v[54:55], 5, v[54:55]
	v_lshlrev_b64_e32 v[164:165], 5, v[164:165]
	s_delay_alu instid0(VALU_DEP_3)
	v_lshlrev_b64_e32 v[166:167], 5, v[166:167]
	s_wait_kmcnt 0x0
	v_add_co_u32 v32, vcc_lo, s4, v32
	s_wait_alu 0xfffd
	v_add_co_ci_u32_e64 v33, null, s5, v33, vcc_lo
	v_add_co_u32 v54, vcc_lo, s4, v54
	s_wait_alu 0xfffd
	v_add_co_ci_u32_e64 v55, null, s5, v55, vcc_lo
	;; [unrolled: 3-line block ×4, first 2 shown]
	s_clause 0x1
	global_load_b128 v[164:167], v[32:33], off
	global_load_b128 v[168:171], v[32:33], off offset:16
	v_add_co_u32 v28, vcc_lo, 0x100, v28
	s_wait_alu 0xfffd
	v_add_co_ci_u32_e64 v29, null, 0, v29, vcc_lo
	v_add_co_u32 v26, vcc_lo, 0x8000, v26
	s_wait_alu 0xfffd
	v_add_co_ci_u32_e64 v27, null, 0, v27, vcc_lo
	;; [unrolled: 3-line block ×3, first 2 shown]
	v_cmp_ge_i64_e32 vcc_lo, v[28:29], v[68:69]
	s_wait_alu 0xfffe
	s_or_b32 s7, vcc_lo, s7
	s_wait_loadcnt 0x1
	v_fmac_f32_e32 v77, v47, v164
	s_delay_alu instid0(VALU_DEP_1) | instskip(NEXT) | instid1(VALU_DEP_1)
	v_dual_fmac_f32 v80, v72, v164 :: v_dual_fmac_f32 v77, v46, v165
	v_dual_fmac_f32 v82, v46, v164 :: v_dual_fmac_f32 v77, v49, v166
	s_delay_alu instid0(VALU_DEP_1) | instskip(NEXT) | instid1(VALU_DEP_2)
	v_fma_f32 v32, -v47, v165, v82
	v_fmac_f32_e32 v77, v48, v167
	s_delay_alu instid0(VALU_DEP_2) | instskip(NEXT) | instid1(VALU_DEP_1)
	v_fmac_f32_e32 v32, v48, v166
	v_fma_f32 v32, -v49, v167, v32
	s_clause 0x1
	global_load_b128 v[46:49], v[54:55], off
	global_load_b128 v[172:175], v[54:55], off offset:16
	v_fma_f32 v55, -v73, v165, v80
	v_fmac_f32_e32 v78, v73, v164
	s_wait_loadcnt 0x2
	v_fmac_f32_e32 v32, v42, v168
	s_delay_alu instid0(VALU_DEP_3) | instskip(NEXT) | instid1(VALU_DEP_3)
	v_fmac_f32_e32 v55, v74, v166
	v_dual_fmac_f32 v83, v38, v164 :: v_dual_fmac_f32 v78, v72, v165
	v_fmac_f32_e32 v81, v88, v164
	s_delay_alu instid0(VALU_DEP_4) | instskip(SKIP_1) | instid1(VALU_DEP_4)
	v_fma_f32 v32, -v43, v169, v32
	v_fmac_f32_e32 v79, v89, v164
	v_fma_f32 v33, -v39, v165, v83
	v_fmac_f32_e32 v78, v75, v166
	v_fma_f32 v54, -v89, v165, v81
	v_dual_fmac_f32 v65, v39, v164 :: v_dual_fmac_f32 v32, v44, v170
	s_delay_alu instid0(VALU_DEP_3) | instskip(NEXT) | instid1(VALU_DEP_3)
	v_dual_fmac_f32 v33, v40, v166 :: v_dual_fmac_f32 v78, v74, v167
	v_fmac_f32_e32 v54, v90, v166
	v_fma_f32 v55, -v75, v167, v55
	s_delay_alu instid0(VALU_DEP_4) | instskip(NEXT) | instid1(VALU_DEP_4)
	v_fma_f32 v32, -v45, v171, v32
	v_fma_f32 v33, -v41, v167, v33
	v_fmac_f32_e32 v78, v51, v168
	v_fma_f32 v54, -v91, v167, v54
	v_fmac_f32_e32 v65, v38, v165
	s_delay_alu instid0(VALU_DEP_4) | instskip(NEXT) | instid1(VALU_DEP_4)
	v_fmac_f32_e32 v33, v34, v168
	v_fmac_f32_e32 v78, v50, v169
	s_delay_alu instid0(VALU_DEP_3) | instskip(NEXT) | instid1(VALU_DEP_2)
	v_dual_fmac_f32 v54, v84, v168 :: v_dual_fmac_f32 v65, v41, v166
	v_dual_fmac_f32 v77, v43, v168 :: v_dual_fmac_f32 v78, v53, v170
	s_delay_alu instid0(VALU_DEP_2) | instskip(SKIP_2) | instid1(VALU_DEP_1)
	v_fmac_f32_e32 v65, v40, v167
	global_load_b128 v[38:41], v[176:177], off
	v_dual_fmac_f32 v78, v52, v171 :: v_dual_fmac_f32 v65, v35, v168
	v_fmac_f32_e32 v65, v34, v169
	v_fma_f32 v34, -v85, v169, v54
	s_delay_alu instid0(VALU_DEP_1) | instskip(NEXT) | instid1(VALU_DEP_1)
	v_dual_fmac_f32 v79, v88, v165 :: v_dual_fmac_f32 v34, v86, v170
	v_fmac_f32_e32 v79, v91, v166
	s_delay_alu instid0(VALU_DEP_2) | instskip(NEXT) | instid1(VALU_DEP_2)
	v_fma_f32 v34, -v87, v171, v34
	v_fmac_f32_e32 v79, v90, v167
	s_clause 0x2
	global_load_b128 v[88:91], v[176:177], off offset:16
	global_load_b128 v[72:75], v[178:179], off
	global_load_b128 v[164:167], v[178:179], off offset:16
	s_wait_loadcnt 0x5
	v_fmac_f32_e32 v32, v104, v46
	v_fmac_f32_e32 v34, v120, v46
	;; [unrolled: 1-line block ×4, first 2 shown]
	v_fma_f32 v33, -v35, v169, v33
	v_fma_f32 v32, -v105, v47, v32
	;; [unrolled: 1-line block ×3, first 2 shown]
	v_dual_fmac_f32 v78, v112, v47 :: v_dual_fmac_f32 v77, v42, v169
	s_delay_alu instid0(VALU_DEP_3) | instskip(NEXT) | instid1(VALU_DEP_3)
	v_dual_fmac_f32 v79, v84, v169 :: v_dual_fmac_f32 v32, v106, v48
	v_fmac_f32_e32 v34, v122, v48
	s_delay_alu instid0(VALU_DEP_3) | instskip(SKIP_1) | instid1(VALU_DEP_4)
	v_dual_fmac_f32 v78, v115, v48 :: v_dual_fmac_f32 v77, v45, v170
	v_fmac_f32_e32 v33, v36, v170
	v_fma_f32 v32, -v107, v49, v32
	s_delay_alu instid0(VALU_DEP_4) | instskip(NEXT) | instid1(VALU_DEP_4)
	v_fma_f32 v34, -v123, v49, v34
	v_dual_fmac_f32 v78, v114, v49 :: v_dual_fmac_f32 v79, v87, v170
	s_delay_alu instid0(VALU_DEP_4)
	v_fma_f32 v33, -v37, v171, v33
	s_wait_loadcnt 0x4
	v_dual_fmac_f32 v32, v100, v172 :: v_dual_fmac_f32 v65, v37, v170
	v_fmac_f32_e32 v34, v116, v172
	v_fmac_f32_e32 v78, v109, v172
	;; [unrolled: 1-line block ×3, first 2 shown]
	s_delay_alu instid0(VALU_DEP_4)
	v_fma_f32 v32, -v101, v173, v32
	v_fmac_f32_e32 v77, v44, v171
	v_fma_f32 v34, -v117, v173, v34
	v_fmac_f32_e32 v65, v36, v171
	v_fmac_f32_e32 v78, v108, v173
	v_fma_f32 v35, -v51, v169, v55
	v_fmac_f32_e32 v79, v86, v171
	v_fmac_f32_e32 v34, v118, v174
	;; [unrolled: 1-line block ×5, first 2 shown]
	s_delay_alu instid0(VALU_DEP_4) | instskip(NEXT) | instid1(VALU_DEP_4)
	v_fma_f32 v34, -v119, v175, v34
	v_fma_f32 v32, -v103, v175, v32
	s_delay_alu instid0(VALU_DEP_4) | instskip(NEXT) | instid1(VALU_DEP_4)
	v_fmac_f32_e32 v78, v110, v175
	v_fma_f32 v35, -v53, v171, v35
	s_wait_loadcnt 0x3
	v_fmac_f32_e32 v34, v140, v38
	v_fmac_f32_e32 v32, v128, v38
	v_fmac_f32_e32 v78, v133, v38
	v_fmac_f32_e32 v77, v105, v46
	s_delay_alu instid0(VALU_DEP_4) | instskip(NEXT) | instid1(VALU_DEP_3)
	v_fma_f32 v34, -v141, v39, v34
	v_dual_fmac_f32 v65, v97, v46 :: v_dual_fmac_f32 v78, v132, v39
	v_fmac_f32_e32 v79, v121, v46
	v_fma_f32 v32, -v129, v39, v32
	s_delay_alu instid0(VALU_DEP_3) | instskip(NEXT) | instid1(VALU_DEP_4)
	v_dual_fmac_f32 v34, v142, v40 :: v_dual_fmac_f32 v65, v96, v47
	v_dual_fmac_f32 v78, v135, v40 :: v_dual_fmac_f32 v35, v112, v46
	s_delay_alu instid0(VALU_DEP_3) | instskip(NEXT) | instid1(VALU_DEP_3)
	v_dual_fmac_f32 v33, v96, v46 :: v_dual_fmac_f32 v32, v130, v40
	v_fma_f32 v34, -v143, v41, v34
	s_delay_alu instid0(VALU_DEP_3) | instskip(NEXT) | instid1(VALU_DEP_3)
	v_dual_fmac_f32 v78, v134, v41 :: v_dual_fmac_f32 v77, v104, v47
	v_fma_f32 v33, -v97, v47, v33
	v_fma_f32 v35, -v113, v47, v35
	;; [unrolled: 1-line block ×3, first 2 shown]
	s_wait_loadcnt 0x2
	v_fmac_f32_e32 v78, v13, v88
	v_fmac_f32_e32 v77, v107, v48
	;; [unrolled: 1-line block ×5, first 2 shown]
	v_dual_fmac_f32 v78, v12, v89 :: v_dual_fmac_f32 v35, v114, v48
	s_delay_alu instid0(VALU_DEP_4) | instskip(NEXT) | instid1(VALU_DEP_2)
	v_fma_f32 v33, -v99, v49, v33
	v_dual_fmac_f32 v77, v106, v49 :: v_dual_fmac_f32 v78, v15, v90
	v_fmac_f32_e32 v65, v99, v48
	s_delay_alu instid0(VALU_DEP_3) | instskip(SKIP_1) | instid1(VALU_DEP_4)
	v_fmac_f32_e32 v33, v92, v172
	v_fma_f32 v35, -v115, v49, v35
	v_fmac_f32_e32 v78, v14, v91
	s_delay_alu instid0(VALU_DEP_4) | instskip(NEXT) | instid1(VALU_DEP_4)
	v_fmac_f32_e32 v65, v98, v49
	v_fma_f32 v33, -v93, v173, v33
	s_wait_loadcnt 0x1
	s_delay_alu instid0(VALU_DEP_3) | instskip(NEXT) | instid1(VALU_DEP_3)
	v_fmac_f32_e32 v78, v153, v72
	v_fmac_f32_e32 v65, v93, v172
	s_delay_alu instid0(VALU_DEP_2) | instskip(NEXT) | instid1(VALU_DEP_2)
	v_dual_fmac_f32 v33, v94, v174 :: v_dual_fmac_f32 v78, v152, v73
	v_fmac_f32_e32 v65, v92, v173
	s_delay_alu instid0(VALU_DEP_2) | instskip(NEXT) | instid1(VALU_DEP_3)
	v_fma_f32 v33, -v95, v175, v33
	v_fmac_f32_e32 v78, v155, v74
	s_delay_alu instid0(VALU_DEP_3) | instskip(NEXT) | instid1(VALU_DEP_2)
	v_fmac_f32_e32 v65, v95, v174
	v_dual_fmac_f32 v33, v124, v38 :: v_dual_fmac_f32 v78, v154, v75
	s_delay_alu instid0(VALU_DEP_2) | instskip(NEXT) | instid1(VALU_DEP_2)
	v_fmac_f32_e32 v65, v94, v175
	v_fma_f32 v33, -v125, v39, v33
	s_wait_loadcnt 0x0
	s_delay_alu instid0(VALU_DEP_3) | instskip(NEXT) | instid1(VALU_DEP_3)
	v_fmac_f32_e32 v78, v149, v164
	v_fmac_f32_e32 v65, v125, v38
	s_delay_alu instid0(VALU_DEP_2) | instskip(NEXT) | instid1(VALU_DEP_2)
	v_dual_fmac_f32 v33, v126, v40 :: v_dual_fmac_f32 v78, v148, v165
	v_fmac_f32_e32 v65, v124, v39
	s_delay_alu instid0(VALU_DEP_2) | instskip(NEXT) | instid1(VALU_DEP_3)
	v_fma_f32 v33, -v127, v41, v33
	v_fmac_f32_e32 v78, v151, v166
	s_delay_alu instid0(VALU_DEP_3) | instskip(NEXT) | instid1(VALU_DEP_2)
	v_fmac_f32_e32 v65, v127, v40
	v_dual_fmac_f32 v33, v8, v88 :: v_dual_fmac_f32 v78, v150, v167
	s_delay_alu instid0(VALU_DEP_2) | instskip(NEXT) | instid1(VALU_DEP_1)
	v_fmac_f32_e32 v65, v126, v41
	v_fmac_f32_e32 v65, v9, v88
	s_delay_alu instid0(VALU_DEP_3) | instskip(NEXT) | instid1(VALU_DEP_2)
	v_fma_f32 v9, -v9, v89, v33
	v_fmac_f32_e32 v65, v8, v89
	v_fma_f32 v8, -v137, v89, v34
	v_fmac_f32_e32 v79, v120, v47
	s_delay_alu instid0(VALU_DEP_4) | instskip(NEXT) | instid1(VALU_DEP_4)
	v_fmac_f32_e32 v9, v10, v90
	v_fmac_f32_e32 v65, v11, v90
	s_delay_alu instid0(VALU_DEP_3) | instskip(NEXT) | instid1(VALU_DEP_3)
	v_dual_fmac_f32 v8, v138, v90 :: v_dual_fmac_f32 v79, v123, v48
	v_fma_f32 v9, -v11, v91, v9
	s_delay_alu instid0(VALU_DEP_3) | instskip(NEXT) | instid1(VALU_DEP_3)
	v_fmac_f32_e32 v65, v10, v91
	v_fma_f32 v8, -v139, v91, v8
	s_delay_alu instid0(VALU_DEP_3) | instskip(NEXT) | instid1(VALU_DEP_3)
	v_fmac_f32_e32 v9, v20, v72
	v_fmac_f32_e32 v65, v21, v72
	s_delay_alu instid0(VALU_DEP_3) | instskip(NEXT) | instid1(VALU_DEP_3)
	v_fmac_f32_e32 v8, v160, v72
	v_fma_f32 v9, -v21, v73, v9
	s_delay_alu instid0(VALU_DEP_3) | instskip(NEXT) | instid1(VALU_DEP_3)
	v_fmac_f32_e32 v65, v20, v73
	v_fma_f32 v8, -v161, v73, v8
	v_fmac_f32_e32 v77, v101, v172
	s_delay_alu instid0(VALU_DEP_4) | instskip(NEXT) | instid1(VALU_DEP_4)
	v_fmac_f32_e32 v9, v22, v74
	v_fmac_f32_e32 v65, v23, v74
	s_delay_alu instid0(VALU_DEP_3) | instskip(NEXT) | instid1(VALU_DEP_3)
	v_dual_fmac_f32 v8, v162, v74 :: v_dual_fmac_f32 v77, v100, v173
	v_fma_f32 v9, -v23, v75, v9
	s_delay_alu instid0(VALU_DEP_3) | instskip(NEXT) | instid1(VALU_DEP_3)
	v_fmac_f32_e32 v65, v22, v75
	v_fma_f32 v8, -v163, v75, v8
	s_delay_alu instid0(VALU_DEP_3) | instskip(NEXT) | instid1(VALU_DEP_3)
	v_fmac_f32_e32 v9, v0, v164
	v_fmac_f32_e32 v65, v1, v164
	s_delay_alu instid0(VALU_DEP_3) | instskip(NEXT) | instid1(VALU_DEP_3)
	v_fmac_f32_e32 v8, v156, v164
	v_fma_f32 v1, -v1, v165, v9
	s_delay_alu instid0(VALU_DEP_3) | instskip(NEXT) | instid1(VALU_DEP_3)
	v_fmac_f32_e32 v65, v0, v165
	v_fma_f32 v0, -v157, v165, v8
	v_fmac_f32_e32 v35, v108, v172
	s_delay_alu instid0(VALU_DEP_4) | instskip(NEXT) | instid1(VALU_DEP_4)
	v_fmac_f32_e32 v1, v2, v166
	v_fmac_f32_e32 v65, v3, v166
	s_delay_alu instid0(VALU_DEP_4) | instskip(NEXT) | instid1(VALU_DEP_4)
	v_fmac_f32_e32 v0, v158, v166
	v_fma_f32 v35, -v109, v173, v35
	s_delay_alu instid0(VALU_DEP_4) | instskip(NEXT) | instid1(VALU_DEP_4)
	v_fma_f32 v83, -v3, v167, v1
	v_fmac_f32_e32 v65, v2, v167
	s_delay_alu instid0(VALU_DEP_4) | instskip(NEXT) | instid1(VALU_DEP_4)
	v_fma_f32 v81, -v159, v167, v0
	v_fmac_f32_e32 v35, v110, v174
	s_delay_alu instid0(VALU_DEP_1) | instskip(NEXT) | instid1(VALU_DEP_1)
	v_fma_f32 v35, -v111, v175, v35
	v_fmac_f32_e32 v35, v132, v38
	s_delay_alu instid0(VALU_DEP_1) | instskip(NEXT) | instid1(VALU_DEP_1)
	;; [unrolled: 3-line block ×5, first 2 shown]
	v_fma_f32 v10, -v15, v91, v13
	v_dual_fmac_f32 v77, v103, v174 :: v_dual_fmac_f32 v10, v152, v72
	s_delay_alu instid0(VALU_DEP_1) | instskip(NEXT) | instid1(VALU_DEP_2)
	v_fmac_f32_e32 v77, v102, v175
	v_fma_f32 v10, -v153, v73, v10
	s_delay_alu instid0(VALU_DEP_2) | instskip(NEXT) | instid1(VALU_DEP_1)
	v_fmac_f32_e32 v77, v129, v38
	v_dual_fmac_f32 v10, v154, v74 :: v_dual_fmac_f32 v77, v128, v39
	s_delay_alu instid0(VALU_DEP_1) | instskip(NEXT) | instid1(VALU_DEP_2)
	v_fma_f32 v10, -v155, v75, v10
	v_fmac_f32_e32 v77, v131, v40
	s_delay_alu instid0(VALU_DEP_1) | instskip(NEXT) | instid1(VALU_DEP_1)
	v_dual_fmac_f32 v10, v148, v164 :: v_dual_fmac_f32 v77, v130, v41
	v_fmac_f32_e32 v77, v17, v88
	v_fma_f32 v17, -v17, v89, v32
	s_delay_alu instid0(VALU_DEP_2) | instskip(NEXT) | instid1(VALU_DEP_2)
	v_fmac_f32_e32 v77, v16, v89
	v_fmac_f32_e32 v17, v18, v90
	s_delay_alu instid0(VALU_DEP_2) | instskip(NEXT) | instid1(VALU_DEP_2)
	v_fmac_f32_e32 v77, v19, v90
	v_fma_f32 v12, -v19, v91, v17
	v_fmac_f32_e32 v79, v122, v49
	s_delay_alu instid0(VALU_DEP_2) | instskip(NEXT) | instid1(VALU_DEP_2)
	v_dual_fmac_f32 v77, v18, v91 :: v_dual_fmac_f32 v12, v144, v72
	v_fmac_f32_e32 v79, v117, v172
	s_delay_alu instid0(VALU_DEP_2) | instskip(NEXT) | instid1(VALU_DEP_3)
	v_fmac_f32_e32 v77, v145, v72
	v_fma_f32 v11, -v145, v73, v12
	s_delay_alu instid0(VALU_DEP_2) | instskip(NEXT) | instid1(VALU_DEP_2)
	v_fmac_f32_e32 v77, v144, v73
	v_fmac_f32_e32 v11, v146, v74
	s_delay_alu instid0(VALU_DEP_2) | instskip(NEXT) | instid1(VALU_DEP_2)
	v_fmac_f32_e32 v77, v147, v74
	v_fma_f32 v11, -v147, v75, v11
	s_delay_alu instid0(VALU_DEP_2) | instskip(NEXT) | instid1(VALU_DEP_2)
	v_fmac_f32_e32 v77, v146, v75
	v_fmac_f32_e32 v11, v4, v164
	s_delay_alu instid0(VALU_DEP_2) | instskip(NEXT) | instid1(VALU_DEP_2)
	v_fmac_f32_e32 v77, v5, v164
	v_fma_f32 v5, -v5, v165, v11
	s_delay_alu instid0(VALU_DEP_2) | instskip(SKIP_2) | instid1(VALU_DEP_4)
	v_fmac_f32_e32 v77, v4, v165
	v_fma_f32 v4, -v149, v165, v10
	v_fmac_f32_e32 v79, v116, v173
	v_fmac_f32_e32 v5, v6, v166
	s_delay_alu instid0(VALU_DEP_4) | instskip(NEXT) | instid1(VALU_DEP_4)
	v_fmac_f32_e32 v77, v7, v166
	v_fmac_f32_e32 v4, v150, v166
	s_delay_alu instid0(VALU_DEP_4) | instskip(NEXT) | instid1(VALU_DEP_4)
	v_fmac_f32_e32 v79, v119, v174
	v_fma_f32 v82, -v7, v167, v5
	s_delay_alu instid0(VALU_DEP_4) | instskip(NEXT) | instid1(VALU_DEP_4)
	v_fmac_f32_e32 v77, v6, v167
	v_fma_f32 v80, -v151, v167, v4
	s_delay_alu instid0(VALU_DEP_4) | instskip(NEXT) | instid1(VALU_DEP_1)
	v_fmac_f32_e32 v79, v118, v175
	v_fmac_f32_e32 v79, v141, v38
	s_delay_alu instid0(VALU_DEP_1) | instskip(NEXT) | instid1(VALU_DEP_1)
	v_fmac_f32_e32 v79, v140, v39
	v_fmac_f32_e32 v79, v143, v40
	s_delay_alu instid0(VALU_DEP_1) | instskip(NEXT) | instid1(VALU_DEP_1)
	v_fmac_f32_e32 v79, v142, v41
	v_fmac_f32_e32 v79, v137, v88
	s_delay_alu instid0(VALU_DEP_1) | instskip(NEXT) | instid1(VALU_DEP_1)
	v_fmac_f32_e32 v79, v136, v89
	v_fmac_f32_e32 v79, v139, v90
	s_delay_alu instid0(VALU_DEP_1) | instskip(NEXT) | instid1(VALU_DEP_1)
	v_fmac_f32_e32 v79, v138, v91
	v_fmac_f32_e32 v79, v161, v72
	s_delay_alu instid0(VALU_DEP_1) | instskip(NEXT) | instid1(VALU_DEP_1)
	v_fmac_f32_e32 v79, v160, v73
	v_fmac_f32_e32 v79, v163, v74
	s_delay_alu instid0(VALU_DEP_1) | instskip(NEXT) | instid1(VALU_DEP_1)
	v_fmac_f32_e32 v79, v162, v75
	v_fmac_f32_e32 v79, v157, v164
	s_delay_alu instid0(VALU_DEP_1) | instskip(NEXT) | instid1(VALU_DEP_1)
	v_fmac_f32_e32 v79, v156, v165
	v_fmac_f32_e32 v79, v159, v166
	s_delay_alu instid0(VALU_DEP_1)
	v_fmac_f32_e32 v79, v158, v167
	s_wait_alu 0xfffe
	s_and_not1_b32 exec_lo, exec_lo, s7
	s_cbranch_execnz .LBB54_21
; %bb.22:
	s_or_b32 exec_lo, exec_lo, s7
.LBB54_23:
	s_wait_alu 0xfffe
	s_or_b32 exec_lo, exec_lo, s3
.LBB54_24:
	s_wait_alu 0xfffe
	s_or_b32 exec_lo, exec_lo, s6
	s_cbranch_execz .LBB54_26
	s_branch .LBB54_37
.LBB54_25:
                                        ; implicit-def: $vgpr77
                                        ; implicit-def: $vgpr82
                                        ; implicit-def: $vgpr80
                                        ; implicit-def: $vgpr78
                                        ; implicit-def: $vgpr81
                                        ; implicit-def: $vgpr79
                                        ; implicit-def: $vgpr83
                                        ; implicit-def: $vgpr65
.LBB54_26:
	v_dual_mov_b32 v77, 0 :: v_dual_mov_b32 v82, 0
	v_dual_mov_b32 v80, 0 :: v_dual_mov_b32 v81, 0
	;; [unrolled: 1-line block ×3, first 2 shown]
	v_mov_b32_e32 v83, 0
	v_mov_b32_e32 v65, 0
	s_and_saveexec_b32 s3, s2
	s_cbranch_execz .LBB54_36
; %bb.27:
	v_or_b32_e32 v0, 64, v76
	v_not_b32_e32 v3, v24
	v_not_b32_e32 v2, v25
	s_delay_alu instid0(VALU_DEP_3) | instskip(SKIP_2) | instid1(VALU_DEP_2)
	v_sub_co_u32 v0, vcc_lo, v0, v62
	s_wait_alu 0xfffd
	v_sub_co_ci_u32_e64 v1, null, 0, v63, vcc_lo
	v_add_co_u32 v0, vcc_lo, v0, v24
	s_wait_alu 0xfffd
	s_delay_alu instid0(VALU_DEP_2) | instskip(SKIP_3) | instid1(VALU_DEP_3)
	v_add_co_ci_u32_e64 v1, null, v1, v25, vcc_lo
	v_sub_co_u32 v4, vcc_lo, v62, v76
	s_wait_alu 0xfffd
	v_subrev_co_ci_u32_e64 v5, null, 0, v63, vcc_lo
	v_cmp_gt_i64_e64 s2, v[0:1], v[68:69]
	s_delay_alu instid0(VALU_DEP_3) | instskip(SKIP_1) | instid1(VALU_DEP_3)
	v_add_co_u32 v3, vcc_lo, v4, v3
	s_wait_alu 0xfffd
	v_add_co_ci_u32_e64 v2, null, v5, v2, vcc_lo
	s_wait_alu 0xf1ff
	s_delay_alu instid0(VALU_DEP_3) | instskip(SKIP_2) | instid1(VALU_DEP_2)
	v_cndmask_b32_e64 v0, v68, v0, s2
	v_cndmask_b32_e64 v1, v69, v1, s2
	s_mov_b32 s2, exec_lo
	v_add_co_u32 v0, vcc_lo, v3, v0
	v_mov_b32_e32 v65, 0
	s_wait_alu 0xfffd
	v_add_co_ci_u32_e64 v1, null, v2, v1, vcc_lo
	s_delay_alu instid0(VALU_DEP_2) | instskip(SKIP_3) | instid1(VALU_DEP_4)
	v_dual_mov_b32 v83, v65 :: v_dual_and_b32 v64, 0xc0, v0
	v_dual_mov_b32 v78, v65 :: v_dual_mov_b32 v79, v65
	v_dual_mov_b32 v80, v65 :: v_dual_mov_b32 v81, v65
	;; [unrolled: 1-line block ×3, first 2 shown]
	v_cmpx_ne_u64_e32 0xc0, v[64:65]
	s_cbranch_execz .LBB54_31
; %bb.28:
	v_lshrrev_b32_e32 v2, 6, v0
	v_dual_mov_b32 v77, 0 :: v_dual_mov_b32 v82, 0
	v_dual_mov_b32 v81, 0 :: v_dual_mov_b32 v80, 0
	s_delay_alu instid0(VALU_DEP_3) | instskip(SKIP_2) | instid1(VALU_DEP_3)
	v_dual_mov_b32 v79, 0 :: v_dual_add_nc_u32 v4, 1, v2
	v_lshlrev_b64_e32 v[2:3], 3, v[66:67]
	v_dual_mov_b32 v78, 0 :: v_dual_mov_b32 v83, 0
	v_dual_mov_b32 v65, 0 :: v_dual_and_b32 v4, 3, v4
	s_delay_alu instid0(VALU_DEP_3) | instskip(SKIP_1) | instid1(VALU_DEP_4)
	v_add_co_u32 v2, vcc_lo, s8, v2
	s_wait_alu 0xfffd
	v_add_co_ci_u32_e64 v3, null, s9, v3, vcc_lo
	s_delay_alu instid0(VALU_DEP_3)
	v_sub_co_u32 v4, s6, 0, v4
	s_wait_alu 0xf1ff
	v_sub_co_ci_u32_e64 v5, null, 0, 0, s6
	s_mov_b32 s6, 0
.LBB54_29:                              ; =>This Inner Loop Header: Depth=1
	global_load_b64 v[18:19], v[2:3], off
	s_clause 0x2
	global_load_b128 v[6:9], v[70:71], off offset:32
	global_load_b128 v[10:13], v[70:71], off offset:16
	global_load_b128 v[14:17], v[70:71], off
	s_wait_loadcnt 0x3
	v_sub_co_u32 v18, vcc_lo, v18, v62
	s_wait_alu 0xfffd
	v_sub_co_ci_u32_e64 v19, null, v19, v63, vcc_lo
	s_delay_alu instid0(VALU_DEP_1) | instskip(SKIP_1) | instid1(VALU_DEP_1)
	v_lshlrev_b64_e32 v[18:19], 5, v[18:19]
	s_wait_kmcnt 0x0
	v_add_co_u32 v22, vcc_lo, s4, v18
	s_wait_alu 0xfffd
	s_delay_alu instid0(VALU_DEP_2)
	v_add_co_ci_u32_e64 v23, null, s5, v19, vcc_lo
	s_clause 0x1
	global_load_b128 v[18:21], v[22:23], off
	global_load_b128 v[22:25], v[22:23], off offset:16
	s_clause 0x4
	global_load_b128 v[26:29], v[70:71], off offset:48
	global_load_b128 v[30:33], v[70:71], off offset:64
	;; [unrolled: 1-line block ×5, first 2 shown]
	v_add_co_u32 v70, vcc_lo, 0x2000, v70
	s_wait_alu 0xfffd
	v_add_co_ci_u32_e64 v71, null, 0, v71, vcc_lo
	v_add_co_u32 v66, vcc_lo, v66, 64
	s_wait_alu 0xfffd
	v_add_co_ci_u32_e64 v67, null, 0, v67, vcc_lo
	;; [unrolled: 3-line block ×4, first 2 shown]
	s_delay_alu instid0(VALU_DEP_3)
	v_cmp_eq_u64_e32 vcc_lo, 0, v[4:5]
	s_wait_alu 0xfffe
	s_or_b32 s6, vcc_lo, s6
	s_wait_loadcnt 0x6
	v_fmac_f32_e32 v78, v13, v18
	v_fmac_f32_e32 v77, v15, v18
	;; [unrolled: 1-line block ×4, first 2 shown]
	s_delay_alu instid0(VALU_DEP_4) | instskip(SKIP_3) | instid1(VALU_DEP_3)
	v_dual_fmac_f32 v81, v10, v18 :: v_dual_fmac_f32 v78, v12, v19
	v_fmac_f32_e32 v83, v16, v18
	v_dual_fmac_f32 v80, v12, v18 :: v_dual_fmac_f32 v77, v14, v19
	s_wait_loadcnt 0x4
	v_dual_fmac_f32 v78, v29, v20 :: v_dual_fmac_f32 v79, v11, v18
	s_delay_alu instid0(VALU_DEP_3) | instskip(NEXT) | instid1(VALU_DEP_2)
	v_fma_f32 v14, -v17, v19, v83
	v_dual_fmac_f32 v78, v28, v21 :: v_dual_fmac_f32 v79, v10, v19
	v_fma_f32 v10, -v13, v19, v80
	s_delay_alu instid0(VALU_DEP_3)
	v_fmac_f32_e32 v14, v8, v20
	v_fmac_f32_e32 v65, v16, v19
	v_fma_f32 v15, -v15, v19, v82
	s_wait_loadcnt 0x2
	v_fmac_f32_e32 v78, v37, v22
	v_fmac_f32_e32 v10, v28, v20
	v_fma_f32 v11, -v11, v19, v81
	v_fmac_f32_e32 v65, v9, v20
	s_delay_alu instid0(VALU_DEP_4) | instskip(NEXT) | instid1(VALU_DEP_3)
	v_dual_fmac_f32 v15, v6, v20 :: v_dual_fmac_f32 v78, v36, v23
	v_fmac_f32_e32 v11, v26, v20
	s_wait_loadcnt 0x0
	s_delay_alu instid0(VALU_DEP_2) | instskip(SKIP_1) | instid1(VALU_DEP_3)
	v_dual_fmac_f32 v65, v8, v21 :: v_dual_fmac_f32 v78, v45, v24
	v_fmac_f32_e32 v79, v27, v20
	v_fma_f32 v8, -v27, v21, v11
	s_delay_alu instid0(VALU_DEP_3) | instskip(NEXT) | instid1(VALU_DEP_3)
	v_dual_fmac_f32 v77, v7, v20 :: v_dual_fmac_f32 v78, v44, v25
	v_fmac_f32_e32 v79, v26, v21
	s_delay_alu instid0(VALU_DEP_3) | instskip(NEXT) | instid1(VALU_DEP_3)
	v_fmac_f32_e32 v8, v34, v22
	v_fmac_f32_e32 v77, v6, v21
	v_fma_f32 v6, -v9, v21, v14
	v_fma_f32 v9, -v29, v21, v10
	v_fmac_f32_e32 v79, v35, v22
	v_fma_f32 v8, -v35, v23, v8
	s_delay_alu instid0(VALU_DEP_4) | instskip(SKIP_1) | instid1(VALU_DEP_3)
	v_fmac_f32_e32 v6, v32, v22
	v_fma_f32 v7, -v7, v21, v15
	v_dual_fmac_f32 v9, v36, v22 :: v_dual_fmac_f32 v8, v42, v24
	v_fmac_f32_e32 v65, v33, v22
	s_delay_alu instid0(VALU_DEP_4) | instskip(NEXT) | instid1(VALU_DEP_4)
	v_fma_f32 v6, -v33, v23, v6
	v_fmac_f32_e32 v7, v30, v22
	s_delay_alu instid0(VALU_DEP_4)
	v_fma_f32 v9, -v37, v23, v9
	v_fma_f32 v81, -v43, v25, v8
	v_fmac_f32_e32 v65, v32, v23
	v_dual_fmac_f32 v6, v40, v24 :: v_dual_fmac_f32 v77, v31, v22
	v_fma_f32 v7, -v31, v23, v7
	v_fmac_f32_e32 v9, v44, v24
	s_delay_alu instid0(VALU_DEP_4)
	v_fmac_f32_e32 v65, v41, v24
	v_fmac_f32_e32 v79, v34, v23
	;; [unrolled: 1-line block ×4, first 2 shown]
	v_fma_f32 v83, -v41, v25, v6
	v_fmac_f32_e32 v65, v40, v25
	v_fmac_f32_e32 v79, v43, v24
	;; [unrolled: 1-line block ×3, first 2 shown]
	v_fma_f32 v82, -v39, v25, v7
	v_fma_f32 v80, -v45, v25, v9
	s_delay_alu instid0(VALU_DEP_4) | instskip(NEXT) | instid1(VALU_DEP_4)
	v_fmac_f32_e32 v79, v42, v25
	v_fmac_f32_e32 v77, v38, v25
	s_wait_alu 0xfffe
	s_and_not1_b32 exec_lo, exec_lo, s6
	s_cbranch_execnz .LBB54_29
; %bb.30:
	s_or_b32 exec_lo, exec_lo, s6
.LBB54_31:
	s_wait_alu 0xfffe
	s_or_b32 exec_lo, exec_lo, s2
	s_delay_alu instid0(SALU_CYCLE_1)
	s_mov_b32 s2, exec_lo
	v_cmpx_lt_u64_e32 0xbf, v[0:1]
	s_cbranch_execz .LBB54_35
; %bb.32:
	v_lshlrev_b64_e32 v[0:1], 3, v[66:67]
	s_mov_b32 s6, 0
	s_delay_alu instid0(VALU_DEP_1) | instskip(SKIP_1) | instid1(VALU_DEP_2)
	v_add_co_u32 v0, vcc_lo, s8, v0
	s_wait_alu 0xfffd
	v_add_co_ci_u32_e64 v1, null, s9, v1, vcc_lo
	s_delay_alu instid0(VALU_DEP_2) | instskip(SKIP_1) | instid1(VALU_DEP_2)
	v_add_co_u32 v72, vcc_lo, 0x400, v0
	s_wait_alu 0xfffd
	v_add_co_ci_u32_e64 v73, null, 0, v1, vcc_lo
.LBB54_33:                              ; =>This Inner Loop Header: Depth=1
	global_load_b64 v[74:75], v[72:73], off offset:-1024
	s_clause 0xd
	global_load_b128 v[16:19], v[70:71], off offset:48
	global_load_b128 v[44:47], v[70:71], off offset:32
	;; [unrolled: 1-line block ×3, first 2 shown]
	global_load_b128 v[52:55], v[70:71], off
	global_load_b128 v[28:31], v[70:71], off offset:112
	global_load_b128 v[32:35], v[70:71], off offset:96
	global_load_b128 v[36:39], v[70:71], off offset:80
	global_load_b128 v[40:43], v[70:71], off offset:64
	global_load_b128 v[0:3], v[70:71], off offset:8240
	global_load_b128 v[4:7], v[70:71], off offset:8224
	global_load_b128 v[8:11], v[70:71], off offset:8208
	global_load_b128 v[12:15], v[70:71], off offset:8192
	global_load_b128 v[20:23], v[70:71], off offset:8304
	global_load_b128 v[24:27], v[70:71], off offset:8288
	s_clause 0x2
	global_load_b64 v[140:141], v[72:73], off offset:-512
	global_load_b64 v[142:143], v[72:73], off
	global_load_b64 v[144:145], v[72:73], off offset:512
	s_clause 0xb
	global_load_b128 v[84:87], v[70:71], off offset:8272
	global_load_b128 v[88:91], v[70:71], off offset:8256
	;; [unrolled: 1-line block ×12, first 2 shown]
	s_wait_loadcnt 0x1d
	v_sub_co_u32 v74, vcc_lo, v74, v62
	s_wait_alu 0xfffd
	v_sub_co_ci_u32_e64 v75, null, v75, v63, vcc_lo
	s_delay_alu instid0(VALU_DEP_1) | instskip(SKIP_1) | instid1(VALU_DEP_1)
	v_lshlrev_b64_e32 v[74:75], 5, v[74:75]
	s_wait_kmcnt 0x0
	v_add_co_u32 v74, vcc_lo, s4, v74
	s_wait_alu 0xfffd
	s_delay_alu instid0(VALU_DEP_2)
	v_add_co_ci_u32_e64 v75, null, s5, v75, vcc_lo
	s_clause 0x1
	global_load_b128 v[132:135], v[74:75], off
	global_load_b128 v[136:139], v[74:75], off offset:16
	s_wait_loadcnt 0x1
	v_fmac_f32_e32 v65, v55, v132
	v_fmac_f32_e32 v82, v52, v132
	;; [unrolled: 1-line block ×6, first 2 shown]
	v_fma_f32 v64, -v53, v133, v82
	v_fmac_f32_e32 v83, v54, v132
	v_fmac_f32_e32 v80, v50, v132
	;; [unrolled: 1-line block ×5, first 2 shown]
	v_fma_f32 v74, -v55, v133, v83
	v_fma_f32 v146, -v51, v133, v80
	v_fmac_f32_e32 v81, v48, v132
	global_load_b128 v[52:55], v[70:71], off offset:24592
	v_fma_f32 v64, -v45, v135, v64
	v_fmac_f32_e32 v74, v46, v134
	v_fmac_f32_e32 v146, v18, v134
	v_fma_f32 v132, -v49, v133, v81
	s_wait_loadcnt 0x1
	v_dual_fmac_f32 v65, v47, v134 :: v_dual_fmac_f32 v64, v40, v136
	v_fma_f32 v147, -v47, v135, v74
	v_sub_co_u32 v74, vcc_lo, v140, v62
	s_wait_alu 0xfffd
	v_sub_co_ci_u32_e64 v75, null, v141, v63, vcc_lo
	v_sub_co_u32 v80, vcc_lo, v142, v62
	s_wait_alu 0xfffd
	v_sub_co_ci_u32_e64 v81, null, v143, v63, vcc_lo
	;; [unrolled: 3-line block ×3, first 2 shown]
	v_lshlrev_b64_e32 v[74:75], 5, v[74:75]
	v_lshlrev_b64_e32 v[80:81], 5, v[80:81]
	v_dual_fmac_f32 v65, v46, v135 :: v_dual_fmac_f32 v78, v19, v134
	v_fmac_f32_e32 v132, v16, v134
	v_fmac_f32_e32 v79, v48, v133
	v_lshlrev_b64_e32 v[82:83], 5, v[82:83]
	v_add_co_u32 v74, vcc_lo, s4, v74
	v_dual_fmac_f32 v77, v45, v134 :: v_dual_fmac_f32 v78, v18, v135
	s_wait_alu 0xfffd
	v_add_co_ci_u32_e64 v75, null, s5, v75, vcc_lo
	v_add_co_u32 v140, vcc_lo, s4, v80
	v_fma_f32 v144, -v17, v135, v132
	v_fmac_f32_e32 v79, v17, v134
	s_wait_alu 0xfffd
	v_add_co_ci_u32_e64 v141, null, s5, v81, vcc_lo
	v_add_co_u32 v142, vcc_lo, s4, v82
	global_load_b128 v[48:51], v[70:71], off offset:24576
	v_dual_fmac_f32 v77, v44, v135 :: v_dual_fmac_f32 v78, v39, v136
	global_load_b128 v[44:47], v[70:71], off offset:24656
	s_wait_alu 0xfffd
	v_add_co_ci_u32_e64 v143, null, s5, v83, vcc_lo
	v_fma_f32 v145, -v19, v135, v146
	v_fmac_f32_e32 v144, v36, v136
	v_dual_fmac_f32 v79, v16, v135 :: v_dual_fmac_f32 v78, v38, v137
	s_clause 0x2
	global_load_b128 v[16:19], v[74:75], off
	global_load_b128 v[80:83], v[74:75], off offset:16
	global_load_b128 v[132:135], v[140:141], off
	v_fmac_f32_e32 v147, v42, v136
	v_fma_f32 v64, -v41, v137, v64
	v_dual_fmac_f32 v77, v41, v136 :: v_dual_fmac_f32 v78, v31, v138
	v_fmac_f32_e32 v79, v37, v136
	s_delay_alu instid0(VALU_DEP_4)
	v_fma_f32 v74, -v43, v137, v147
	v_fmac_f32_e32 v65, v43, v136
	v_fma_f32 v75, -v37, v137, v144
	v_fmac_f32_e32 v64, v32, v138
	v_fmac_f32_e32 v78, v30, v139
	;; [unrolled: 1-line block ×3, first 2 shown]
	s_delay_alu instid0(VALU_DEP_4) | instskip(NEXT) | instid1(VALU_DEP_4)
	v_fmac_f32_e32 v75, v28, v138
	v_fma_f32 v64, -v33, v139, v64
	v_fmac_f32_e32 v65, v42, v137
	s_delay_alu instid0(VALU_DEP_4) | instskip(SKIP_1) | instid1(VALU_DEP_1)
	v_fma_f32 v74, -v35, v139, v74
	s_wait_loadcnt 0x2
	v_dual_fmac_f32 v79, v36, v137 :: v_dual_fmac_f32 v74, v14, v16
	v_fmac_f32_e32 v78, v11, v16
	v_dual_fmac_f32 v64, v12, v16 :: v_dual_fmac_f32 v65, v35, v138
	v_fma_f32 v75, -v29, v139, v75
	s_delay_alu instid0(VALU_DEP_3) | instskip(SKIP_1) | instid1(VALU_DEP_2)
	v_fmac_f32_e32 v78, v10, v17
	v_fmac_f32_e32 v145, v38, v136
	v_dual_fmac_f32 v75, v8, v16 :: v_dual_fmac_f32 v78, v3, v18
	s_delay_alu instid0(VALU_DEP_2)
	v_fma_f32 v136, -v39, v137, v145
	v_fmac_f32_e32 v77, v40, v137
	s_clause 0x1
	global_load_b128 v[40:43], v[140:141], off offset:16
	global_load_b128 v[36:39], v[142:143], off
	v_dual_fmac_f32 v79, v29, v138 :: v_dual_fmac_f32 v78, v2, v19
	v_fmac_f32_e32 v136, v30, v138
	v_fmac_f32_e32 v65, v34, v139
	s_wait_loadcnt 0x3
	s_delay_alu instid0(VALU_DEP_3) | instskip(NEXT) | instid1(VALU_DEP_3)
	v_dual_fmac_f32 v79, v28, v139 :: v_dual_fmac_f32 v78, v87, v80
	v_fma_f32 v144, -v31, v139, v136
	s_delay_alu instid0(VALU_DEP_2) | instskip(NEXT) | instid1(VALU_DEP_1)
	v_dual_fmac_f32 v77, v33, v138 :: v_dual_fmac_f32 v78, v86, v81
	v_dual_fmac_f32 v144, v10, v16 :: v_dual_fmac_f32 v77, v32, v139
	global_load_b128 v[32:35], v[70:71], off offset:24640
	global_load_b128 v[140:143], v[142:143], off offset:16
	s_clause 0x1
	global_load_b128 v[28:31], v[70:71], off offset:24672
	global_load_b128 v[136:139], v[70:71], off offset:24688
	v_dual_fmac_f32 v79, v9, v16 :: v_dual_fmac_f32 v78, v23, v82
	v_fmac_f32_e32 v77, v13, v16
	v_fma_f32 v13, -v13, v17, v64
	v_fma_f32 v9, -v9, v17, v75
	s_delay_alu instid0(VALU_DEP_4) | instskip(SKIP_1) | instid1(VALU_DEP_4)
	v_fmac_f32_e32 v79, v8, v17
	v_fma_f32 v8, -v11, v17, v144
	v_dual_fmac_f32 v78, v22, v83 :: v_dual_fmac_f32 v13, v4, v18
	s_delay_alu instid0(VALU_DEP_4) | instskip(NEXT) | instid1(VALU_DEP_4)
	v_fmac_f32_e32 v9, v0, v18
	v_fmac_f32_e32 v79, v1, v18
	s_delay_alu instid0(VALU_DEP_4) | instskip(SKIP_2) | instid1(VALU_DEP_3)
	v_dual_fmac_f32 v8, v2, v18 :: v_dual_fmac_f32 v77, v12, v17
	v_fma_f32 v12, -v15, v17, v74
	s_wait_loadcnt 0x6
	v_dual_fmac_f32 v78, v103, v132 :: v_dual_fmac_f32 v79, v0, v19
	s_delay_alu instid0(VALU_DEP_3) | instskip(SKIP_3) | instid1(VALU_DEP_4)
	v_fma_f32 v0, -v3, v19, v8
	v_fma_f32 v1, -v1, v19, v9
	v_fmac_f32_e32 v12, v6, v18
	v_add_co_u32 v70, vcc_lo, 0x8000, v70
	v_fmac_f32_e32 v0, v86, v80
	s_wait_alu 0xfffd
	v_add_co_ci_u32_e64 v71, null, 0, v71, vcc_lo
	v_add_co_u32 v66, vcc_lo, 0x100, v66
	s_delay_alu instid0(VALU_DEP_3) | instskip(SKIP_3) | instid1(VALU_DEP_3)
	v_fma_f32 v0, -v87, v81, v0
	s_wait_alu 0xfffd
	v_add_co_ci_u32_e64 v67, null, 0, v67, vcc_lo
	v_add_co_u32 v72, vcc_lo, 0x800, v72
	v_fmac_f32_e32 v0, v22, v82
	v_fmac_f32_e32 v78, v102, v133
	s_wait_alu 0xfffd
	v_add_co_ci_u32_e64 v73, null, 0, v73, vcc_lo
	v_cmp_ge_i64_e32 vcc_lo, v[66:67], v[68:69]
	v_fma_f32 v0, -v23, v83, v0
	v_fmac_f32_e32 v77, v5, v18
	v_fma_f32 v5, -v5, v19, v13
	v_fmac_f32_e32 v78, v95, v134
	s_delay_alu instid0(VALU_DEP_4) | instskip(SKIP_2) | instid1(VALU_DEP_2)
	v_fmac_f32_e32 v0, v102, v132
	s_wait_alu 0xfffe
	s_or_b32 s6, vcc_lo, s6
	v_dual_fmac_f32 v5, v88, v80 :: v_dual_fmac_f32 v78, v94, v135
	s_delay_alu instid0(VALU_DEP_2) | instskip(SKIP_1) | instid1(VALU_DEP_3)
	v_fma_f32 v0, -v103, v133, v0
	v_fmac_f32_e32 v77, v4, v19
	v_fma_f32 v2, -v89, v81, v5
	v_fmac_f32_e32 v65, v15, v16
	;; [unrolled: 2-line block ×3, first 2 shown]
	s_delay_alu instid0(VALU_DEP_4) | instskip(NEXT) | instid1(VALU_DEP_3)
	v_fmac_f32_e32 v2, v24, v82
	v_fmac_f32_e32 v4, v90, v80
	s_delay_alu instid0(VALU_DEP_3) | instskip(NEXT) | instid1(VALU_DEP_3)
	v_fma_f32 v0, -v95, v135, v0
	v_fma_f32 v2, -v25, v83, v2
	v_fmac_f32_e32 v65, v14, v17
	s_delay_alu instid0(VALU_DEP_4) | instskip(NEXT) | instid1(VALU_DEP_2)
	v_fma_f32 v3, -v91, v81, v4
	v_dual_fmac_f32 v2, v104, v132 :: v_dual_fmac_f32 v65, v7, v18
	s_delay_alu instid0(VALU_DEP_1) | instskip(NEXT) | instid1(VALU_DEP_1)
	v_fma_f32 v2, -v105, v133, v2
	v_dual_fmac_f32 v65, v6, v19 :: v_dual_fmac_f32 v2, v96, v134
	s_delay_alu instid0(VALU_DEP_1) | instskip(SKIP_1) | instid1(VALU_DEP_1)
	v_fma_f32 v2, -v97, v135, v2
	s_wait_loadcnt 0x5
	v_dual_fmac_f32 v3, v26, v82 :: v_dual_fmac_f32 v2, v120, v40
	v_fmac_f32_e32 v0, v118, v40
	v_fmac_f32_e32 v78, v119, v40
	s_delay_alu instid0(VALU_DEP_3) | instskip(NEXT) | instid1(VALU_DEP_4)
	v_fma_f32 v3, -v27, v83, v3
	v_fma_f32 v2, -v121, v41, v2
	v_fmac_f32_e32 v77, v89, v80
	v_fma_f32 v0, -v119, v41, v0
	v_dual_fmac_f32 v65, v91, v80 :: v_dual_fmac_f32 v78, v118, v41
	s_delay_alu instid0(VALU_DEP_4) | instskip(NEXT) | instid1(VALU_DEP_3)
	v_fmac_f32_e32 v2, v112, v42
	v_dual_fmac_f32 v77, v88, v81 :: v_dual_fmac_f32 v0, v110, v42
	s_delay_alu instid0(VALU_DEP_3) | instskip(NEXT) | instid1(VALU_DEP_4)
	v_fmac_f32_e32 v65, v90, v81
	v_dual_fmac_f32 v1, v84, v80 :: v_dual_fmac_f32 v78, v111, v42
	v_fmac_f32_e32 v79, v85, v80
	s_delay_alu instid0(VALU_DEP_4) | instskip(SKIP_1) | instid1(VALU_DEP_4)
	v_fma_f32 v0, -v111, v43, v0
	v_fma_f32 v2, -v113, v43, v2
	;; [unrolled: 1-line block ×3, first 2 shown]
	s_delay_alu instid0(VALU_DEP_4) | instskip(SKIP_3) | instid1(VALU_DEP_3)
	v_dual_fmac_f32 v78, v110, v43 :: v_dual_fmac_f32 v79, v84, v81
	s_wait_loadcnt 0x4
	v_dual_fmac_f32 v0, v54, v36 :: v_dual_fmac_f32 v77, v25, v82
	v_fmac_f32_e32 v2, v48, v36
	v_dual_fmac_f32 v1, v20, v82 :: v_dual_fmac_f32 v78, v55, v36
	v_fmac_f32_e32 v65, v27, v82
	s_delay_alu instid0(VALU_DEP_4) | instskip(SKIP_4) | instid1(VALU_DEP_4)
	v_fma_f32 v0, -v55, v37, v0
	v_fmac_f32_e32 v77, v24, v83
	v_fma_f32 v2, -v49, v37, v2
	v_fmac_f32_e32 v78, v54, v37
	v_fmac_f32_e32 v65, v26, v83
	v_dual_fmac_f32 v0, v126, v38 :: v_dual_fmac_f32 v77, v105, v132
	s_delay_alu instid0(VALU_DEP_4) | instskip(NEXT) | instid1(VALU_DEP_4)
	v_fmac_f32_e32 v2, v128, v38
	v_fmac_f32_e32 v78, v127, v38
	;; [unrolled: 1-line block ×3, first 2 shown]
	s_delay_alu instid0(VALU_DEP_4)
	v_fma_f32 v0, -v127, v39, v0
	v_fma_f32 v1, -v21, v83, v1
	;; [unrolled: 1-line block ×3, first 2 shown]
	v_dual_fmac_f32 v78, v126, v39 :: v_dual_fmac_f32 v77, v104, v133
	s_wait_loadcnt 0x2
	v_dual_fmac_f32 v79, v20, v83 :: v_dual_fmac_f32 v0, v46, v140
	s_delay_alu instid0(VALU_DEP_3) | instskip(NEXT) | instid1(VALU_DEP_3)
	v_fmac_f32_e32 v2, v32, v140
	v_fmac_f32_e32 v78, v47, v140
	;; [unrolled: 1-line block ×4, first 2 shown]
	v_fma_f32 v0, -v47, v141, v0
	s_delay_alu instid0(VALU_DEP_4) | instskip(NEXT) | instid1(VALU_DEP_4)
	v_dual_fmac_f32 v1, v100, v132 :: v_dual_fmac_f32 v78, v46, v141
	v_fmac_f32_e32 v65, v106, v133
	v_fmac_f32_e32 v79, v101, v132
	v_fma_f32 v2, -v33, v141, v2
	v_fmac_f32_e32 v3, v106, v132
	s_wait_loadcnt 0x0
	v_fmac_f32_e32 v0, v138, v142
	v_fma_f32 v1, -v101, v133, v1
	v_dual_fmac_f32 v78, v139, v142 :: v_dual_fmac_f32 v79, v100, v133
	v_fmac_f32_e32 v2, v28, v142
	v_fma_f32 v3, -v107, v133, v3
	v_fmac_f32_e32 v65, v99, v134
	s_delay_alu instid0(VALU_DEP_4) | instskip(SKIP_1) | instid1(VALU_DEP_4)
	v_dual_fmac_f32 v1, v92, v134 :: v_dual_fmac_f32 v78, v138, v143
	v_fmac_f32_e32 v79, v93, v134
	v_fmac_f32_e32 v3, v98, v134
	v_fmac_f32_e32 v77, v96, v135
	v_fmac_f32_e32 v65, v98, v135
	v_fma_f32 v1, -v93, v135, v1
	v_fmac_f32_e32 v79, v92, v135
	v_fma_f32 v3, -v99, v135, v3
	v_fmac_f32_e32 v77, v121, v40
	v_fmac_f32_e32 v65, v123, v40
	v_fmac_f32_e32 v1, v116, v40
	v_fmac_f32_e32 v79, v117, v40
	v_fmac_f32_e32 v3, v122, v40
	v_fmac_f32_e32 v77, v120, v41
	v_fmac_f32_e32 v65, v122, v41
	v_fma_f32 v1, -v117, v41, v1
	v_fmac_f32_e32 v79, v116, v41
	v_fma_f32 v3, -v123, v41, v3
	v_fmac_f32_e32 v77, v113, v42
	v_fmac_f32_e32 v65, v115, v42
	v_fmac_f32_e32 v1, v108, v42
	;; [unrolled: 10-line block ×6, first 2 shown]
	v_fmac_f32_e32 v79, v137, v142
	v_fmac_f32_e32 v3, v30, v142
	v_fma_f32 v82, -v29, v143, v2
	v_fmac_f32_e32 v77, v28, v143
	v_fmac_f32_e32 v65, v30, v143
	v_fma_f32 v81, -v137, v143, v1
	v_fma_f32 v83, -v31, v143, v3
	v_fmac_f32_e32 v79, v136, v143
	v_fma_f32 v80, -v139, v143, v0
	s_wait_alu 0xfffe
	s_and_not1_b32 exec_lo, exec_lo, s6
	s_cbranch_execnz .LBB54_33
; %bb.34:
	s_or_b32 exec_lo, exec_lo, s6
.LBB54_35:
	s_wait_alu 0xfffe
	s_or_b32 exec_lo, exec_lo, s2
.LBB54_36:
	s_wait_alu 0xfffe
	s_or_b32 exec_lo, exec_lo, s3
.LBB54_37:
	v_mbcnt_lo_u32_b32 v0, -1, 0
	s_delay_alu instid0(VALU_DEP_1) | instskip(SKIP_2) | instid1(VALU_DEP_3)
	v_or_b32_e32 v1, 32, v0
	v_xor_b32_e32 v9, 16, v0
	v_xor_b32_e32 v17, 8, v0
	v_cmp_gt_i32_e32 vcc_lo, 32, v1
	s_wait_alu 0xfffd
	v_cndmask_b32_e32 v1, v0, v1, vcc_lo
	v_cmp_gt_i32_e32 vcc_lo, 32, v9
	s_delay_alu instid0(VALU_DEP_2)
	v_lshlrev_b32_e32 v1, 2, v1
	ds_bpermute_b32 v4, v1, v83
	s_wait_dscnt 0x0
	v_add_f32_e32 v4, v83, v4
	ds_bpermute_b32 v2, v1, v82
	ds_bpermute_b32 v6, v1, v81
	;; [unrolled: 1-line block ×3, first 2 shown]
	s_wait_alu 0xfffd
	v_cndmask_b32_e32 v9, v0, v9, vcc_lo
	ds_bpermute_b32 v3, v1, v77
	ds_bpermute_b32 v5, v1, v65
	ds_bpermute_b32 v7, v1, v79
	ds_bpermute_b32 v1, v1, v78
	v_cmp_gt_i32_e32 vcc_lo, 32, v17
	s_wait_dscnt 0x6
	s_wait_alu 0xfffd
	v_dual_cndmask_b32 v17, v0, v17 :: v_dual_add_f32 v2, v82, v2
	s_wait_dscnt 0x5
	v_dual_add_f32 v6, v81, v6 :: v_dual_lshlrev_b32 v9, 2, v9
	s_wait_dscnt 0x4
	v_add_f32_e32 v8, v80, v8
	ds_bpermute_b32 v10, v9, v2
	s_wait_dscnt 0x4
	v_add_f32_e32 v3, v77, v3
	ds_bpermute_b32 v12, v9, v4
	ds_bpermute_b32 v14, v9, v6
	;; [unrolled: 1-line block ×3, first 2 shown]
	s_wait_dscnt 0x6
	v_add_f32_e32 v5, v65, v5
	s_wait_dscnt 0x5
	v_add_f32_e32 v7, v79, v7
	s_wait_dscnt 0x4
	v_add_f32_e32 v1, v78, v1
	s_wait_dscnt 0x3
	v_add_f32_e32 v2, v2, v10
	ds_bpermute_b32 v11, v9, v3
	s_wait_dscnt 0x3
	v_dual_add_f32 v4, v4, v12 :: v_dual_lshlrev_b32 v17, 2, v17
	ds_bpermute_b32 v13, v9, v5
	s_wait_dscnt 0x3
	v_add_f32_e32 v6, v6, v14
	ds_bpermute_b32 v15, v9, v7
	s_wait_dscnt 0x3
	v_add_f32_e32 v8, v8, v16
	;; [unrolled: 3-line block ×4, first 2 shown]
	s_wait_dscnt 0x0
	v_dual_add_f32 v4, v4, v11 :: v_dual_add_f32 v1, v1, v9
	ds_bpermute_b32 v9, v17, v2
	ds_bpermute_b32 v15, v17, v8
	v_add_f32_e32 v5, v5, v13
	ds_bpermute_b32 v13, v17, v6
	ds_bpermute_b32 v16, v17, v1
	s_wait_dscnt 0x3
	v_add_f32_e32 v2, v2, v9
	ds_bpermute_b32 v10, v17, v3
	s_wait_dscnt 0x3
	v_add_f32_e32 v8, v8, v15
	;; [unrolled: 3-line block ×3, first 2 shown]
	ds_bpermute_b32 v14, v17, v7
	v_xor_b32_e32 v17, 4, v0
	s_delay_alu instid0(VALU_DEP_1) | instskip(SKIP_2) | instid1(VALU_DEP_1)
	v_cmp_gt_i32_e32 vcc_lo, 32, v17
	s_wait_alu 0xfffd
	v_cndmask_b32_e32 v17, v0, v17, vcc_lo
	v_lshlrev_b32_e32 v17, 2, v17
	s_wait_dscnt 0x0
	v_add_f32_e32 v7, v7, v14
	ds_bpermute_b32 v15, v17, v8
	s_wait_dscnt 0x0
	v_add_f32_e32 v8, v8, v15
	ds_bpermute_b32 v11, v17, v4
	ds_bpermute_b32 v9, v17, v2
	;; [unrolled: 1-line block ×3, first 2 shown]
	v_add_f32_e32 v3, v3, v10
	v_add_f32_e32 v5, v5, v12
	ds_bpermute_b32 v14, v17, v7
	s_wait_dscnt 0x3
	v_dual_add_f32 v4, v4, v11 :: v_dual_add_f32 v1, v1, v16
	s_wait_dscnt 0x2
	v_add_f32_e32 v2, v2, v9
	ds_bpermute_b32 v10, v17, v3
	s_wait_dscnt 0x2
	v_add_f32_e32 v6, v6, v13
	ds_bpermute_b32 v12, v17, v5
	ds_bpermute_b32 v16, v17, v1
	v_xor_b32_e32 v17, 2, v0
	s_wait_dscnt 0x3
	v_add_f32_e32 v7, v7, v14
	s_delay_alu instid0(VALU_DEP_2) | instskip(SKIP_2) | instid1(VALU_DEP_1)
	v_cmp_gt_i32_e32 vcc_lo, 32, v17
	s_wait_alu 0xfffd
	v_cndmask_b32_e32 v17, v0, v17, vcc_lo
	v_lshlrev_b32_e32 v17, 2, v17
	s_wait_dscnt 0x0
	v_add_f32_e32 v9, v1, v16
	ds_bpermute_b32 v1, v17, v2
	v_add_f32_e32 v3, v3, v10
	ds_bpermute_b32 v13, v17, v6
	;; [unrolled: 2-line block ×3, first 2 shown]
	ds_bpermute_b32 v14, v17, v7
	ds_bpermute_b32 v10, v17, v3
	;; [unrolled: 1-line block ×5, first 2 shown]
	v_xor_b32_e32 v17, 1, v0
	s_delay_alu instid0(VALU_DEP_1) | instskip(SKIP_4) | instid1(VALU_DEP_2)
	v_cmp_gt_i32_e32 vcc_lo, 32, v17
	s_wait_alu 0xfffd
	v_cndmask_b32_e32 v0, v0, v17, vcc_lo
	v_cmp_eq_u32_e32 vcc_lo, 63, v76
	s_wait_dscnt 0x7
	v_dual_add_f32 v0, v2, v1 :: v_dual_lshlrev_b32 v17, 2, v0
	s_wait_dscnt 0x3
	v_dual_add_f32 v1, v3, v10 :: v_dual_add_f32 v2, v4, v11
	s_wait_dscnt 0x1
	v_dual_add_f32 v4, v6, v13 :: v_dual_add_f32 v3, v5, v12
	v_dual_add_f32 v5, v7, v14 :: v_dual_add_f32 v6, v8, v15
	s_wait_dscnt 0x0
	v_add_f32_e32 v7, v9, v16
	ds_bpermute_b32 v8, v17, v0
	ds_bpermute_b32 v9, v17, v1
	;; [unrolled: 1-line block ×8, first 2 shown]
	s_and_b32 exec_lo, exec_lo, vcc_lo
	s_cbranch_execz .LBB54_8
; %bb.38:
	s_load_b64 s[2:3], s[0:1], 0x58
	s_wait_dscnt 0x7
	v_add_f32_e32 v8, v0, v8
	s_wait_dscnt 0x6
	v_add_f32_e32 v0, v1, v9
	s_wait_dscnt 0x4
	v_dual_add_f32 v10, v2, v10 :: v_dual_add_f32 v1, v3, v11
	s_wait_dscnt 0x2
	v_dual_add_f32 v11, v4, v12 :: v_dual_add_f32 v2, v5, v13
	v_mul_f32_e32 v5, v58, v0
	s_wait_dscnt 0x0
	v_add_f32_e32 v3, v7, v15
	v_mul_f32_e64 v4, v0, -v59
	v_add_f32_e32 v12, v6, v14
	v_mul_f32_e64 v6, v1, -v59
	v_mul_f32_e32 v7, v58, v1
	v_mul_f32_e64 v0, v2, -v59
	v_mul_f32_e32 v1, v58, v2
	;; [unrolled: 2-line block ×3, first 2 shown]
	v_cmp_eq_f32_e32 vcc_lo, 0, v56
	v_cmp_eq_f32_e64 s0, 0, v57
	v_dual_fmac_f32 v4, v58, v8 :: v_dual_fmac_f32 v7, v59, v10
	v_fmac_f32_e32 v5, v59, v8
	v_lshlrev_b64_e32 v[8:9], 5, v[60:61]
	v_dual_fmac_f32 v6, v58, v10 :: v_dual_fmac_f32 v1, v59, v11
	v_dual_fmac_f32 v0, v58, v11 :: v_dual_fmac_f32 v3, v59, v12
	v_fmac_f32_e32 v2, v58, v12
	s_and_b32 s0, vcc_lo, s0
	s_wait_alu 0xfffe
	s_and_saveexec_b32 s1, s0
	s_wait_alu 0xfffe
	s_xor_b32 s0, exec_lo, s1
	s_cbranch_execz .LBB54_40
; %bb.39:
	s_wait_kmcnt 0x0
	v_add_co_u32 v8, vcc_lo, s2, v8
	s_wait_alu 0xfffd
	v_add_co_ci_u32_e64 v9, null, s3, v9, vcc_lo
                                        ; implicit-def: $vgpr56_vgpr57
	s_clause 0x1
	global_store_b128 v[8:9], v[4:7], off
	global_store_b128 v[8:9], v[0:3], off offset:16
                                        ; implicit-def: $vgpr4
                                        ; implicit-def: $vgpr8_vgpr9
                                        ; implicit-def: $vgpr0
.LBB54_40:
	s_wait_alu 0xfffe
	s_and_not1_saveexec_b32 s0, s0
	s_cbranch_execz .LBB54_8
; %bb.41:
	s_wait_kmcnt 0x0
	v_add_co_u32 v16, vcc_lo, s2, v8
	s_wait_alu 0xfffd
	v_add_co_ci_u32_e64 v17, null, s3, v9, vcc_lo
	s_clause 0x1
	global_load_b128 v[8:11], v[16:17], off
	global_load_b128 v[12:15], v[16:17], off offset:16
	s_wait_loadcnt 0x1
	v_dual_fmac_f32 v4, v56, v8 :: v_dual_fmac_f32 v7, v57, v10
	v_dual_fmac_f32 v5, v57, v8 :: v_dual_fmac_f32 v6, v56, v10
	s_wait_loadcnt 0x0
	v_dual_fmac_f32 v0, v56, v12 :: v_dual_fmac_f32 v3, v57, v14
	v_dual_fmac_f32 v1, v57, v12 :: v_dual_fmac_f32 v2, v56, v14
	v_fma_f32 v4, -v57, v9, v4
	v_fmac_f32_e32 v5, v56, v9
	v_fma_f32 v6, -v57, v11, v6
	v_fmac_f32_e32 v7, v56, v11
	;; [unrolled: 2-line block ×4, first 2 shown]
	s_clause 0x1
	global_store_b128 v[16:17], v[4:7], off
	global_store_b128 v[16:17], v[0:3], off offset:16
	s_nop 0
	s_sendmsg sendmsg(MSG_DEALLOC_VGPRS)
	s_endpgm
	.section	.rodata,"a",@progbits
	.p2align	6, 0x0
	.amdhsa_kernel _ZN9rocsparseL18bsrxmvn_4x4_kernelILj128ELj64E21rocsparse_complex_numIfEllS2_S2_S2_EEvT3_20rocsparse_direction_NS_24const_host_device_scalarIT1_EES3_PKS3_PKT2_SC_S9_PKT4_PKT5_S7_PT6_21rocsparse_index_base_b
		.amdhsa_group_segment_fixed_size 0
		.amdhsa_private_segment_fixed_size 0
		.amdhsa_kernarg_size 104
		.amdhsa_user_sgpr_count 2
		.amdhsa_user_sgpr_dispatch_ptr 0
		.amdhsa_user_sgpr_queue_ptr 0
		.amdhsa_user_sgpr_kernarg_segment_ptr 1
		.amdhsa_user_sgpr_dispatch_id 0
		.amdhsa_user_sgpr_private_segment_size 0
		.amdhsa_wavefront_size32 1
		.amdhsa_uses_dynamic_stack 0
		.amdhsa_enable_private_segment 0
		.amdhsa_system_sgpr_workgroup_id_x 1
		.amdhsa_system_sgpr_workgroup_id_y 0
		.amdhsa_system_sgpr_workgroup_id_z 0
		.amdhsa_system_sgpr_workgroup_info 0
		.amdhsa_system_vgpr_workitem_id 0
		.amdhsa_next_free_vgpr 180
		.amdhsa_next_free_sgpr 12
		.amdhsa_reserve_vcc 1
		.amdhsa_float_round_mode_32 0
		.amdhsa_float_round_mode_16_64 0
		.amdhsa_float_denorm_mode_32 3
		.amdhsa_float_denorm_mode_16_64 3
		.amdhsa_fp16_overflow 0
		.amdhsa_workgroup_processor_mode 1
		.amdhsa_memory_ordered 1
		.amdhsa_forward_progress 1
		.amdhsa_inst_pref_size 71
		.amdhsa_round_robin_scheduling 0
		.amdhsa_exception_fp_ieee_invalid_op 0
		.amdhsa_exception_fp_denorm_src 0
		.amdhsa_exception_fp_ieee_div_zero 0
		.amdhsa_exception_fp_ieee_overflow 0
		.amdhsa_exception_fp_ieee_underflow 0
		.amdhsa_exception_fp_ieee_inexact 0
		.amdhsa_exception_int_div_zero 0
	.end_amdhsa_kernel
	.section	.text._ZN9rocsparseL18bsrxmvn_4x4_kernelILj128ELj64E21rocsparse_complex_numIfEllS2_S2_S2_EEvT3_20rocsparse_direction_NS_24const_host_device_scalarIT1_EES3_PKS3_PKT2_SC_S9_PKT4_PKT5_S7_PT6_21rocsparse_index_base_b,"axG",@progbits,_ZN9rocsparseL18bsrxmvn_4x4_kernelILj128ELj64E21rocsparse_complex_numIfEllS2_S2_S2_EEvT3_20rocsparse_direction_NS_24const_host_device_scalarIT1_EES3_PKS3_PKT2_SC_S9_PKT4_PKT5_S7_PT6_21rocsparse_index_base_b,comdat
.Lfunc_end54:
	.size	_ZN9rocsparseL18bsrxmvn_4x4_kernelILj128ELj64E21rocsparse_complex_numIfEllS2_S2_S2_EEvT3_20rocsparse_direction_NS_24const_host_device_scalarIT1_EES3_PKS3_PKT2_SC_S9_PKT4_PKT5_S7_PT6_21rocsparse_index_base_b, .Lfunc_end54-_ZN9rocsparseL18bsrxmvn_4x4_kernelILj128ELj64E21rocsparse_complex_numIfEllS2_S2_S2_EEvT3_20rocsparse_direction_NS_24const_host_device_scalarIT1_EES3_PKS3_PKT2_SC_S9_PKT4_PKT5_S7_PT6_21rocsparse_index_base_b
                                        ; -- End function
	.set _ZN9rocsparseL18bsrxmvn_4x4_kernelILj128ELj64E21rocsparse_complex_numIfEllS2_S2_S2_EEvT3_20rocsparse_direction_NS_24const_host_device_scalarIT1_EES3_PKS3_PKT2_SC_S9_PKT4_PKT5_S7_PT6_21rocsparse_index_base_b.num_vgpr, 180
	.set _ZN9rocsparseL18bsrxmvn_4x4_kernelILj128ELj64E21rocsparse_complex_numIfEllS2_S2_S2_EEvT3_20rocsparse_direction_NS_24const_host_device_scalarIT1_EES3_PKS3_PKT2_SC_S9_PKT4_PKT5_S7_PT6_21rocsparse_index_base_b.num_agpr, 0
	.set _ZN9rocsparseL18bsrxmvn_4x4_kernelILj128ELj64E21rocsparse_complex_numIfEllS2_S2_S2_EEvT3_20rocsparse_direction_NS_24const_host_device_scalarIT1_EES3_PKS3_PKT2_SC_S9_PKT4_PKT5_S7_PT6_21rocsparse_index_base_b.numbered_sgpr, 12
	.set _ZN9rocsparseL18bsrxmvn_4x4_kernelILj128ELj64E21rocsparse_complex_numIfEllS2_S2_S2_EEvT3_20rocsparse_direction_NS_24const_host_device_scalarIT1_EES3_PKS3_PKT2_SC_S9_PKT4_PKT5_S7_PT6_21rocsparse_index_base_b.num_named_barrier, 0
	.set _ZN9rocsparseL18bsrxmvn_4x4_kernelILj128ELj64E21rocsparse_complex_numIfEllS2_S2_S2_EEvT3_20rocsparse_direction_NS_24const_host_device_scalarIT1_EES3_PKS3_PKT2_SC_S9_PKT4_PKT5_S7_PT6_21rocsparse_index_base_b.private_seg_size, 0
	.set _ZN9rocsparseL18bsrxmvn_4x4_kernelILj128ELj64E21rocsparse_complex_numIfEllS2_S2_S2_EEvT3_20rocsparse_direction_NS_24const_host_device_scalarIT1_EES3_PKS3_PKT2_SC_S9_PKT4_PKT5_S7_PT6_21rocsparse_index_base_b.uses_vcc, 1
	.set _ZN9rocsparseL18bsrxmvn_4x4_kernelILj128ELj64E21rocsparse_complex_numIfEllS2_S2_S2_EEvT3_20rocsparse_direction_NS_24const_host_device_scalarIT1_EES3_PKS3_PKT2_SC_S9_PKT4_PKT5_S7_PT6_21rocsparse_index_base_b.uses_flat_scratch, 0
	.set _ZN9rocsparseL18bsrxmvn_4x4_kernelILj128ELj64E21rocsparse_complex_numIfEllS2_S2_S2_EEvT3_20rocsparse_direction_NS_24const_host_device_scalarIT1_EES3_PKS3_PKT2_SC_S9_PKT4_PKT5_S7_PT6_21rocsparse_index_base_b.has_dyn_sized_stack, 0
	.set _ZN9rocsparseL18bsrxmvn_4x4_kernelILj128ELj64E21rocsparse_complex_numIfEllS2_S2_S2_EEvT3_20rocsparse_direction_NS_24const_host_device_scalarIT1_EES3_PKS3_PKT2_SC_S9_PKT4_PKT5_S7_PT6_21rocsparse_index_base_b.has_recursion, 0
	.set _ZN9rocsparseL18bsrxmvn_4x4_kernelILj128ELj64E21rocsparse_complex_numIfEllS2_S2_S2_EEvT3_20rocsparse_direction_NS_24const_host_device_scalarIT1_EES3_PKS3_PKT2_SC_S9_PKT4_PKT5_S7_PT6_21rocsparse_index_base_b.has_indirect_call, 0
	.section	.AMDGPU.csdata,"",@progbits
; Kernel info:
; codeLenInByte = 9076
; TotalNumSgprs: 14
; NumVgprs: 180
; ScratchSize: 0
; MemoryBound: 0
; FloatMode: 240
; IeeeMode: 1
; LDSByteSize: 0 bytes/workgroup (compile time only)
; SGPRBlocks: 0
; VGPRBlocks: 22
; NumSGPRsForWavesPerEU: 14
; NumVGPRsForWavesPerEU: 180
; Occupancy: 8
; WaveLimiterHint : 1
; COMPUTE_PGM_RSRC2:SCRATCH_EN: 0
; COMPUTE_PGM_RSRC2:USER_SGPR: 2
; COMPUTE_PGM_RSRC2:TRAP_HANDLER: 0
; COMPUTE_PGM_RSRC2:TGID_X_EN: 1
; COMPUTE_PGM_RSRC2:TGID_Y_EN: 0
; COMPUTE_PGM_RSRC2:TGID_Z_EN: 0
; COMPUTE_PGM_RSRC2:TIDIG_COMP_CNT: 0
	.section	.text._ZN9rocsparseL18bsrxmvn_4x4_kernelILj128ELj4E21rocsparse_complex_numIdEllS2_S2_S2_EEvT3_20rocsparse_direction_NS_24const_host_device_scalarIT1_EES3_PKS3_PKT2_SC_S9_PKT4_PKT5_S7_PT6_21rocsparse_index_base_b,"axG",@progbits,_ZN9rocsparseL18bsrxmvn_4x4_kernelILj128ELj4E21rocsparse_complex_numIdEllS2_S2_S2_EEvT3_20rocsparse_direction_NS_24const_host_device_scalarIT1_EES3_PKS3_PKT2_SC_S9_PKT4_PKT5_S7_PT6_21rocsparse_index_base_b,comdat
	.globl	_ZN9rocsparseL18bsrxmvn_4x4_kernelILj128ELj4E21rocsparse_complex_numIdEllS2_S2_S2_EEvT3_20rocsparse_direction_NS_24const_host_device_scalarIT1_EES3_PKS3_PKT2_SC_S9_PKT4_PKT5_S7_PT6_21rocsparse_index_base_b ; -- Begin function _ZN9rocsparseL18bsrxmvn_4x4_kernelILj128ELj4E21rocsparse_complex_numIdEllS2_S2_S2_EEvT3_20rocsparse_direction_NS_24const_host_device_scalarIT1_EES3_PKS3_PKT2_SC_S9_PKT4_PKT5_S7_PT6_21rocsparse_index_base_b
	.p2align	8
	.type	_ZN9rocsparseL18bsrxmvn_4x4_kernelILj128ELj4E21rocsparse_complex_numIdEllS2_S2_S2_EEvT3_20rocsparse_direction_NS_24const_host_device_scalarIT1_EES3_PKS3_PKT2_SC_S9_PKT4_PKT5_S7_PT6_21rocsparse_index_base_b,@function
_ZN9rocsparseL18bsrxmvn_4x4_kernelILj128ELj4E21rocsparse_complex_numIdEllS2_S2_S2_EEvT3_20rocsparse_direction_NS_24const_host_device_scalarIT1_EES3_PKS3_PKT2_SC_S9_PKT4_PKT5_S7_PT6_21rocsparse_index_base_b: ; @_ZN9rocsparseL18bsrxmvn_4x4_kernelILj128ELj4E21rocsparse_complex_numIdEllS2_S2_S2_EEvT3_20rocsparse_direction_NS_24const_host_device_scalarIT1_EES3_PKS3_PKT2_SC_S9_PKT4_PKT5_S7_PT6_21rocsparse_index_base_b
; %bb.0:
	s_clause 0x1
	s_load_b64 s[4:5], s[0:1], 0x70
	s_load_b64 s[2:3], s[0:1], 0x10
	s_add_nc_u64 s[6:7], s[0:1], 16
	s_load_b64 s[8:9], s[0:1], 0x58
	s_wait_kmcnt 0x0
	s_bitcmp1_b32 s5, 0
	s_cselect_b32 s2, s6, s2
	s_cselect_b32 s3, s7, s3
	s_delay_alu instid0(SALU_CYCLE_1)
	v_dual_mov_b32 v1, s2 :: v_dual_mov_b32 v2, s3
	s_add_nc_u64 s[2:3], s[0:1], 0x58
	s_wait_alu 0xfffe
	s_cselect_b32 s2, s2, s8
	s_cselect_b32 s3, s3, s9
	flat_load_b128 v[5:8], v[1:2]
	s_wait_alu 0xfffe
	v_dual_mov_b32 v1, s2 :: v_dual_mov_b32 v2, s3
	flat_load_b128 v[1:4], v[1:2]
	s_wait_loadcnt_dscnt 0x101
	v_cmp_eq_f64_e32 vcc_lo, 0, v[5:6]
	v_cmp_eq_f64_e64 s2, 0, v[7:8]
	s_and_b32 s5, vcc_lo, s2
	s_mov_b32 s2, -1
	s_and_saveexec_b32 s3, s5
	s_cbranch_execz .LBB55_2
; %bb.1:
	s_wait_loadcnt_dscnt 0x0
	v_cmp_neq_f64_e32 vcc_lo, 1.0, v[1:2]
	v_cmp_neq_f64_e64 s2, 0, v[3:4]
	s_wait_alu 0xfffe
	s_or_b32 s2, vcc_lo, s2
	s_wait_alu 0xfffe
	s_or_not1_b32 s2, s2, exec_lo
.LBB55_2:
	s_wait_alu 0xfffe
	s_or_b32 exec_lo, exec_lo, s3
	s_and_saveexec_b32 s3, s2
	s_cbranch_execz .LBB55_8
; %bb.3:
	s_load_b64 s[2:3], s[0:1], 0x28
	v_lshrrev_b32_e32 v9, 2, v0
	v_mov_b32_e32 v12, 0
	s_delay_alu instid0(VALU_DEP_2)
	v_lshl_or_b32 v11, ttmp9, 5, v9
	s_wait_kmcnt 0x0
	s_cmp_lg_u64 s[2:3], 0
	s_cbranch_scc0 .LBB55_9
; %bb.4:
	s_load_b64 s[6:7], s[0:1], 0x20
                                        ; implicit-def: $vgpr21_vgpr22
                                        ; implicit-def: $vgpr9_vgpr10
	s_wait_kmcnt 0x0
	v_cmp_gt_i64_e32 vcc_lo, s[6:7], v[11:12]
	s_mov_b32 s7, 0
	s_mov_b32 s6, 0
	s_and_saveexec_b32 s5, vcc_lo
	s_delay_alu instid0(SALU_CYCLE_1)
	s_xor_b32 s8, exec_lo, s5
	s_cbranch_execz .LBB55_6
; %bb.5:
	v_lshlrev_b64_e32 v[9:10], 3, v[11:12]
	s_mov_b32 s5, 0
	s_mov_b32 s6, exec_lo
	s_delay_alu instid0(VALU_DEP_1) | instskip(NEXT) | instid1(VALU_DEP_1)
	v_add_co_u32 v9, vcc_lo, s2, v9
	v_add_co_ci_u32_e64 v10, null, s3, v10, vcc_lo
	global_load_b64 v[9:10], v[9:10], off
	s_wait_loadcnt 0x0
	v_sub_co_u32 v21, vcc_lo, v9, s4
	s_wait_alu 0xfffd
	v_subrev_co_ci_u32_e64 v22, null, 0, v10, vcc_lo
	v_dual_mov_b32 v10, s5 :: v_dual_mov_b32 v9, s4
.LBB55_6:
	s_or_b32 exec_lo, exec_lo, s8
	s_wait_alu 0xfffe
	s_and_b32 vcc_lo, exec_lo, s7
	s_wait_alu 0xfffe
	s_cbranch_vccnz .LBB55_10
.LBB55_7:
	s_and_b32 exec_lo, exec_lo, s6
	s_cbranch_execnz .LBB55_13
.LBB55_8:
	s_nop 0
	s_sendmsg sendmsg(MSG_DEALLOC_VGPRS)
	s_endpgm
.LBB55_9:
	s_mov_b32 s6, 0
                                        ; implicit-def: $vgpr21_vgpr22
                                        ; implicit-def: $vgpr9_vgpr10
	s_cbranch_execz .LBB55_7
.LBB55_10:
	s_load_b64 s[2:3], s[0:1], 0x0
	s_wait_kmcnt 0x0
	v_cmp_gt_i64_e32 vcc_lo, s[2:3], v[11:12]
	s_and_saveexec_b32 s2, vcc_lo
; %bb.11:
	s_mov_b32 s5, 0
	s_or_b32 s6, s6, exec_lo
; %bb.12:
	s_wait_alu 0xfffe
	s_or_b32 exec_lo, exec_lo, s2
	v_dual_mov_b32 v10, s5 :: v_dual_mov_b32 v9, s4
	v_dual_mov_b32 v22, v12 :: v_dual_mov_b32 v21, v11
	s_and_b32 exec_lo, exec_lo, s6
	s_cbranch_execz .LBB55_8
.LBB55_13:
	s_load_b256 s[4:11], s[0:1], 0x30
	s_delay_alu instid0(VALU_DEP_1) | instskip(SKIP_3) | instid1(VALU_DEP_2)
	v_lshlrev_b64_e32 v[11:12], 3, v[21:22]
	v_and_b32_e32 v0, 3, v0
	s_load_b32 s3, s[0:1], 0x8
	s_wait_kmcnt 0x0
	v_add_co_u32 v13, vcc_lo, s4, v11
	s_wait_alu 0xfffd
	v_add_co_ci_u32_e64 v14, null, s5, v12, vcc_lo
	v_add_co_u32 v11, vcc_lo, s6, v11
	s_wait_alu 0xfffd
	v_add_co_ci_u32_e64 v12, null, s7, v12, vcc_lo
	v_add_co_u32 v15, vcc_lo, v13, 8
	global_load_b64 v[35:36], v[13:14], off
	s_wait_alu 0xfffd
	v_add_co_ci_u32_e64 v16, null, 0, v14, vcc_lo
	s_cmp_eq_u64 s[6:7], 0
	s_load_b64 s[6:7], s[0:1], 0x50
	s_cselect_b32 vcc_lo, -1, 0
	s_cmp_eq_u32 s3, 1
	s_wait_alu 0xfffe
	v_dual_cndmask_b32 v12, v12, v16 :: v_dual_cndmask_b32 v11, v11, v15
	global_load_b64 v[13:14], v[11:12], off
	s_wait_loadcnt 0x1
	v_sub_co_u32 v11, vcc_lo, v35, v9
	s_wait_alu 0xfffd
	v_sub_co_ci_u32_e64 v12, null, v36, v10, vcc_lo
	s_delay_alu instid0(VALU_DEP_2) | instskip(SKIP_1) | instid1(VALU_DEP_2)
	v_add_co_u32 v11, vcc_lo, v11, v0
	s_wait_alu 0xfffd
	v_add_co_ci_u32_e64 v12, null, 0, v12, vcc_lo
	s_delay_alu instid0(VALU_DEP_1) | instskip(SKIP_4) | instid1(VALU_DEP_3)
	v_lshlrev_b64_e32 v[15:16], 8, v[11:12]
	s_wait_loadcnt 0x0
	v_sub_co_u32 v13, vcc_lo, v13, v9
	s_wait_alu 0xfffd
	v_sub_co_ci_u32_e64 v14, null, v14, v10, vcc_lo
	v_add_co_u32 v15, vcc_lo, s10, v15
	s_delay_alu instid0(VALU_DEP_2)
	v_cmp_lt_i64_e64 s2, v[11:12], v[13:14]
	s_wait_alu 0xfffd
	v_add_co_ci_u32_e64 v16, null, s11, v16, vcc_lo
	s_cbranch_scc1 .LBB55_25
; %bb.14:
	v_mov_b32_e32 v17, 0
	v_mov_b32_e32 v23, 0
	;; [unrolled: 1-line block ×3, first 2 shown]
	v_dual_mov_b32 v33, 0 :: v_dual_mov_b32 v18, 0
	v_dual_mov_b32 v25, 0 :: v_dual_mov_b32 v24, 0
	;; [unrolled: 1-line block ×5, first 2 shown]
	v_mov_b32_e32 v28, 0
	v_mov_b32_e32 v30, 0
	;; [unrolled: 1-line block ×3, first 2 shown]
	s_and_saveexec_b32 s5, s2
	s_cbranch_execz .LBB55_24
; %bb.15:
	v_or_b32_e32 v17, 4, v0
	v_not_b32_e32 v24, v35
	v_dual_mov_b32 v38, 0 :: v_dual_mov_b32 v19, 0
	v_not_b32_e32 v23, v36
	s_delay_alu instid0(VALU_DEP_4) | instskip(SKIP_3) | instid1(VALU_DEP_3)
	v_sub_co_u32 v17, vcc_lo, v17, v9
	s_wait_alu 0xfffd
	v_sub_co_ci_u32_e64 v18, null, 0, v10, vcc_lo
	v_mov_b32_e32 v27, 0
	v_add_co_u32 v17, vcc_lo, v17, v35
	s_wait_alu 0xfffd
	s_delay_alu instid0(VALU_DEP_3) | instskip(SKIP_3) | instid1(VALU_DEP_3)
	v_add_co_ci_u32_e64 v18, null, v18, v36, vcc_lo
	v_sub_co_u32 v25, vcc_lo, v9, v0
	s_wait_alu 0xfffd
	v_subrev_co_ci_u32_e64 v26, null, 0, v10, vcc_lo
	v_cmp_gt_i64_e32 vcc_lo, v[17:18], v[13:14]
	v_mov_b32_e32 v20, 0
	v_add_co_u32 v24, s3, v25, v24
	s_wait_alu 0xf1ff
	v_add_co_ci_u32_e64 v23, null, v26, v23, s3
	s_wait_alu 0xfffd
	v_dual_cndmask_b32 v17, v13, v17 :: v_dual_cndmask_b32 v18, v14, v18
	v_mov_b32_e32 v33, 0
	v_dual_mov_b32 v34, 0 :: v_dual_mov_b32 v29, 0
	s_delay_alu instid0(VALU_DEP_3) | instskip(SKIP_1) | instid1(VALU_DEP_2)
	v_add_co_u32 v41, vcc_lo, v24, v17
	v_dual_mov_b32 v30, 0 :: v_dual_mov_b32 v31, 0
	v_dual_mov_b32 v32, 0 :: v_dual_and_b32 v37, 12, v41
	v_mov_b32_e32 v25, 0
	s_wait_alu 0xfffd
	v_add_co_ci_u32_e64 v42, null, v23, v18, vcc_lo
	v_dual_mov_b32 v28, 0 :: v_dual_mov_b32 v23, 0
	v_dual_mov_b32 v26, 0 :: v_dual_mov_b32 v17, 0
	v_cmp_ne_u64_e32 vcc_lo, 12, v[37:38]
	v_mov_b32_e32 v24, 0
	v_mov_b32_e32 v18, 0
	v_dual_mov_b32 v40, v16 :: v_dual_mov_b32 v39, v15
	v_dual_mov_b32 v38, v12 :: v_dual_mov_b32 v37, v11
	s_and_saveexec_b32 s4, vcc_lo
	s_cbranch_execz .LBB55_19
; %bb.16:
	v_lshrrev_b32_e32 v17, 2, v41
	v_lshlrev_b64_e32 v[19:20], 3, v[11:12]
	v_mov_b32_e32 v31, 0
	v_mov_b32_e32 v25, 0
	;; [unrolled: 1-line block ×3, first 2 shown]
	v_add_nc_u32_e32 v27, 1, v17
	v_dual_mov_b32 v17, 0 :: v_dual_mov_b32 v38, v12
	v_mov_b32_e32 v18, 0
	v_add_co_u32 v43, vcc_lo, s8, v19
	s_delay_alu instid0(VALU_DEP_4) | instskip(SKIP_3) | instid1(VALU_DEP_3)
	v_dual_mov_b32 v32, 0 :: v_dual_and_b32 v27, 3, v27
	s_wait_alu 0xfffd
	v_add_co_ci_u32_e64 v44, null, s9, v20, vcc_lo
	v_mov_b32_e32 v29, 0
	v_sub_co_u32 v45, s3, 0, v27
	v_dual_mov_b32 v27, 0 :: v_dual_mov_b32 v30, 0
	v_dual_mov_b32 v33, 0 :: v_dual_mov_b32 v40, v16
	v_mov_b32_e32 v19, 0
	v_dual_mov_b32 v37, v11 :: v_dual_mov_b32 v26, 0
	v_mov_b32_e32 v24, 0
	s_wait_alu 0xf1ff
	v_sub_co_ci_u32_e64 v46, null, 0, 0, s3
	v_mov_b32_e32 v28, 0
	v_mov_b32_e32 v34, 0
	v_dual_mov_b32 v20, 0 :: v_dual_mov_b32 v39, v15
	s_mov_b32 s10, 0
.LBB55_17:                              ; =>This Inner Loop Header: Depth=1
	global_load_b64 v[79:80], v[43:44], off
	s_clause 0x7
	global_load_b128 v[47:50], v[39:40], off offset:16
	global_load_b128 v[51:54], v[39:40], off
	global_load_b128 v[55:58], v[39:40], off offset:80
	global_load_b128 v[59:62], v[39:40], off offset:64
	;; [unrolled: 1-line block ×6, first 2 shown]
	v_add_co_u32 v43, s3, v43, 32
	s_wait_alu 0xf1ff
	v_add_co_ci_u32_e64 v44, null, 0, v44, s3
	s_wait_loadcnt 0x8
	v_sub_co_u32 v79, vcc_lo, v79, v9
	s_wait_alu 0xfffd
	v_sub_co_ci_u32_e64 v80, null, v80, v10, vcc_lo
	s_delay_alu instid0(VALU_DEP_1) | instskip(SKIP_1) | instid1(VALU_DEP_1)
	v_lshlrev_b64_e32 v[79:80], 6, v[79:80]
	s_wait_kmcnt 0x0
	v_add_co_u32 v123, vcc_lo, s6, v79
	s_wait_alu 0xfffd
	s_delay_alu instid0(VALU_DEP_2)
	v_add_co_ci_u32_e64 v124, null, s7, v80, vcc_lo
	s_clause 0x1
	global_load_b128 v[79:82], v[123:124], off
	global_load_b128 v[83:86], v[123:124], off offset:16
	s_clause 0x7
	global_load_b128 v[87:90], v[39:40], off offset:48
	global_load_b128 v[91:94], v[39:40], off offset:32
	global_load_b128 v[95:98], v[39:40], off offset:112
	global_load_b128 v[99:102], v[39:40], off offset:96
	global_load_b128 v[103:106], v[39:40], off offset:176
	global_load_b128 v[107:110], v[39:40], off offset:160
	global_load_b128 v[111:114], v[39:40], off offset:240
	global_load_b128 v[115:118], v[39:40], off offset:224
	s_clause 0x1
	global_load_b128 v[119:122], v[123:124], off offset:32
	global_load_b128 v[123:126], v[123:124], off offset:48
	v_add_co_u32 v39, vcc_lo, 0x400, v39
	s_wait_alu 0xfffd
	v_add_co_ci_u32_e64 v40, null, 0, v40, vcc_lo
	v_add_co_u32 v45, vcc_lo, v45, 1
	s_wait_alu 0xfffd
	v_add_co_ci_u32_e64 v46, null, 0, v46, vcc_lo
	;; [unrolled: 3-line block ×3, first 2 shown]
	s_delay_alu instid0(VALU_DEP_3)
	v_cmp_eq_u64_e32 vcc_lo, 0, v[45:46]
	s_wait_alu 0xfffe
	s_or_b32 s10, vcc_lo, s10
	s_wait_loadcnt 0xb
	v_fma_f64 v[25:26], v[51:52], v[79:80], v[25:26]
	v_fma_f64 v[17:18], v[53:54], v[79:80], v[17:18]
	v_fma_f64 v[33:34], v[59:60], v[79:80], v[33:34]
	v_fma_f64 v[19:20], v[61:62], v[79:80], v[19:20]
	v_fma_f64 v[31:32], v[67:68], v[79:80], v[31:32]
	v_fma_f64 v[29:30], v[69:70], v[79:80], v[29:30]
	v_fma_f64 v[23:24], v[75:76], v[79:80], v[23:24]
	v_fma_f64 v[27:28], v[77:78], v[79:80], v[27:28]
	v_fma_f64 v[25:26], -v[53:54], v[81:82], v[25:26]
	v_fma_f64 v[17:18], v[51:52], v[81:82], v[17:18]
	v_fma_f64 v[33:34], -v[61:62], v[81:82], v[33:34]
	v_fma_f64 v[19:20], v[59:60], v[81:82], v[19:20]
	v_fma_f64 v[31:32], -v[69:70], v[81:82], v[31:32]
	v_fma_f64 v[29:30], v[67:68], v[81:82], v[29:30]
	v_fma_f64 v[23:24], -v[77:78], v[81:82], v[23:24]
	v_fma_f64 v[27:28], v[75:76], v[81:82], v[27:28]
	s_wait_loadcnt 0xa
	v_fma_f64 v[25:26], v[47:48], v[83:84], v[25:26]
	v_fma_f64 v[17:18], v[49:50], v[83:84], v[17:18]
	v_fma_f64 v[33:34], v[55:56], v[83:84], v[33:34]
	v_fma_f64 v[19:20], v[57:58], v[83:84], v[19:20]
	v_fma_f64 v[31:32], v[63:64], v[83:84], v[31:32]
	v_fma_f64 v[29:30], v[65:66], v[83:84], v[29:30]
	v_fma_f64 v[23:24], v[71:72], v[83:84], v[23:24]
	v_fma_f64 v[27:28], v[73:74], v[83:84], v[27:28]
	v_fma_f64 v[25:26], -v[49:50], v[85:86], v[25:26]
	v_fma_f64 v[17:18], v[47:48], v[85:86], v[17:18]
	v_fma_f64 v[33:34], -v[57:58], v[85:86], v[33:34]
	v_fma_f64 v[19:20], v[55:56], v[85:86], v[19:20]
	v_fma_f64 v[31:32], -v[65:66], v[85:86], v[31:32]
	v_fma_f64 v[29:30], v[63:64], v[85:86], v[29:30]
	v_fma_f64 v[23:24], -v[73:74], v[85:86], v[23:24]
	v_fma_f64 v[27:28], v[71:72], v[85:86], v[27:28]
	;; [unrolled: 17-line block ×4, first 2 shown]
	s_wait_alu 0xfffe
	s_and_not1_b32 exec_lo, exec_lo, s10
	s_cbranch_execnz .LBB55_17
; %bb.18:
	s_or_b32 exec_lo, exec_lo, s10
.LBB55_19:
	s_wait_alu 0xfffe
	s_or_b32 exec_lo, exec_lo, s4
	s_delay_alu instid0(SALU_CYCLE_1)
	s_mov_b32 s10, exec_lo
	v_cmpx_lt_u64_e32 11, v[41:42]
	s_cbranch_execz .LBB55_23
; %bb.20:
	v_lshlrev_b64_e32 v[41:42], 3, v[37:38]
	s_mov_b32 s11, 0
	s_delay_alu instid0(VALU_DEP_1) | instskip(SKIP_1) | instid1(VALU_DEP_2)
	v_add_co_u32 v41, vcc_lo, s8, v41
	s_wait_alu 0xfffd
	v_add_co_ci_u32_e64 v42, null, s9, v42, vcc_lo
	s_delay_alu instid0(VALU_DEP_2) | instskip(SKIP_1) | instid1(VALU_DEP_2)
	v_add_co_u32 v41, vcc_lo, v41, 64
	s_wait_alu 0xfffd
	v_add_co_ci_u32_e64 v42, null, 0, v42, vcc_lo
.LBB55_21:                              ; =>This Inner Loop Header: Depth=1
	s_clause 0x1
	global_load_b64 v[43:44], v[41:42], off offset:-64
	global_load_b64 v[141:142], v[41:42], off offset:-32
	s_clause 0x3
	global_load_b128 v[45:48], v[39:40], off
	global_load_b128 v[49:52], v[39:40], off offset:64
	global_load_b128 v[53:56], v[39:40], off offset:128
	;; [unrolled: 1-line block ×3, first 2 shown]
	s_wait_loadcnt 0x5
	v_sub_co_u32 v43, vcc_lo, v43, v9
	s_wait_alu 0xfffd
	v_sub_co_ci_u32_e64 v44, null, v44, v10, vcc_lo
	s_delay_alu instid0(VALU_DEP_1) | instskip(SKIP_1) | instid1(VALU_DEP_1)
	v_lshlrev_b64_e32 v[43:44], 6, v[43:44]
	s_wait_kmcnt 0x0
	v_add_co_u32 v43, vcc_lo, s6, v43
	s_wait_alu 0xfffd
	s_delay_alu instid0(VALU_DEP_2)
	v_add_co_ci_u32_e64 v44, null, s7, v44, vcc_lo
	global_load_b128 v[61:64], v[43:44], off
	s_clause 0x3
	global_load_b128 v[65:68], v[39:40], off offset:16
	global_load_b128 v[69:72], v[39:40], off offset:80
	global_load_b128 v[73:76], v[39:40], off offset:144
	global_load_b128 v[77:80], v[39:40], off offset:208
	global_load_b128 v[81:84], v[43:44], off offset:16
	s_clause 0x3
	global_load_b128 v[85:88], v[39:40], off offset:32
	global_load_b128 v[89:92], v[39:40], off offset:96
	global_load_b128 v[93:96], v[39:40], off offset:160
	global_load_b128 v[97:100], v[39:40], off offset:224
	global_load_b128 v[101:104], v[43:44], off offset:32
	;; [unrolled: 6-line block ×3, first 2 shown]
	global_load_b64 v[145:146], v[41:42], off
	s_clause 0x3
	global_load_b128 v[125:128], v[39:40], off offset:1024
	global_load_b128 v[129:132], v[39:40], off offset:1088
	;; [unrolled: 1-line block ×4, first 2 shown]
	s_wait_loadcnt 0x19
	v_sub_co_u32 v43, vcc_lo, v141, v9
	s_wait_alu 0xfffd
	v_sub_co_ci_u32_e64 v44, null, v142, v10, vcc_lo
	s_delay_alu instid0(VALU_DEP_1) | instskip(NEXT) | instid1(VALU_DEP_1)
	v_lshlrev_b64_e32 v[43:44], 6, v[43:44]
	v_add_co_u32 v147, vcc_lo, s6, v43
	s_wait_alu 0xfffd
	s_delay_alu instid0(VALU_DEP_2)
	v_add_co_ci_u32_e64 v148, null, s7, v44, vcc_lo
	global_load_b128 v[141:144], v[147:148], off
	s_wait_loadcnt 0x15
	v_fma_f64 v[25:26], v[45:46], v[61:62], v[25:26]
	v_fma_f64 v[17:18], v[47:48], v[61:62], v[17:18]
	;; [unrolled: 1-line block ×8, first 2 shown]
	s_wait_loadcnt 0x5
	v_sub_co_u32 v145, vcc_lo, v145, v9
	s_wait_alu 0xfffd
	v_sub_co_ci_u32_e64 v146, null, v146, v10, vcc_lo
	v_fma_f64 v[47:48], -v[47:48], v[63:64], v[25:26]
	v_fma_f64 v[61:62], v[45:46], v[63:64], v[17:18]
	v_fma_f64 v[51:52], -v[51:52], v[63:64], v[33:34]
	v_fma_f64 v[49:50], v[49:50], v[63:64], v[19:20]
	v_fma_f64 v[55:56], -v[55:56], v[63:64], v[31:32]
	v_fma_f64 v[53:54], v[53:54], v[63:64], v[29:30]
	v_fma_f64 v[59:60], -v[59:60], v[63:64], v[23:24]
	v_fma_f64 v[57:58], v[57:58], v[63:64], v[27:28]
	s_clause 0x3
	global_load_b128 v[17:20], v[39:40], off offset:1040
	global_load_b128 v[23:26], v[39:40], off offset:1104
	global_load_b128 v[27:30], v[39:40], off offset:1168
	global_load_b128 v[31:34], v[39:40], off offset:1232
	global_load_b128 v[43:46], v[147:148], off offset:16
	v_fma_f64 v[47:48], v[65:66], v[81:82], v[47:48]
	v_fma_f64 v[61:62], v[67:68], v[81:82], v[61:62]
	v_fma_f64 v[51:52], v[69:70], v[81:82], v[51:52]
	v_fma_f64 v[49:50], v[71:72], v[81:82], v[49:50]
	v_fma_f64 v[55:56], v[73:74], v[81:82], v[55:56]
	v_fma_f64 v[53:54], v[75:76], v[81:82], v[53:54]
	v_fma_f64 v[59:60], v[77:78], v[81:82], v[59:60]
	v_fma_f64 v[57:58], v[79:80], v[81:82], v[57:58]
	v_fma_f64 v[67:68], -v[67:68], v[83:84], v[47:48]
	v_fma_f64 v[81:82], v[65:66], v[83:84], v[61:62]
	v_fma_f64 v[71:72], -v[71:72], v[83:84], v[51:52]
	v_fma_f64 v[69:70], v[69:70], v[83:84], v[49:50]
	v_fma_f64 v[75:76], -v[75:76], v[83:84], v[55:56]
	v_fma_f64 v[73:74], v[73:74], v[83:84], v[53:54]
	v_fma_f64 v[79:80], -v[79:80], v[83:84], v[59:60]
	v_fma_f64 v[77:78], v[77:78], v[83:84], v[57:58]
	s_clause 0x3
	global_load_b128 v[47:50], v[39:40], off offset:1056
	global_load_b128 v[51:54], v[39:40], off offset:1120
	global_load_b128 v[55:58], v[39:40], off offset:1184
	global_load_b128 v[59:62], v[39:40], off offset:1248
	global_load_b128 v[63:66], v[147:148], off offset:32
	v_fma_f64 v[67:68], v[85:86], v[101:102], v[67:68]
	v_fma_f64 v[81:82], v[87:88], v[101:102], v[81:82]
	v_fma_f64 v[71:72], v[89:90], v[101:102], v[71:72]
	v_fma_f64 v[69:70], v[91:92], v[101:102], v[69:70]
	v_fma_f64 v[75:76], v[93:94], v[101:102], v[75:76]
	v_fma_f64 v[73:74], v[95:96], v[101:102], v[73:74]
	v_fma_f64 v[79:80], v[97:98], v[101:102], v[79:80]
	v_fma_f64 v[77:78], v[99:100], v[101:102], v[77:78]
	;; [unrolled: 22-line block ×3, first 2 shown]
	global_load_b64 v[159:160], v[41:42], off offset:32
	s_clause 0x3
	global_load_b128 v[87:90], v[39:40], off offset:2048
	global_load_b128 v[91:94], v[39:40], off offset:2112
	;; [unrolled: 1-line block ×4, first 2 shown]
	v_add_co_u32 v41, s3, 0x80, v41
	s_wait_alu 0xf1ff
	v_add_co_ci_u32_e64 v42, null, 0, v42, s3
	v_fma_f64 v[107:108], -v[107:108], v[123:124], v[103:104]
	v_fma_f64 v[147:148], v[105:106], v[123:124], v[147:148]
	v_fma_f64 v[111:112], -v[111:112], v[123:124], v[149:150]
	v_fma_f64 v[109:110], v[109:110], v[123:124], v[151:152]
	;; [unrolled: 2-line block ×4, first 2 shown]
	v_lshlrev_b64_e32 v[103:104], 6, v[145:146]
	s_delay_alu instid0(VALU_DEP_1) | instskip(SKIP_1) | instid1(VALU_DEP_2)
	v_add_co_u32 v145, vcc_lo, s6, v103
	s_wait_alu 0xfffd
	v_add_co_ci_u32_e64 v146, null, s7, v104, vcc_lo
	global_load_b128 v[103:106], v[145:146], off
	s_wait_loadcnt 0x15
	v_fma_f64 v[107:108], v[125:126], v[141:142], v[107:108]
	v_fma_f64 v[121:122], v[127:128], v[141:142], v[147:148]
	v_fma_f64 v[111:112], v[129:130], v[141:142], v[111:112]
	v_fma_f64 v[109:110], v[131:132], v[141:142], v[109:110]
	v_fma_f64 v[115:116], v[133:134], v[141:142], v[115:116]
	v_fma_f64 v[113:114], v[135:136], v[141:142], v[113:114]
	v_fma_f64 v[119:120], v[137:138], v[141:142], v[119:120]
	v_fma_f64 v[117:118], v[139:140], v[141:142], v[117:118]
	v_fma_f64 v[127:128], -v[127:128], v[143:144], v[107:108]
	v_fma_f64 v[141:142], v[125:126], v[143:144], v[121:122]
	v_fma_f64 v[131:132], -v[131:132], v[143:144], v[111:112]
	v_fma_f64 v[129:130], v[129:130], v[143:144], v[109:110]
	v_fma_f64 v[135:136], -v[135:136], v[143:144], v[115:116]
	v_fma_f64 v[133:134], v[133:134], v[143:144], v[113:114]
	v_fma_f64 v[139:140], -v[139:140], v[143:144], v[119:120]
	v_fma_f64 v[137:138], v[137:138], v[143:144], v[117:118]
	s_clause 0x3
	global_load_b128 v[107:110], v[39:40], off offset:2064
	global_load_b128 v[111:114], v[39:40], off offset:2128
	global_load_b128 v[115:118], v[39:40], off offset:2192
	global_load_b128 v[119:122], v[39:40], off offset:2256
	global_load_b128 v[123:126], v[145:146], off offset:16
	s_wait_loadcnt 0x15
	v_fma_f64 v[127:128], v[17:18], v[43:44], v[127:128]
	v_fma_f64 v[141:142], v[19:20], v[43:44], v[141:142]
	v_fma_f64 v[131:132], v[23:24], v[43:44], v[131:132]
	v_fma_f64 v[129:130], v[25:26], v[43:44], v[129:130]
	v_fma_f64 v[135:136], v[27:28], v[43:44], v[135:136]
	v_fma_f64 v[133:134], v[29:30], v[43:44], v[133:134]
	v_fma_f64 v[139:140], v[31:32], v[43:44], v[139:140]
	v_fma_f64 v[43:44], v[33:34], v[43:44], v[137:138]
	v_fma_f64 v[127:128], -v[19:20], v[45:46], v[127:128]
	v_fma_f64 v[137:138], v[17:18], v[45:46], v[141:142]
	v_fma_f64 v[131:132], -v[25:26], v[45:46], v[131:132]
	v_fma_f64 v[129:130], v[23:24], v[45:46], v[129:130]
	v_fma_f64 v[135:136], -v[29:30], v[45:46], v[135:136]
	v_fma_f64 v[133:134], v[27:28], v[45:46], v[133:134]
	v_fma_f64 v[139:140], -v[33:34], v[45:46], v[139:140]
	v_fma_f64 v[141:142], v[31:32], v[45:46], v[43:44]
	s_clause 0x3
	global_load_b128 v[17:20], v[39:40], off offset:2080
	global_load_b128 v[23:26], v[39:40], off offset:2144
	global_load_b128 v[27:30], v[39:40], off offset:2208
	global_load_b128 v[31:34], v[39:40], off offset:2272
	global_load_b128 v[43:46], v[145:146], off offset:32
	;; [unrolled: 23-line block ×3, first 2 shown]
	s_wait_loadcnt 0x15
	v_fma_f64 v[143:144], v[67:68], v[83:84], v[127:128]
	v_fma_f64 v[145:146], v[69:70], v[83:84], v[137:138]
	;; [unrolled: 1-line block ×8, first 2 shown]
	s_clause 0x3
	global_load_b128 v[127:130], v[39:40], off offset:3072
	global_load_b128 v[131:134], v[39:40], off offset:3136
	;; [unrolled: 1-line block ×4, first 2 shown]
	s_wait_loadcnt 0x18
	v_sub_co_u32 v157, vcc_lo, v159, v9
	s_wait_alu 0xfffd
	v_sub_co_ci_u32_e64 v158, null, v160, v10, vcc_lo
	v_fma_f64 v[143:144], -v[69:70], v[85:86], v[143:144]
	v_fma_f64 v[145:146], v[67:68], v[85:86], v[145:146]
	v_fma_f64 v[73:74], -v[73:74], v[85:86], v[147:148]
	v_fma_f64 v[71:72], v[71:72], v[85:86], v[149:150]
	;; [unrolled: 2-line block ×4, first 2 shown]
	v_lshlrev_b64_e32 v[67:68], 6, v[157:158]
	s_delay_alu instid0(VALU_DEP_1) | instskip(SKIP_1) | instid1(VALU_DEP_2)
	v_add_co_u32 v147, vcc_lo, s6, v67
	s_wait_alu 0xfffd
	v_add_co_ci_u32_e64 v148, null, s7, v68, vcc_lo
	v_add_co_u32 v37, vcc_lo, v37, 16
	s_wait_alu 0xfffd
	v_add_co_ci_u32_e64 v38, null, 0, v38, vcc_lo
	global_load_b128 v[67:70], v[147:148], off
	v_cmp_ge_i64_e64 s4, v[37:38], v[13:14]
	s_wait_alu 0xfffe
	s_or_b32 s11, s4, s11
	s_wait_loadcnt 0x14
	v_fma_f64 v[83:84], v[87:88], v[103:104], v[143:144]
	v_fma_f64 v[85:86], v[89:90], v[103:104], v[145:146]
	v_fma_f64 v[73:74], v[91:92], v[103:104], v[73:74]
	v_fma_f64 v[71:72], v[93:94], v[103:104], v[71:72]
	v_fma_f64 v[77:78], v[95:96], v[103:104], v[77:78]
	v_fma_f64 v[75:76], v[97:98], v[103:104], v[75:76]
	v_fma_f64 v[81:82], v[99:100], v[103:104], v[81:82]
	v_fma_f64 v[79:80], v[101:102], v[103:104], v[79:80]
	v_fma_f64 v[103:104], -v[89:90], v[105:106], v[83:84]
	v_fma_f64 v[143:144], v[87:88], v[105:106], v[85:86]
	v_fma_f64 v[93:94], -v[93:94], v[105:106], v[73:74]
	v_fma_f64 v[91:92], v[91:92], v[105:106], v[71:72]
	v_fma_f64 v[97:98], -v[97:98], v[105:106], v[77:78]
	v_fma_f64 v[95:96], v[95:96], v[105:106], v[75:76]
	v_fma_f64 v[101:102], -v[101:102], v[105:106], v[81:82]
	v_fma_f64 v[99:100], v[99:100], v[105:106], v[79:80]
	s_clause 0x3
	global_load_b128 v[71:74], v[39:40], off offset:3088
	global_load_b128 v[75:78], v[39:40], off offset:3152
	global_load_b128 v[79:82], v[39:40], off offset:3216
	global_load_b128 v[83:86], v[39:40], off offset:3280
	global_load_b128 v[87:90], v[147:148], off offset:16
	s_wait_loadcnt 0x14
	v_fma_f64 v[103:104], v[107:108], v[123:124], v[103:104]
	v_fma_f64 v[105:106], v[109:110], v[123:124], v[143:144]
	v_fma_f64 v[93:94], v[111:112], v[123:124], v[93:94]
	v_fma_f64 v[91:92], v[113:114], v[123:124], v[91:92]
	v_fma_f64 v[97:98], v[115:116], v[123:124], v[97:98]
	v_fma_f64 v[95:96], v[117:118], v[123:124], v[95:96]
	v_fma_f64 v[101:102], v[119:120], v[123:124], v[101:102]
	v_fma_f64 v[99:100], v[121:122], v[123:124], v[99:100]
	v_fma_f64 v[123:124], -v[109:110], v[125:126], v[103:104]
	v_fma_f64 v[143:144], v[107:108], v[125:126], v[105:106]
	v_fma_f64 v[113:114], -v[113:114], v[125:126], v[93:94]
	v_fma_f64 v[111:112], v[111:112], v[125:126], v[91:92]
	v_fma_f64 v[117:118], -v[117:118], v[125:126], v[97:98]
	v_fma_f64 v[115:116], v[115:116], v[125:126], v[95:96]
	v_fma_f64 v[121:122], -v[121:122], v[125:126], v[101:102]
	v_fma_f64 v[119:120], v[119:120], v[125:126], v[99:100]
	s_clause 0x3
	global_load_b128 v[91:94], v[39:40], off offset:3104
	global_load_b128 v[95:98], v[39:40], off offset:3168
	global_load_b128 v[99:102], v[39:40], off offset:3232
	global_load_b128 v[103:106], v[39:40], off offset:3296
	global_load_b128 v[107:110], v[147:148], off offset:32
	;; [unrolled: 23-line block ×3, first 2 shown]
	v_add_co_u32 v39, vcc_lo, 0x1000, v39
	s_wait_alu 0xfffd
	v_add_co_ci_u32_e64 v40, null, 0, v40, vcc_lo
	s_wait_loadcnt 0x14
	v_fma_f64 v[119:120], v[47:48], v[63:64], v[119:120]
	v_fma_f64 v[121:122], v[49:50], v[63:64], v[123:124]
	v_fma_f64 v[25:26], v[51:52], v[63:64], v[25:26]
	v_fma_f64 v[23:24], v[53:54], v[63:64], v[23:24]
	v_fma_f64 v[123:124], v[55:56], v[63:64], v[125:126]
	v_fma_f64 v[125:126], v[57:58], v[63:64], v[143:144]
	v_fma_f64 v[33:34], v[59:60], v[63:64], v[33:34]
	v_fma_f64 v[31:32], v[61:62], v[63:64], v[31:32]
	v_fma_f64 v[49:50], -v[49:50], v[65:66], v[119:120]
	v_fma_f64 v[47:48], v[47:48], v[65:66], v[121:122]
	v_fma_f64 v[25:26], -v[53:54], v[65:66], v[25:26]
	v_fma_f64 v[23:24], v[51:52], v[65:66], v[23:24]
	v_fma_f64 v[51:52], -v[57:58], v[65:66], v[123:124]
	v_fma_f64 v[53:54], v[55:56], v[65:66], v[125:126]
	v_fma_f64 v[33:34], -v[61:62], v[65:66], v[33:34]
	v_fma_f64 v[31:32], v[59:60], v[65:66], v[31:32]
	s_wait_loadcnt 0xf
	v_fma_f64 v[49:50], v[127:128], v[67:68], v[49:50]
	v_fma_f64 v[47:48], v[129:130], v[67:68], v[47:48]
	v_fma_f64 v[25:26], v[131:132], v[67:68], v[25:26]
	v_fma_f64 v[23:24], v[133:134], v[67:68], v[23:24]
	v_fma_f64 v[51:52], v[135:136], v[67:68], v[51:52]
	v_fma_f64 v[53:54], v[137:138], v[67:68], v[53:54]
	v_fma_f64 v[33:34], v[139:140], v[67:68], v[33:34]
	v_fma_f64 v[31:32], v[141:142], v[67:68], v[31:32]
	v_fma_f64 v[49:50], -v[129:130], v[69:70], v[49:50]
	v_fma_f64 v[47:48], v[127:128], v[69:70], v[47:48]
	v_fma_f64 v[25:26], -v[133:134], v[69:70], v[25:26]
	v_fma_f64 v[23:24], v[131:132], v[69:70], v[23:24]
	v_fma_f64 v[51:52], -v[137:138], v[69:70], v[51:52]
	v_fma_f64 v[53:54], v[135:136], v[69:70], v[53:54]
	v_fma_f64 v[33:34], -v[141:142], v[69:70], v[33:34]
	v_fma_f64 v[31:32], v[139:140], v[69:70], v[31:32]
	;; [unrolled: 17-line block ×5, first 2 shown]
	s_wait_alu 0xfffe
	s_and_not1_b32 exec_lo, exec_lo, s11
	s_cbranch_execnz .LBB55_21
; %bb.22:
	s_or_b32 exec_lo, exec_lo, s11
.LBB55_23:
	s_wait_alu 0xfffe
	s_or_b32 exec_lo, exec_lo, s10
.LBB55_24:
	s_wait_alu 0xfffe
	s_or_b32 exec_lo, exec_lo, s5
	s_cbranch_execz .LBB55_26
	s_branch .LBB55_37
.LBB55_25:
                                        ; implicit-def: $vgpr17_vgpr18
                                        ; implicit-def: $vgpr25_vgpr26
                                        ; implicit-def: $vgpr23_vgpr24
                                        ; implicit-def: $vgpr27_vgpr28
                                        ; implicit-def: $vgpr31_vgpr32
                                        ; implicit-def: $vgpr29_vgpr30
                                        ; implicit-def: $vgpr33_vgpr34
                                        ; implicit-def: $vgpr19_vgpr20
.LBB55_26:
	v_mov_b32_e32 v17, 0
	v_mov_b32_e32 v23, 0
	;; [unrolled: 1-line block ×3, first 2 shown]
	v_dual_mov_b32 v33, 0 :: v_dual_mov_b32 v18, 0
	v_dual_mov_b32 v25, 0 :: v_dual_mov_b32 v24, 0
	;; [unrolled: 1-line block ×5, first 2 shown]
	v_mov_b32_e32 v28, 0
	v_mov_b32_e32 v30, 0
	;; [unrolled: 1-line block ×3, first 2 shown]
	s_and_saveexec_b32 s3, s2
	s_cbranch_execz .LBB55_36
; %bb.27:
	v_or_b32_e32 v17, 4, v0
	v_not_b32_e32 v19, v35
	v_sub_co_u32 v20, s2, v9, v0
	v_not_b32_e32 v23, v36
	s_delay_alu instid0(VALU_DEP_4)
	v_sub_co_u32 v17, vcc_lo, v17, v9
	s_wait_alu 0xfffd
	v_sub_co_ci_u32_e64 v18, null, 0, v10, vcc_lo
	s_wait_alu 0xf1ff
	v_subrev_co_ci_u32_e64 v24, null, 0, v10, s2
	v_add_co_u32 v17, vcc_lo, v17, v35
	s_wait_alu 0xfffd
	v_add_co_ci_u32_e64 v18, null, v18, v36, vcc_lo
	v_add_co_u32 v25, s2, v20, v19
	s_wait_alu 0xf1ff
	v_add_co_ci_u32_e64 v23, null, v24, v23, s2
	s_delay_alu instid0(VALU_DEP_3)
	v_cmp_gt_i64_e32 vcc_lo, v[17:18], v[13:14]
	v_dual_mov_b32 v38, 0 :: v_dual_mov_b32 v31, 0
	v_dual_mov_b32 v32, 0 :: v_dual_mov_b32 v27, 0
	s_wait_alu 0xfffd
	v_dual_mov_b32 v19, 0 :: v_dual_cndmask_b32 v18, v14, v18
	v_dual_cndmask_b32 v17, v13, v17 :: v_dual_mov_b32 v20, 0
	v_mov_b32_e32 v33, 0
	v_dual_mov_b32 v34, 0 :: v_dual_mov_b32 v29, 0
	s_delay_alu instid0(VALU_DEP_3)
	v_add_co_u32 v35, vcc_lo, v25, v17
	s_wait_alu 0xfffd
	v_add_co_ci_u32_e64 v36, null, v23, v18, vcc_lo
	v_mov_b32_e32 v23, 0
	v_dual_mov_b32 v24, 0 :: v_dual_mov_b32 v25, 0
	v_dual_mov_b32 v17, 0 :: v_dual_mov_b32 v30, 0
	v_dual_mov_b32 v28, 0 :: v_dual_and_b32 v37, 12, v35
	v_mov_b32_e32 v26, 0
	v_mov_b32_e32 v18, 0
	s_mov_b32 s4, exec_lo
	s_delay_alu instid0(VALU_DEP_3)
	v_cmpx_ne_u64_e32 12, v[37:38]
	s_cbranch_execz .LBB55_31
; %bb.28:
	v_lshrrev_b32_e32 v27, 2, v35
	v_mov_b32_e32 v23, 0
	v_mov_b32_e32 v24, 0
	v_lshlrev_b64_e32 v[19:20], 3, v[11:12]
	v_mov_b32_e32 v31, 0
	v_add_nc_u32_e32 v27, 1, v27
	v_mov_b32_e32 v17, 0
	v_dual_mov_b32 v18, 0 :: v_dual_mov_b32 v25, 0
	v_add_co_u32 v37, vcc_lo, s8, v19
	s_delay_alu instid0(VALU_DEP_4) | instskip(SKIP_3) | instid1(VALU_DEP_3)
	v_dual_mov_b32 v32, 0 :: v_dual_and_b32 v39, 3, v27
	s_wait_alu 0xfffd
	v_add_co_ci_u32_e64 v38, null, s9, v20, vcc_lo
	v_mov_b32_e32 v27, 0
	v_sub_co_u32 v39, s2, 0, v39
	v_mov_b32_e32 v29, 0
	v_mov_b32_e32 v33, 0
	v_dual_mov_b32 v19, 0 :: v_dual_mov_b32 v26, 0
	v_mov_b32_e32 v28, 0
	v_mov_b32_e32 v30, 0
	;; [unrolled: 1-line block ×4, first 2 shown]
	s_wait_alu 0xf1ff
	v_sub_co_ci_u32_e64 v40, null, 0, 0, s2
	s_mov_b32 s5, 0
.LBB55_29:                              ; =>This Inner Loop Header: Depth=1
	global_load_b64 v[57:58], v[37:38], off
	s_clause 0x3
	global_load_b128 v[41:44], v[15:16], off offset:48
	global_load_b128 v[45:48], v[15:16], off offset:32
	global_load_b128 v[49:52], v[15:16], off offset:16
	global_load_b128 v[53:56], v[15:16], off
	v_add_co_u32 v37, s2, v37, 32
	s_wait_alu 0xf1ff
	v_add_co_ci_u32_e64 v38, null, 0, v38, s2
	s_wait_loadcnt 0x4
	v_sub_co_u32 v57, vcc_lo, v57, v9
	s_wait_alu 0xfffd
	v_sub_co_ci_u32_e64 v58, null, v58, v10, vcc_lo
	s_delay_alu instid0(VALU_DEP_1) | instskip(SKIP_1) | instid1(VALU_DEP_1)
	v_lshlrev_b64_e32 v[57:58], 6, v[57:58]
	s_wait_kmcnt 0x0
	v_add_co_u32 v101, vcc_lo, s6, v57
	s_wait_alu 0xfffd
	s_delay_alu instid0(VALU_DEP_2)
	v_add_co_ci_u32_e64 v102, null, s7, v58, vcc_lo
	s_clause 0x1
	global_load_b128 v[57:60], v[101:102], off
	global_load_b128 v[61:64], v[101:102], off offset:16
	s_clause 0x7
	global_load_b128 v[65:68], v[15:16], off offset:64
	global_load_b128 v[69:72], v[15:16], off offset:80
	;; [unrolled: 1-line block ×8, first 2 shown]
	s_clause 0x1
	global_load_b128 v[97:100], v[101:102], off offset:32
	global_load_b128 v[101:104], v[101:102], off offset:48
	s_clause 0x3
	global_load_b128 v[105:108], v[15:16], off offset:192
	global_load_b128 v[109:112], v[15:16], off offset:208
	;; [unrolled: 1-line block ×4, first 2 shown]
	v_add_co_u32 v15, vcc_lo, 0x400, v15
	s_wait_alu 0xfffd
	v_add_co_ci_u32_e64 v16, null, 0, v16, vcc_lo
	v_add_co_u32 v39, vcc_lo, v39, 1
	s_wait_alu 0xfffd
	v_add_co_ci_u32_e64 v40, null, 0, v40, vcc_lo
	;; [unrolled: 3-line block ×3, first 2 shown]
	s_delay_alu instid0(VALU_DEP_3)
	v_cmp_eq_u64_e32 vcc_lo, 0, v[39:40]
	s_wait_alu 0xfffe
	s_or_b32 s5, vcc_lo, s5
	s_wait_loadcnt 0xf
	v_fma_f64 v[25:26], v[53:54], v[57:58], v[25:26]
	v_fma_f64 v[17:18], v[55:56], v[57:58], v[17:18]
	;; [unrolled: 1-line block ×8, first 2 shown]
	v_fma_f64 v[25:26], -v[55:56], v[59:60], v[25:26]
	v_fma_f64 v[17:18], v[53:54], v[59:60], v[17:18]
	v_fma_f64 v[33:34], -v[51:52], v[59:60], v[33:34]
	v_fma_f64 v[19:20], v[49:50], v[59:60], v[19:20]
	;; [unrolled: 2-line block ×4, first 2 shown]
	s_wait_loadcnt 0xd
	v_fma_f64 v[25:26], v[65:66], v[61:62], v[25:26]
	v_fma_f64 v[17:18], v[67:68], v[61:62], v[17:18]
	s_wait_loadcnt 0xc
	v_fma_f64 v[33:34], v[69:70], v[61:62], v[33:34]
	v_fma_f64 v[19:20], v[71:72], v[61:62], v[19:20]
	;; [unrolled: 3-line block ×4, first 2 shown]
	v_fma_f64 v[25:26], -v[67:68], v[63:64], v[25:26]
	v_fma_f64 v[17:18], v[65:66], v[63:64], v[17:18]
	v_fma_f64 v[33:34], -v[71:72], v[63:64], v[33:34]
	v_fma_f64 v[19:20], v[69:70], v[63:64], v[19:20]
	;; [unrolled: 2-line block ×4, first 2 shown]
	s_wait_loadcnt 0x5
	v_fma_f64 v[25:26], v[93:94], v[97:98], v[25:26]
	v_fma_f64 v[17:18], v[95:96], v[97:98], v[17:18]
	;; [unrolled: 1-line block ×8, first 2 shown]
	v_fma_f64 v[25:26], -v[95:96], v[99:100], v[25:26]
	v_fma_f64 v[17:18], v[93:94], v[99:100], v[17:18]
	v_fma_f64 v[33:34], -v[91:92], v[99:100], v[33:34]
	v_fma_f64 v[19:20], v[89:90], v[99:100], v[19:20]
	;; [unrolled: 2-line block ×4, first 2 shown]
	s_wait_loadcnt 0x3
	v_fma_f64 v[25:26], v[105:106], v[101:102], v[25:26]
	v_fma_f64 v[17:18], v[107:108], v[101:102], v[17:18]
	s_wait_loadcnt 0x2
	v_fma_f64 v[33:34], v[109:110], v[101:102], v[33:34]
	v_fma_f64 v[19:20], v[111:112], v[101:102], v[19:20]
	;; [unrolled: 3-line block ×4, first 2 shown]
	v_fma_f64 v[25:26], -v[107:108], v[103:104], v[25:26]
	v_fma_f64 v[17:18], v[105:106], v[103:104], v[17:18]
	v_fma_f64 v[33:34], -v[111:112], v[103:104], v[33:34]
	v_fma_f64 v[19:20], v[109:110], v[103:104], v[19:20]
	;; [unrolled: 2-line block ×4, first 2 shown]
	s_wait_alu 0xfffe
	s_and_not1_b32 exec_lo, exec_lo, s5
	s_cbranch_execnz .LBB55_29
; %bb.30:
	s_or_b32 exec_lo, exec_lo, s5
.LBB55_31:
	s_wait_alu 0xfffe
	s_or_b32 exec_lo, exec_lo, s4
	s_delay_alu instid0(SALU_CYCLE_1)
	s_mov_b32 s4, exec_lo
	v_cmpx_lt_u64_e32 11, v[35:36]
	s_cbranch_execz .LBB55_35
; %bb.32:
	v_lshlrev_b64_e32 v[35:36], 3, v[11:12]
	s_mov_b32 s5, 0
	s_delay_alu instid0(VALU_DEP_1) | instskip(SKIP_1) | instid1(VALU_DEP_2)
	v_add_co_u32 v35, vcc_lo, s8, v35
	s_wait_alu 0xfffd
	v_add_co_ci_u32_e64 v36, null, s9, v36, vcc_lo
	s_delay_alu instid0(VALU_DEP_2) | instskip(SKIP_1) | instid1(VALU_DEP_2)
	v_add_co_u32 v35, vcc_lo, v35, 64
	s_wait_alu 0xfffd
	v_add_co_ci_u32_e64 v36, null, 0, v36, vcc_lo
.LBB55_33:                              ; =>This Inner Loop Header: Depth=1
	s_clause 0x1
	global_load_b64 v[37:38], v[35:36], off offset:-64
	global_load_b64 v[135:136], v[35:36], off offset:-32
	s_clause 0x3
	global_load_b128 v[39:42], v[15:16], off offset:48
	global_load_b128 v[43:46], v[15:16], off offset:32
	global_load_b128 v[47:50], v[15:16], off offset:16
	global_load_b128 v[51:54], v[15:16], off
	s_clause 0x1
	global_load_b64 v[139:140], v[35:36], off
	global_load_b64 v[141:142], v[35:36], off offset:32
	v_add_co_u32 v35, s2, 0x80, v35
	s_wait_alu 0xf1ff
	v_add_co_ci_u32_e64 v36, null, 0, v36, s2
	s_wait_loadcnt 0x7
	v_sub_co_u32 v37, vcc_lo, v37, v9
	s_wait_alu 0xfffd
	v_sub_co_ci_u32_e64 v38, null, v38, v10, vcc_lo
	s_delay_alu instid0(VALU_DEP_1) | instskip(SKIP_1) | instid1(VALU_DEP_1)
	v_lshlrev_b64_e32 v[37:38], 6, v[37:38]
	s_wait_kmcnt 0x0
	v_add_co_u32 v37, vcc_lo, s6, v37
	s_wait_alu 0xfffd
	s_delay_alu instid0(VALU_DEP_2)
	v_add_co_ci_u32_e64 v38, null, s7, v38, vcc_lo
	global_load_b128 v[55:58], v[37:38], off
	s_clause 0x3
	global_load_b128 v[59:62], v[15:16], off offset:64
	global_load_b128 v[63:66], v[15:16], off offset:80
	global_load_b128 v[67:70], v[15:16], off offset:96
	global_load_b128 v[71:74], v[15:16], off offset:112
	global_load_b128 v[75:78], v[37:38], off offset:16
	s_clause 0x3
	global_load_b128 v[79:82], v[15:16], off offset:176
	global_load_b128 v[83:86], v[15:16], off offset:160
	global_load_b128 v[87:90], v[15:16], off offset:144
	global_load_b128 v[91:94], v[15:16], off offset:128
	global_load_b128 v[95:98], v[37:38], off offset:32
	;; [unrolled: 6-line block ×3, first 2 shown]
	s_clause 0x3
	global_load_b128 v[119:122], v[15:16], off offset:1072
	global_load_b128 v[123:126], v[15:16], off offset:1056
	;; [unrolled: 1-line block ×4, first 2 shown]
	s_wait_loadcnt 0x1a
	v_sub_co_u32 v37, vcc_lo, v135, v9
	s_wait_alu 0xfffd
	v_sub_co_ci_u32_e64 v38, null, v136, v10, vcc_lo
	s_delay_alu instid0(VALU_DEP_1) | instskip(NEXT) | instid1(VALU_DEP_1)
	v_lshlrev_b64_e32 v[37:38], 6, v[37:38]
	v_add_co_u32 v143, vcc_lo, s6, v37
	s_wait_alu 0xfffd
	s_delay_alu instid0(VALU_DEP_2)
	v_add_co_ci_u32_e64 v144, null, s7, v38, vcc_lo
	s_wait_loadcnt 0x15
	v_sub_co_u32 v139, vcc_lo, v139, v9
	s_wait_alu 0xfffd
	v_sub_co_ci_u32_e64 v140, null, v140, v10, vcc_lo
	global_load_b128 v[135:138], v[143:144], off
	s_wait_loadcnt 0x14
	v_fma_f64 v[25:26], v[51:52], v[55:56], v[25:26]
	v_fma_f64 v[17:18], v[53:54], v[55:56], v[17:18]
	v_fma_f64 v[33:34], v[47:48], v[55:56], v[33:34]
	v_fma_f64 v[19:20], v[49:50], v[55:56], v[19:20]
	v_fma_f64 v[31:32], v[43:44], v[55:56], v[31:32]
	v_fma_f64 v[29:30], v[45:46], v[55:56], v[29:30]
	v_fma_f64 v[23:24], v[39:40], v[55:56], v[23:24]
	v_fma_f64 v[27:28], v[41:42], v[55:56], v[27:28]
	v_fma_f64 v[53:54], -v[53:54], v[57:58], v[25:26]
	v_fma_f64 v[51:52], v[51:52], v[57:58], v[17:18]
	v_fma_f64 v[49:50], -v[49:50], v[57:58], v[33:34]
	v_fma_f64 v[47:48], v[47:48], v[57:58], v[19:20]
	v_fma_f64 v[45:46], -v[45:46], v[57:58], v[31:32]
	v_fma_f64 v[43:44], v[43:44], v[57:58], v[29:30]
	v_fma_f64 v[41:42], -v[41:42], v[57:58], v[23:24]
	v_fma_f64 v[55:56], v[39:40], v[57:58], v[27:28]
	s_clause 0x3
	global_load_b128 v[17:20], v[15:16], off offset:1088
	global_load_b128 v[23:26], v[15:16], off offset:1104
	global_load_b128 v[27:30], v[15:16], off offset:1120
	global_load_b128 v[31:34], v[15:16], off offset:1136
	global_load_b128 v[37:40], v[143:144], off offset:16
	s_wait_loadcnt 0x14
	v_fma_f64 v[53:54], v[59:60], v[75:76], v[53:54]
	v_fma_f64 v[51:52], v[61:62], v[75:76], v[51:52]
	v_fma_f64 v[49:50], v[63:64], v[75:76], v[49:50]
	v_fma_f64 v[47:48], v[65:66], v[75:76], v[47:48]
	v_fma_f64 v[45:46], v[67:68], v[75:76], v[45:46]
	v_fma_f64 v[43:44], v[69:70], v[75:76], v[43:44]
	v_fma_f64 v[41:42], v[71:72], v[75:76], v[41:42]
	v_fma_f64 v[55:56], v[73:74], v[75:76], v[55:56]
	v_fma_f64 v[61:62], -v[61:62], v[77:78], v[53:54]
	v_fma_f64 v[75:76], v[59:60], v[77:78], v[51:52]
	v_fma_f64 v[65:66], -v[65:66], v[77:78], v[49:50]
	v_fma_f64 v[63:64], v[63:64], v[77:78], v[47:48]
	v_fma_f64 v[69:70], -v[69:70], v[77:78], v[45:46]
	v_fma_f64 v[67:68], v[67:68], v[77:78], v[43:44]
	v_fma_f64 v[73:74], -v[73:74], v[77:78], v[41:42]
	v_fma_f64 v[71:72], v[71:72], v[77:78], v[55:56]
	s_clause 0x3
	global_load_b128 v[41:44], v[15:16], off offset:1200
	global_load_b128 v[45:48], v[15:16], off offset:1184
	global_load_b128 v[49:52], v[15:16], off offset:1168
	global_load_b128 v[53:56], v[15:16], off offset:1152
	global_load_b128 v[57:60], v[143:144], off offset:32
	;; [unrolled: 23-line block ×3, first 2 shown]
	s_wait_loadcnt 0x14
	v_fma_f64 v[97:98], v[99:100], v[115:116], v[93:94]
	v_fma_f64 v[143:144], v[101:102], v[115:116], v[91:92]
	;; [unrolled: 1-line block ×8, first 2 shown]
	s_clause 0x3
	global_load_b128 v[81:84], v[15:16], off offset:2096
	global_load_b128 v[85:88], v[15:16], off offset:2080
	global_load_b128 v[89:92], v[15:16], off offset:2064
	global_load_b128 v[93:96], v[15:16], off offset:2048
	v_fma_f64 v[101:102], -v[101:102], v[117:118], v[97:98]
	v_fma_f64 v[143:144], v[99:100], v[117:118], v[143:144]
	v_fma_f64 v[105:106], -v[105:106], v[117:118], v[145:146]
	v_fma_f64 v[103:104], v[103:104], v[117:118], v[147:148]
	;; [unrolled: 2-line block ×4, first 2 shown]
	v_lshlrev_b64_e32 v[97:98], 6, v[139:140]
	s_delay_alu instid0(VALU_DEP_1) | instskip(SKIP_1) | instid1(VALU_DEP_2)
	v_add_co_u32 v139, vcc_lo, s6, v97
	s_wait_alu 0xfffd
	v_add_co_ci_u32_e64 v140, null, s7, v98, vcc_lo
	v_sub_co_u32 v141, vcc_lo, v141, v9
	s_wait_alu 0xfffd
	v_sub_co_ci_u32_e64 v142, null, v142, v10, vcc_lo
	global_load_b128 v[97:100], v[139:140], off
	s_wait_loadcnt 0x14
	v_fma_f64 v[101:102], v[131:132], v[135:136], v[101:102]
	v_fma_f64 v[115:116], v[133:134], v[135:136], v[143:144]
	v_fma_f64 v[105:106], v[127:128], v[135:136], v[105:106]
	v_fma_f64 v[103:104], v[129:130], v[135:136], v[103:104]
	v_fma_f64 v[109:110], v[123:124], v[135:136], v[109:110]
	v_fma_f64 v[107:108], v[125:126], v[135:136], v[107:108]
	v_fma_f64 v[113:114], v[119:120], v[135:136], v[113:114]
	v_fma_f64 v[111:112], v[121:122], v[135:136], v[111:112]
	v_fma_f64 v[133:134], -v[133:134], v[137:138], v[101:102]
	v_fma_f64 v[131:132], v[131:132], v[137:138], v[115:116]
	v_fma_f64 v[129:130], -v[129:130], v[137:138], v[105:106]
	v_fma_f64 v[127:128], v[127:128], v[137:138], v[103:104]
	v_fma_f64 v[125:126], -v[125:126], v[137:138], v[109:110]
	v_fma_f64 v[123:124], v[123:124], v[137:138], v[107:108]
	v_fma_f64 v[121:122], -v[121:122], v[137:138], v[113:114]
	v_fma_f64 v[135:136], v[119:120], v[137:138], v[111:112]
	s_clause 0x3
	global_load_b128 v[101:104], v[15:16], off offset:2112
	global_load_b128 v[105:108], v[15:16], off offset:2128
	global_load_b128 v[109:112], v[15:16], off offset:2144
	global_load_b128 v[113:116], v[15:16], off offset:2160
	global_load_b128 v[117:120], v[139:140], off offset:16
	s_wait_loadcnt 0x14
	v_fma_f64 v[133:134], v[17:18], v[37:38], v[133:134]
	v_fma_f64 v[131:132], v[19:20], v[37:38], v[131:132]
	v_fma_f64 v[129:130], v[23:24], v[37:38], v[129:130]
	v_fma_f64 v[127:128], v[25:26], v[37:38], v[127:128]
	v_fma_f64 v[125:126], v[27:28], v[37:38], v[125:126]
	v_fma_f64 v[123:124], v[29:30], v[37:38], v[123:124]
	v_fma_f64 v[121:122], v[31:32], v[37:38], v[121:122]
	v_fma_f64 v[37:38], v[33:34], v[37:38], v[135:136]
	v_fma_f64 v[133:134], -v[19:20], v[39:40], v[133:134]
	v_fma_f64 v[131:132], v[17:18], v[39:40], v[131:132]
	v_fma_f64 v[129:130], -v[25:26], v[39:40], v[129:130]
	v_fma_f64 v[127:128], v[23:24], v[39:40], v[127:128]
	v_fma_f64 v[125:126], -v[29:30], v[39:40], v[125:126]
	v_fma_f64 v[123:124], v[27:28], v[39:40], v[123:124]
	v_fma_f64 v[121:122], -v[33:34], v[39:40], v[121:122]
	v_fma_f64 v[135:136], v[31:32], v[39:40], v[37:38]
	s_clause 0x3
	global_load_b128 v[17:20], v[15:16], off offset:2224
	global_load_b128 v[23:26], v[15:16], off offset:2208
	global_load_b128 v[27:30], v[15:16], off offset:2192
	global_load_b128 v[31:34], v[15:16], off offset:2176
	global_load_b128 v[37:40], v[139:140], off offset:32
	;; [unrolled: 23-line block ×3, first 2 shown]
	s_wait_loadcnt 0x14
	v_fma_f64 v[137:138], v[61:62], v[77:78], v[133:134]
	v_fma_f64 v[139:140], v[63:64], v[77:78], v[131:132]
	;; [unrolled: 1-line block ×8, first 2 shown]
	s_clause 0x3
	global_load_b128 v[121:124], v[15:16], off offset:3120
	global_load_b128 v[125:128], v[15:16], off offset:3104
	;; [unrolled: 1-line block ×4, first 2 shown]
	v_fma_f64 v[137:138], -v[63:64], v[79:80], v[137:138]
	v_fma_f64 v[139:140], v[61:62], v[79:80], v[139:140]
	v_fma_f64 v[67:68], -v[67:68], v[79:80], v[143:144]
	v_fma_f64 v[65:66], v[65:66], v[79:80], v[145:146]
	;; [unrolled: 2-line block ×4, first 2 shown]
	v_lshlrev_b64_e32 v[61:62], 6, v[141:142]
	s_delay_alu instid0(VALU_DEP_1) | instskip(SKIP_1) | instid1(VALU_DEP_2)
	v_add_co_u32 v141, vcc_lo, s6, v61
	s_wait_alu 0xfffd
	v_add_co_ci_u32_e64 v142, null, s7, v62, vcc_lo
	v_add_co_u32 v11, vcc_lo, v11, 16
	s_wait_alu 0xfffd
	v_add_co_ci_u32_e64 v12, null, 0, v12, vcc_lo
	global_load_b128 v[61:64], v[141:142], off
	s_wait_loadcnt 0x14
	v_fma_f64 v[77:78], v[93:94], v[97:98], v[137:138]
	v_fma_f64 v[79:80], v[95:96], v[97:98], v[139:140]
	v_fma_f64 v[67:68], v[89:90], v[97:98], v[67:68]
	v_fma_f64 v[65:66], v[91:92], v[97:98], v[65:66]
	v_fma_f64 v[71:72], v[85:86], v[97:98], v[71:72]
	v_fma_f64 v[69:70], v[87:88], v[97:98], v[69:70]
	v_fma_f64 v[75:76], v[81:82], v[97:98], v[75:76]
	v_fma_f64 v[73:74], v[83:84], v[97:98], v[73:74]
	v_fma_f64 v[95:96], -v[95:96], v[99:100], v[77:78]
	v_fma_f64 v[93:94], v[93:94], v[99:100], v[79:80]
	v_fma_f64 v[91:92], -v[91:92], v[99:100], v[67:68]
	v_fma_f64 v[89:90], v[89:90], v[99:100], v[65:66]
	v_fma_f64 v[87:88], -v[87:88], v[99:100], v[71:72]
	v_fma_f64 v[85:86], v[85:86], v[99:100], v[69:70]
	v_fma_f64 v[97:98], -v[83:84], v[99:100], v[75:76]
	v_fma_f64 v[99:100], v[81:82], v[99:100], v[73:74]
	s_clause 0x3
	global_load_b128 v[65:68], v[15:16], off offset:3136
	global_load_b128 v[69:72], v[15:16], off offset:3152
	global_load_b128 v[73:76], v[15:16], off offset:3168
	global_load_b128 v[77:80], v[15:16], off offset:3184
	global_load_b128 v[81:84], v[141:142], off offset:16
	s_wait_loadcnt 0x14
	v_fma_f64 v[95:96], v[101:102], v[117:118], v[95:96]
	v_fma_f64 v[93:94], v[103:104], v[117:118], v[93:94]
	v_fma_f64 v[91:92], v[105:106], v[117:118], v[91:92]
	v_fma_f64 v[89:90], v[107:108], v[117:118], v[89:90]
	v_fma_f64 v[87:88], v[109:110], v[117:118], v[87:88]
	v_fma_f64 v[85:86], v[111:112], v[117:118], v[85:86]
	v_fma_f64 v[97:98], v[113:114], v[117:118], v[97:98]
	v_fma_f64 v[99:100], v[115:116], v[117:118], v[99:100]
	v_fma_f64 v[117:118], -v[103:104], v[119:120], v[95:96]
	v_fma_f64 v[137:138], v[101:102], v[119:120], v[93:94]
	v_fma_f64 v[107:108], -v[107:108], v[119:120], v[91:92]
	v_fma_f64 v[105:106], v[105:106], v[119:120], v[89:90]
	v_fma_f64 v[111:112], -v[111:112], v[119:120], v[87:88]
	v_fma_f64 v[109:110], v[109:110], v[119:120], v[85:86]
	v_fma_f64 v[115:116], -v[115:116], v[119:120], v[97:98]
	v_fma_f64 v[113:114], v[113:114], v[119:120], v[99:100]
	s_clause 0x3
	global_load_b128 v[85:88], v[15:16], off offset:3248
	global_load_b128 v[89:92], v[15:16], off offset:3232
	global_load_b128 v[93:96], v[15:16], off offset:3216
	global_load_b128 v[97:100], v[15:16], off offset:3200
	global_load_b128 v[101:104], v[141:142], off offset:32
	;; [unrolled: 23-line block ×3, first 2 shown]
	v_add_co_u32 v15, vcc_lo, 0x1000, v15
	s_wait_alu 0xfffd
	v_add_co_ci_u32_e64 v16, null, 0, v16, vcc_lo
	v_cmp_ge_i64_e32 vcc_lo, v[11:12], v[13:14]
	s_wait_alu 0xfffe
	s_or_b32 s5, vcc_lo, s5
	s_wait_loadcnt 0x14
	v_fma_f64 v[33:34], v[41:42], v[57:58], v[33:34]
	v_fma_f64 v[31:32], v[43:44], v[57:58], v[31:32]
	v_fma_f64 v[113:114], v[45:46], v[57:58], v[113:114]
	v_fma_f64 v[117:118], v[47:48], v[57:58], v[117:118]
	v_fma_f64 v[25:26], v[49:50], v[57:58], v[25:26]
	v_fma_f64 v[23:24], v[51:52], v[57:58], v[23:24]
	v_fma_f64 v[115:116], v[53:54], v[57:58], v[115:116]
	v_fma_f64 v[57:58], v[55:56], v[57:58], v[119:120]
	v_fma_f64 v[33:34], -v[43:44], v[59:60], v[33:34]
	v_fma_f64 v[31:32], v[41:42], v[59:60], v[31:32]
	v_fma_f64 v[41:42], -v[47:48], v[59:60], v[113:114]
	v_fma_f64 v[43:44], v[45:46], v[59:60], v[117:118]
	v_fma_f64 v[25:26], -v[51:52], v[59:60], v[25:26]
	v_fma_f64 v[23:24], v[49:50], v[59:60], v[23:24]
	v_fma_f64 v[45:46], -v[55:56], v[59:60], v[115:116]
	v_fma_f64 v[47:48], v[53:54], v[59:60], v[57:58]
	s_wait_loadcnt 0xf
	v_fma_f64 v[33:34], v[133:134], v[61:62], v[33:34]
	v_fma_f64 v[31:32], v[135:136], v[61:62], v[31:32]
	v_fma_f64 v[41:42], v[129:130], v[61:62], v[41:42]
	v_fma_f64 v[43:44], v[131:132], v[61:62], v[43:44]
	v_fma_f64 v[25:26], v[125:126], v[61:62], v[25:26]
	v_fma_f64 v[23:24], v[127:128], v[61:62], v[23:24]
	v_fma_f64 v[45:46], v[121:122], v[61:62], v[45:46]
	v_fma_f64 v[47:48], v[123:124], v[61:62], v[47:48]
	v_fma_f64 v[33:34], -v[135:136], v[63:64], v[33:34]
	v_fma_f64 v[31:32], v[133:134], v[63:64], v[31:32]
	v_fma_f64 v[41:42], -v[131:132], v[63:64], v[41:42]
	v_fma_f64 v[43:44], v[129:130], v[63:64], v[43:44]
	v_fma_f64 v[25:26], -v[127:128], v[63:64], v[25:26]
	v_fma_f64 v[23:24], v[125:126], v[63:64], v[23:24]
	v_fma_f64 v[45:46], -v[123:124], v[63:64], v[45:46]
	v_fma_f64 v[47:48], v[121:122], v[63:64], v[47:48]
	;; [unrolled: 17-line block ×5, first 2 shown]
	s_wait_alu 0xfffe
	s_and_not1_b32 exec_lo, exec_lo, s5
	s_cbranch_execnz .LBB55_33
; %bb.34:
	s_or_b32 exec_lo, exec_lo, s5
.LBB55_35:
	s_wait_alu 0xfffe
	s_or_b32 exec_lo, exec_lo, s4
.LBB55_36:
	s_wait_alu 0xfffe
	s_or_b32 exec_lo, exec_lo, s3
.LBB55_37:
	v_mbcnt_lo_u32_b32 v45, -1, 0
	s_delay_alu instid0(VALU_DEP_1) | instskip(NEXT) | instid1(VALU_DEP_1)
	v_xor_b32_e32 v9, 2, v45
	v_cmp_gt_i32_e32 vcc_lo, 32, v9
	s_wait_alu 0xfffd
	v_cndmask_b32_e32 v9, v45, v9, vcc_lo
	s_delay_alu instid0(VALU_DEP_1)
	v_lshlrev_b32_e32 v35, 2, v9
	ds_bpermute_b32 v9, v35, v25
	ds_bpermute_b32 v10, v35, v26
	ds_bpermute_b32 v11, v35, v17
	ds_bpermute_b32 v12, v35, v18
	ds_bpermute_b32 v13, v35, v33
	ds_bpermute_b32 v14, v35, v34
	ds_bpermute_b32 v15, v35, v19
	ds_bpermute_b32 v16, v35, v20
	ds_bpermute_b32 v37, v35, v31
	ds_bpermute_b32 v38, v35, v32
	ds_bpermute_b32 v39, v35, v29
	ds_bpermute_b32 v40, v35, v30
	ds_bpermute_b32 v41, v35, v23
	ds_bpermute_b32 v42, v35, v24
	ds_bpermute_b32 v43, v35, v27
	ds_bpermute_b32 v44, v35, v28
	s_wait_dscnt 0xe
	v_add_f64_e32 v[9:10], v[25:26], v[9:10]
	s_wait_dscnt 0xc
	v_add_f64_e32 v[35:36], v[17:18], v[11:12]
	;; [unrolled: 2-line block ×7, first 2 shown]
	v_xor_b32_e32 v23, 1, v45
	s_wait_dscnt 0x0
	v_add_f64_e32 v[17:18], v[27:28], v[43:44]
	s_delay_alu instid0(VALU_DEP_2) | instskip(SKIP_3) | instid1(VALU_DEP_2)
	v_cmp_gt_i32_e32 vcc_lo, 32, v23
	s_wait_alu 0xfffd
	v_cndmask_b32_e32 v23, v45, v23, vcc_lo
	v_cmp_eq_u32_e32 vcc_lo, 3, v0
	v_lshlrev_b32_e32 v34, 2, v23
	ds_bpermute_b32 v23, v34, v9
	ds_bpermute_b32 v24, v34, v10
	;; [unrolled: 1-line block ×16, first 2 shown]
	s_and_b32 exec_lo, exec_lo, vcc_lo
	s_cbranch_execz .LBB55_8
; %bb.38:
	s_wait_dscnt 0xc
	v_add_f64_e32 v[35:36], v[35:36], v[41:42]
	s_wait_dscnt 0x8
	v_add_f64_e32 v[25:26], v[25:26], v[39:40]
	s_wait_dscnt 0x4
	v_add_f64_e32 v[19:20], v[19:20], v[37:38]
	s_wait_dscnt 0x0
	v_add_f64_e32 v[17:18], v[17:18], v[33:34]
	v_add_f64_e32 v[9:10], v[9:10], v[23:24]
	v_add_f64_e32 v[11:12], v[11:12], v[27:28]
	;; [unrolled: 1-line block ×4, first 2 shown]
	v_cmp_eq_f64_e32 vcc_lo, 0, v[1:2]
	v_cmp_eq_f64_e64 s2, 0, v[3:4]
	s_load_b64 s[0:1], s[0:1], 0x68
	v_lshlrev_b64_e32 v[21:22], 6, v[21:22]
	v_mul_f64_e64 v[13:14], v[35:36], -v[7:8]
	v_mul_f64_e32 v[15:16], v[5:6], v[35:36]
	v_mul_f64_e64 v[29:30], v[25:26], -v[7:8]
	v_mul_f64_e32 v[25:26], v[5:6], v[25:26]
	;; [unrolled: 2-line block ×4, first 2 shown]
	s_and_b32 s2, vcc_lo, s2
	v_fma_f64 v[17:18], v[5:6], v[9:10], v[13:14]
	v_fma_f64 v[19:20], v[7:8], v[9:10], v[15:16]
	;; [unrolled: 1-line block ×8, first 2 shown]
	s_wait_alu 0xfffe
	s_and_saveexec_b32 s3, s2
	s_wait_alu 0xfffe
	s_xor_b32 s2, exec_lo, s3
	s_cbranch_execz .LBB55_40
; %bb.39:
	s_wait_kmcnt 0x0
	v_add_co_u32 v0, vcc_lo, s0, v21
	s_wait_alu 0xfffd
	v_add_co_ci_u32_e64 v1, null, s1, v22, vcc_lo
                                        ; implicit-def: $vgpr21_vgpr22
	s_clause 0x3
	global_store_b128 v[0:1], v[17:20], off
	global_store_b128 v[0:1], v[13:16], off offset:16
	global_store_b128 v[0:1], v[9:12], off offset:32
	;; [unrolled: 1-line block ×3, first 2 shown]
                                        ; implicit-def: $vgpr3_vgpr4
                                        ; implicit-def: $vgpr17_vgpr18
                                        ; implicit-def: $vgpr13_vgpr14
                                        ; implicit-def: $vgpr9_vgpr10
                                        ; implicit-def: $vgpr5_vgpr6
.LBB55_40:
	s_wait_alu 0xfffe
	s_and_not1_saveexec_b32 s2, s2
	s_cbranch_execz .LBB55_8
; %bb.41:
	s_wait_kmcnt 0x0
	v_add_co_u32 v37, vcc_lo, s0, v21
	s_wait_alu 0xfffd
	v_add_co_ci_u32_e64 v38, null, s1, v22, vcc_lo
	s_clause 0x3
	global_load_b128 v[21:24], v[37:38], off
	global_load_b128 v[25:28], v[37:38], off offset:16
	global_load_b128 v[29:32], v[37:38], off offset:32
	;; [unrolled: 1-line block ×3, first 2 shown]
	s_wait_loadcnt 0x3
	v_fma_f64 v[17:18], v[1:2], v[21:22], v[17:18]
	v_fma_f64 v[19:20], v[3:4], v[21:22], v[19:20]
	s_wait_loadcnt 0x2
	v_fma_f64 v[13:14], v[1:2], v[25:26], v[13:14]
	v_fma_f64 v[15:16], v[3:4], v[25:26], v[15:16]
	;; [unrolled: 3-line block ×4, first 2 shown]
	v_fma_f64 v[5:6], -v[3:4], v[23:24], v[17:18]
	v_fma_f64 v[7:8], v[1:2], v[23:24], v[19:20]
	v_fma_f64 v[9:10], -v[3:4], v[27:28], v[13:14]
	v_fma_f64 v[11:12], v[1:2], v[27:28], v[15:16]
	;; [unrolled: 2-line block ×4, first 2 shown]
	s_clause 0x3
	global_store_b128 v[37:38], v[5:8], off
	global_store_b128 v[37:38], v[9:12], off offset:16
	global_store_b128 v[37:38], v[13:16], off offset:32
	;; [unrolled: 1-line block ×3, first 2 shown]
	s_nop 0
	s_sendmsg sendmsg(MSG_DEALLOC_VGPRS)
	s_endpgm
	.section	.rodata,"a",@progbits
	.p2align	6, 0x0
	.amdhsa_kernel _ZN9rocsparseL18bsrxmvn_4x4_kernelILj128ELj4E21rocsparse_complex_numIdEllS2_S2_S2_EEvT3_20rocsparse_direction_NS_24const_host_device_scalarIT1_EES3_PKS3_PKT2_SC_S9_PKT4_PKT5_S7_PT6_21rocsparse_index_base_b
		.amdhsa_group_segment_fixed_size 0
		.amdhsa_private_segment_fixed_size 0
		.amdhsa_kernarg_size 120
		.amdhsa_user_sgpr_count 2
		.amdhsa_user_sgpr_dispatch_ptr 0
		.amdhsa_user_sgpr_queue_ptr 0
		.amdhsa_user_sgpr_kernarg_segment_ptr 1
		.amdhsa_user_sgpr_dispatch_id 0
		.amdhsa_user_sgpr_private_segment_size 0
		.amdhsa_wavefront_size32 1
		.amdhsa_uses_dynamic_stack 0
		.amdhsa_enable_private_segment 0
		.amdhsa_system_sgpr_workgroup_id_x 1
		.amdhsa_system_sgpr_workgroup_id_y 0
		.amdhsa_system_sgpr_workgroup_id_z 0
		.amdhsa_system_sgpr_workgroup_info 0
		.amdhsa_system_vgpr_workitem_id 0
		.amdhsa_next_free_vgpr 161
		.amdhsa_next_free_sgpr 12
		.amdhsa_reserve_vcc 1
		.amdhsa_float_round_mode_32 0
		.amdhsa_float_round_mode_16_64 0
		.amdhsa_float_denorm_mode_32 3
		.amdhsa_float_denorm_mode_16_64 3
		.amdhsa_fp16_overflow 0
		.amdhsa_workgroup_processor_mode 1
		.amdhsa_memory_ordered 1
		.amdhsa_forward_progress 1
		.amdhsa_inst_pref_size 92
		.amdhsa_round_robin_scheduling 0
		.amdhsa_exception_fp_ieee_invalid_op 0
		.amdhsa_exception_fp_denorm_src 0
		.amdhsa_exception_fp_ieee_div_zero 0
		.amdhsa_exception_fp_ieee_overflow 0
		.amdhsa_exception_fp_ieee_underflow 0
		.amdhsa_exception_fp_ieee_inexact 0
		.amdhsa_exception_int_div_zero 0
	.end_amdhsa_kernel
	.section	.text._ZN9rocsparseL18bsrxmvn_4x4_kernelILj128ELj4E21rocsparse_complex_numIdEllS2_S2_S2_EEvT3_20rocsparse_direction_NS_24const_host_device_scalarIT1_EES3_PKS3_PKT2_SC_S9_PKT4_PKT5_S7_PT6_21rocsparse_index_base_b,"axG",@progbits,_ZN9rocsparseL18bsrxmvn_4x4_kernelILj128ELj4E21rocsparse_complex_numIdEllS2_S2_S2_EEvT3_20rocsparse_direction_NS_24const_host_device_scalarIT1_EES3_PKS3_PKT2_SC_S9_PKT4_PKT5_S7_PT6_21rocsparse_index_base_b,comdat
.Lfunc_end55:
	.size	_ZN9rocsparseL18bsrxmvn_4x4_kernelILj128ELj4E21rocsparse_complex_numIdEllS2_S2_S2_EEvT3_20rocsparse_direction_NS_24const_host_device_scalarIT1_EES3_PKS3_PKT2_SC_S9_PKT4_PKT5_S7_PT6_21rocsparse_index_base_b, .Lfunc_end55-_ZN9rocsparseL18bsrxmvn_4x4_kernelILj128ELj4E21rocsparse_complex_numIdEllS2_S2_S2_EEvT3_20rocsparse_direction_NS_24const_host_device_scalarIT1_EES3_PKS3_PKT2_SC_S9_PKT4_PKT5_S7_PT6_21rocsparse_index_base_b
                                        ; -- End function
	.set _ZN9rocsparseL18bsrxmvn_4x4_kernelILj128ELj4E21rocsparse_complex_numIdEllS2_S2_S2_EEvT3_20rocsparse_direction_NS_24const_host_device_scalarIT1_EES3_PKS3_PKT2_SC_S9_PKT4_PKT5_S7_PT6_21rocsparse_index_base_b.num_vgpr, 161
	.set _ZN9rocsparseL18bsrxmvn_4x4_kernelILj128ELj4E21rocsparse_complex_numIdEllS2_S2_S2_EEvT3_20rocsparse_direction_NS_24const_host_device_scalarIT1_EES3_PKS3_PKT2_SC_S9_PKT4_PKT5_S7_PT6_21rocsparse_index_base_b.num_agpr, 0
	.set _ZN9rocsparseL18bsrxmvn_4x4_kernelILj128ELj4E21rocsparse_complex_numIdEllS2_S2_S2_EEvT3_20rocsparse_direction_NS_24const_host_device_scalarIT1_EES3_PKS3_PKT2_SC_S9_PKT4_PKT5_S7_PT6_21rocsparse_index_base_b.numbered_sgpr, 12
	.set _ZN9rocsparseL18bsrxmvn_4x4_kernelILj128ELj4E21rocsparse_complex_numIdEllS2_S2_S2_EEvT3_20rocsparse_direction_NS_24const_host_device_scalarIT1_EES3_PKS3_PKT2_SC_S9_PKT4_PKT5_S7_PT6_21rocsparse_index_base_b.num_named_barrier, 0
	.set _ZN9rocsparseL18bsrxmvn_4x4_kernelILj128ELj4E21rocsparse_complex_numIdEllS2_S2_S2_EEvT3_20rocsparse_direction_NS_24const_host_device_scalarIT1_EES3_PKS3_PKT2_SC_S9_PKT4_PKT5_S7_PT6_21rocsparse_index_base_b.private_seg_size, 0
	.set _ZN9rocsparseL18bsrxmvn_4x4_kernelILj128ELj4E21rocsparse_complex_numIdEllS2_S2_S2_EEvT3_20rocsparse_direction_NS_24const_host_device_scalarIT1_EES3_PKS3_PKT2_SC_S9_PKT4_PKT5_S7_PT6_21rocsparse_index_base_b.uses_vcc, 1
	.set _ZN9rocsparseL18bsrxmvn_4x4_kernelILj128ELj4E21rocsparse_complex_numIdEllS2_S2_S2_EEvT3_20rocsparse_direction_NS_24const_host_device_scalarIT1_EES3_PKS3_PKT2_SC_S9_PKT4_PKT5_S7_PT6_21rocsparse_index_base_b.uses_flat_scratch, 0
	.set _ZN9rocsparseL18bsrxmvn_4x4_kernelILj128ELj4E21rocsparse_complex_numIdEllS2_S2_S2_EEvT3_20rocsparse_direction_NS_24const_host_device_scalarIT1_EES3_PKS3_PKT2_SC_S9_PKT4_PKT5_S7_PT6_21rocsparse_index_base_b.has_dyn_sized_stack, 0
	.set _ZN9rocsparseL18bsrxmvn_4x4_kernelILj128ELj4E21rocsparse_complex_numIdEllS2_S2_S2_EEvT3_20rocsparse_direction_NS_24const_host_device_scalarIT1_EES3_PKS3_PKT2_SC_S9_PKT4_PKT5_S7_PT6_21rocsparse_index_base_b.has_recursion, 0
	.set _ZN9rocsparseL18bsrxmvn_4x4_kernelILj128ELj4E21rocsparse_complex_numIdEllS2_S2_S2_EEvT3_20rocsparse_direction_NS_24const_host_device_scalarIT1_EES3_PKS3_PKT2_SC_S9_PKT4_PKT5_S7_PT6_21rocsparse_index_base_b.has_indirect_call, 0
	.section	.AMDGPU.csdata,"",@progbits
; Kernel info:
; codeLenInByte = 11752
; TotalNumSgprs: 14
; NumVgprs: 161
; ScratchSize: 0
; MemoryBound: 1
; FloatMode: 240
; IeeeMode: 1
; LDSByteSize: 0 bytes/workgroup (compile time only)
; SGPRBlocks: 0
; VGPRBlocks: 20
; NumSGPRsForWavesPerEU: 14
; NumVGPRsForWavesPerEU: 161
; Occupancy: 9
; WaveLimiterHint : 1
; COMPUTE_PGM_RSRC2:SCRATCH_EN: 0
; COMPUTE_PGM_RSRC2:USER_SGPR: 2
; COMPUTE_PGM_RSRC2:TRAP_HANDLER: 0
; COMPUTE_PGM_RSRC2:TGID_X_EN: 1
; COMPUTE_PGM_RSRC2:TGID_Y_EN: 0
; COMPUTE_PGM_RSRC2:TGID_Z_EN: 0
; COMPUTE_PGM_RSRC2:TIDIG_COMP_CNT: 0
	.section	.text._ZN9rocsparseL18bsrxmvn_4x4_kernelILj128ELj8E21rocsparse_complex_numIdEllS2_S2_S2_EEvT3_20rocsparse_direction_NS_24const_host_device_scalarIT1_EES3_PKS3_PKT2_SC_S9_PKT4_PKT5_S7_PT6_21rocsparse_index_base_b,"axG",@progbits,_ZN9rocsparseL18bsrxmvn_4x4_kernelILj128ELj8E21rocsparse_complex_numIdEllS2_S2_S2_EEvT3_20rocsparse_direction_NS_24const_host_device_scalarIT1_EES3_PKS3_PKT2_SC_S9_PKT4_PKT5_S7_PT6_21rocsparse_index_base_b,comdat
	.globl	_ZN9rocsparseL18bsrxmvn_4x4_kernelILj128ELj8E21rocsparse_complex_numIdEllS2_S2_S2_EEvT3_20rocsparse_direction_NS_24const_host_device_scalarIT1_EES3_PKS3_PKT2_SC_S9_PKT4_PKT5_S7_PT6_21rocsparse_index_base_b ; -- Begin function _ZN9rocsparseL18bsrxmvn_4x4_kernelILj128ELj8E21rocsparse_complex_numIdEllS2_S2_S2_EEvT3_20rocsparse_direction_NS_24const_host_device_scalarIT1_EES3_PKS3_PKT2_SC_S9_PKT4_PKT5_S7_PT6_21rocsparse_index_base_b
	.p2align	8
	.type	_ZN9rocsparseL18bsrxmvn_4x4_kernelILj128ELj8E21rocsparse_complex_numIdEllS2_S2_S2_EEvT3_20rocsparse_direction_NS_24const_host_device_scalarIT1_EES3_PKS3_PKT2_SC_S9_PKT4_PKT5_S7_PT6_21rocsparse_index_base_b,@function
_ZN9rocsparseL18bsrxmvn_4x4_kernelILj128ELj8E21rocsparse_complex_numIdEllS2_S2_S2_EEvT3_20rocsparse_direction_NS_24const_host_device_scalarIT1_EES3_PKS3_PKT2_SC_S9_PKT4_PKT5_S7_PT6_21rocsparse_index_base_b: ; @_ZN9rocsparseL18bsrxmvn_4x4_kernelILj128ELj8E21rocsparse_complex_numIdEllS2_S2_S2_EEvT3_20rocsparse_direction_NS_24const_host_device_scalarIT1_EES3_PKS3_PKT2_SC_S9_PKT4_PKT5_S7_PT6_21rocsparse_index_base_b
; %bb.0:
	s_clause 0x1
	s_load_b64 s[4:5], s[0:1], 0x70
	s_load_b64 s[2:3], s[0:1], 0x10
	s_add_nc_u64 s[6:7], s[0:1], 16
	s_load_b64 s[8:9], s[0:1], 0x58
	s_wait_kmcnt 0x0
	s_bitcmp1_b32 s5, 0
	s_cselect_b32 s2, s6, s2
	s_cselect_b32 s3, s7, s3
	s_delay_alu instid0(SALU_CYCLE_1)
	v_dual_mov_b32 v1, s2 :: v_dual_mov_b32 v2, s3
	s_add_nc_u64 s[2:3], s[0:1], 0x58
	s_wait_alu 0xfffe
	s_cselect_b32 s2, s2, s8
	s_cselect_b32 s3, s3, s9
	flat_load_b128 v[5:8], v[1:2]
	s_wait_alu 0xfffe
	v_dual_mov_b32 v1, s2 :: v_dual_mov_b32 v2, s3
	flat_load_b128 v[1:4], v[1:2]
	s_wait_loadcnt_dscnt 0x101
	v_cmp_eq_f64_e32 vcc_lo, 0, v[5:6]
	v_cmp_eq_f64_e64 s2, 0, v[7:8]
	s_and_b32 s5, vcc_lo, s2
	s_mov_b32 s2, -1
	s_and_saveexec_b32 s3, s5
	s_cbranch_execz .LBB56_2
; %bb.1:
	s_wait_loadcnt_dscnt 0x0
	v_cmp_neq_f64_e32 vcc_lo, 1.0, v[1:2]
	v_cmp_neq_f64_e64 s2, 0, v[3:4]
	s_wait_alu 0xfffe
	s_or_b32 s2, vcc_lo, s2
	s_wait_alu 0xfffe
	s_or_not1_b32 s2, s2, exec_lo
.LBB56_2:
	s_wait_alu 0xfffe
	s_or_b32 exec_lo, exec_lo, s3
	s_and_saveexec_b32 s3, s2
	s_cbranch_execz .LBB56_8
; %bb.3:
	s_load_b64 s[2:3], s[0:1], 0x28
	v_lshrrev_b32_e32 v9, 3, v0
	v_mov_b32_e32 v12, 0
	s_delay_alu instid0(VALU_DEP_2)
	v_lshl_or_b32 v11, ttmp9, 4, v9
	s_wait_kmcnt 0x0
	s_cmp_lg_u64 s[2:3], 0
	s_cbranch_scc0 .LBB56_9
; %bb.4:
	s_load_b64 s[6:7], s[0:1], 0x20
                                        ; implicit-def: $vgpr21_vgpr22
                                        ; implicit-def: $vgpr9_vgpr10
	s_wait_kmcnt 0x0
	v_cmp_gt_i64_e32 vcc_lo, s[6:7], v[11:12]
	s_mov_b32 s7, 0
	s_mov_b32 s6, 0
	s_and_saveexec_b32 s5, vcc_lo
	s_delay_alu instid0(SALU_CYCLE_1)
	s_xor_b32 s8, exec_lo, s5
	s_cbranch_execz .LBB56_6
; %bb.5:
	v_lshlrev_b64_e32 v[9:10], 3, v[11:12]
	s_mov_b32 s5, 0
	s_mov_b32 s6, exec_lo
	s_delay_alu instid0(VALU_DEP_1) | instskip(NEXT) | instid1(VALU_DEP_1)
	v_add_co_u32 v9, vcc_lo, s2, v9
	v_add_co_ci_u32_e64 v10, null, s3, v10, vcc_lo
	global_load_b64 v[9:10], v[9:10], off
	s_wait_loadcnt 0x0
	v_sub_co_u32 v21, vcc_lo, v9, s4
	s_wait_alu 0xfffd
	v_subrev_co_ci_u32_e64 v22, null, 0, v10, vcc_lo
	v_dual_mov_b32 v10, s5 :: v_dual_mov_b32 v9, s4
.LBB56_6:
	s_or_b32 exec_lo, exec_lo, s8
	s_wait_alu 0xfffe
	s_and_b32 vcc_lo, exec_lo, s7
	s_wait_alu 0xfffe
	s_cbranch_vccnz .LBB56_10
.LBB56_7:
	s_and_b32 exec_lo, exec_lo, s6
	s_cbranch_execnz .LBB56_13
.LBB56_8:
	s_nop 0
	s_sendmsg sendmsg(MSG_DEALLOC_VGPRS)
	s_endpgm
.LBB56_9:
	s_mov_b32 s6, 0
                                        ; implicit-def: $vgpr21_vgpr22
                                        ; implicit-def: $vgpr9_vgpr10
	s_cbranch_execz .LBB56_7
.LBB56_10:
	s_load_b64 s[2:3], s[0:1], 0x0
	s_wait_kmcnt 0x0
	v_cmp_gt_i64_e32 vcc_lo, s[2:3], v[11:12]
	s_and_saveexec_b32 s2, vcc_lo
; %bb.11:
	s_mov_b32 s5, 0
	s_or_b32 s6, s6, exec_lo
; %bb.12:
	s_wait_alu 0xfffe
	s_or_b32 exec_lo, exec_lo, s2
	v_dual_mov_b32 v10, s5 :: v_dual_mov_b32 v9, s4
	v_dual_mov_b32 v22, v12 :: v_dual_mov_b32 v21, v11
	s_and_b32 exec_lo, exec_lo, s6
	s_cbranch_execz .LBB56_8
.LBB56_13:
	s_load_b256 s[4:11], s[0:1], 0x30
	s_delay_alu instid0(VALU_DEP_1) | instskip(SKIP_3) | instid1(VALU_DEP_2)
	v_lshlrev_b64_e32 v[11:12], 3, v[21:22]
	v_and_b32_e32 v0, 7, v0
	s_load_b32 s3, s[0:1], 0x8
	s_wait_kmcnt 0x0
	v_add_co_u32 v13, vcc_lo, s4, v11
	s_wait_alu 0xfffd
	v_add_co_ci_u32_e64 v14, null, s5, v12, vcc_lo
	v_add_co_u32 v11, vcc_lo, s6, v11
	s_wait_alu 0xfffd
	v_add_co_ci_u32_e64 v12, null, s7, v12, vcc_lo
	v_add_co_u32 v15, vcc_lo, v13, 8
	global_load_b64 v[35:36], v[13:14], off
	s_wait_alu 0xfffd
	v_add_co_ci_u32_e64 v16, null, 0, v14, vcc_lo
	s_cmp_eq_u64 s[6:7], 0
	s_load_b64 s[6:7], s[0:1], 0x50
	s_cselect_b32 vcc_lo, -1, 0
	s_cmp_eq_u32 s3, 1
	s_wait_alu 0xfffe
	v_dual_cndmask_b32 v12, v12, v16 :: v_dual_cndmask_b32 v11, v11, v15
	global_load_b64 v[13:14], v[11:12], off
	s_wait_loadcnt 0x1
	v_sub_co_u32 v11, vcc_lo, v35, v9
	s_wait_alu 0xfffd
	v_sub_co_ci_u32_e64 v12, null, v36, v10, vcc_lo
	s_delay_alu instid0(VALU_DEP_2) | instskip(SKIP_1) | instid1(VALU_DEP_2)
	v_add_co_u32 v11, vcc_lo, v11, v0
	s_wait_alu 0xfffd
	v_add_co_ci_u32_e64 v12, null, 0, v12, vcc_lo
	s_delay_alu instid0(VALU_DEP_1) | instskip(SKIP_4) | instid1(VALU_DEP_3)
	v_lshlrev_b64_e32 v[15:16], 8, v[11:12]
	s_wait_loadcnt 0x0
	v_sub_co_u32 v13, vcc_lo, v13, v9
	s_wait_alu 0xfffd
	v_sub_co_ci_u32_e64 v14, null, v14, v10, vcc_lo
	v_add_co_u32 v15, vcc_lo, s10, v15
	s_delay_alu instid0(VALU_DEP_2)
	v_cmp_lt_i64_e64 s2, v[11:12], v[13:14]
	s_wait_alu 0xfffd
	v_add_co_ci_u32_e64 v16, null, s11, v16, vcc_lo
	s_cbranch_scc1 .LBB56_25
; %bb.14:
	v_mov_b32_e32 v17, 0
	v_mov_b32_e32 v23, 0
	;; [unrolled: 1-line block ×3, first 2 shown]
	v_dual_mov_b32 v33, 0 :: v_dual_mov_b32 v18, 0
	v_dual_mov_b32 v25, 0 :: v_dual_mov_b32 v24, 0
	v_dual_mov_b32 v27, 0 :: v_dual_mov_b32 v32, 0
	v_dual_mov_b32 v29, 0 :: v_dual_mov_b32 v34, 0
	v_dual_mov_b32 v19, 0 :: v_dual_mov_b32 v26, 0
	v_mov_b32_e32 v28, 0
	v_mov_b32_e32 v30, 0
	;; [unrolled: 1-line block ×3, first 2 shown]
	s_and_saveexec_b32 s5, s2
	s_cbranch_execz .LBB56_24
; %bb.15:
	v_or_b32_e32 v17, 8, v0
	v_not_b32_e32 v24, v35
	v_dual_mov_b32 v38, 0 :: v_dual_mov_b32 v19, 0
	v_not_b32_e32 v23, v36
	s_delay_alu instid0(VALU_DEP_4) | instskip(SKIP_3) | instid1(VALU_DEP_3)
	v_sub_co_u32 v17, vcc_lo, v17, v9
	s_wait_alu 0xfffd
	v_sub_co_ci_u32_e64 v18, null, 0, v10, vcc_lo
	v_mov_b32_e32 v27, 0
	v_add_co_u32 v17, vcc_lo, v17, v35
	s_wait_alu 0xfffd
	s_delay_alu instid0(VALU_DEP_3) | instskip(SKIP_3) | instid1(VALU_DEP_3)
	v_add_co_ci_u32_e64 v18, null, v18, v36, vcc_lo
	v_sub_co_u32 v25, vcc_lo, v9, v0
	s_wait_alu 0xfffd
	v_subrev_co_ci_u32_e64 v26, null, 0, v10, vcc_lo
	v_cmp_gt_i64_e32 vcc_lo, v[17:18], v[13:14]
	v_mov_b32_e32 v20, 0
	v_add_co_u32 v24, s3, v25, v24
	s_wait_alu 0xf1ff
	v_add_co_ci_u32_e64 v23, null, v26, v23, s3
	s_wait_alu 0xfffd
	v_dual_cndmask_b32 v17, v13, v17 :: v_dual_cndmask_b32 v18, v14, v18
	v_mov_b32_e32 v33, 0
	v_dual_mov_b32 v34, 0 :: v_dual_mov_b32 v29, 0
	s_delay_alu instid0(VALU_DEP_3) | instskip(SKIP_1) | instid1(VALU_DEP_2)
	v_add_co_u32 v41, vcc_lo, v24, v17
	v_dual_mov_b32 v30, 0 :: v_dual_mov_b32 v31, 0
	v_dual_mov_b32 v32, 0 :: v_dual_and_b32 v37, 24, v41
	v_mov_b32_e32 v25, 0
	s_wait_alu 0xfffd
	v_add_co_ci_u32_e64 v42, null, v23, v18, vcc_lo
	v_dual_mov_b32 v28, 0 :: v_dual_mov_b32 v23, 0
	v_dual_mov_b32 v26, 0 :: v_dual_mov_b32 v17, 0
	v_cmp_ne_u64_e32 vcc_lo, 24, v[37:38]
	v_mov_b32_e32 v24, 0
	v_mov_b32_e32 v18, 0
	v_dual_mov_b32 v40, v16 :: v_dual_mov_b32 v39, v15
	v_dual_mov_b32 v38, v12 :: v_dual_mov_b32 v37, v11
	s_and_saveexec_b32 s4, vcc_lo
	s_cbranch_execz .LBB56_19
; %bb.16:
	v_lshrrev_b32_e32 v17, 3, v41
	v_lshlrev_b64_e32 v[19:20], 3, v[11:12]
	v_mov_b32_e32 v31, 0
	v_mov_b32_e32 v25, 0
	v_mov_b32_e32 v23, 0
	v_add_nc_u32_e32 v27, 1, v17
	v_dual_mov_b32 v17, 0 :: v_dual_mov_b32 v38, v12
	v_mov_b32_e32 v18, 0
	v_add_co_u32 v43, vcc_lo, s8, v19
	s_delay_alu instid0(VALU_DEP_4) | instskip(SKIP_3) | instid1(VALU_DEP_3)
	v_dual_mov_b32 v32, 0 :: v_dual_and_b32 v27, 3, v27
	s_wait_alu 0xfffd
	v_add_co_ci_u32_e64 v44, null, s9, v20, vcc_lo
	v_mov_b32_e32 v29, 0
	v_sub_co_u32 v45, s3, 0, v27
	v_dual_mov_b32 v27, 0 :: v_dual_mov_b32 v30, 0
	v_dual_mov_b32 v33, 0 :: v_dual_mov_b32 v40, v16
	v_mov_b32_e32 v19, 0
	v_dual_mov_b32 v37, v11 :: v_dual_mov_b32 v26, 0
	v_mov_b32_e32 v24, 0
	s_wait_alu 0xf1ff
	v_sub_co_ci_u32_e64 v46, null, 0, 0, s3
	v_mov_b32_e32 v28, 0
	v_mov_b32_e32 v34, 0
	v_dual_mov_b32 v20, 0 :: v_dual_mov_b32 v39, v15
	s_mov_b32 s10, 0
.LBB56_17:                              ; =>This Inner Loop Header: Depth=1
	global_load_b64 v[79:80], v[43:44], off
	s_clause 0x7
	global_load_b128 v[47:50], v[39:40], off offset:16
	global_load_b128 v[51:54], v[39:40], off
	global_load_b128 v[55:58], v[39:40], off offset:80
	global_load_b128 v[59:62], v[39:40], off offset:64
	;; [unrolled: 1-line block ×6, first 2 shown]
	v_add_co_u32 v43, s3, v43, 64
	s_wait_alu 0xf1ff
	v_add_co_ci_u32_e64 v44, null, 0, v44, s3
	s_wait_loadcnt 0x8
	v_sub_co_u32 v79, vcc_lo, v79, v9
	s_wait_alu 0xfffd
	v_sub_co_ci_u32_e64 v80, null, v80, v10, vcc_lo
	s_delay_alu instid0(VALU_DEP_1) | instskip(SKIP_1) | instid1(VALU_DEP_1)
	v_lshlrev_b64_e32 v[79:80], 6, v[79:80]
	s_wait_kmcnt 0x0
	v_add_co_u32 v123, vcc_lo, s6, v79
	s_wait_alu 0xfffd
	s_delay_alu instid0(VALU_DEP_2)
	v_add_co_ci_u32_e64 v124, null, s7, v80, vcc_lo
	s_clause 0x1
	global_load_b128 v[79:82], v[123:124], off
	global_load_b128 v[83:86], v[123:124], off offset:16
	s_clause 0x7
	global_load_b128 v[87:90], v[39:40], off offset:48
	global_load_b128 v[91:94], v[39:40], off offset:32
	;; [unrolled: 1-line block ×8, first 2 shown]
	s_clause 0x1
	global_load_b128 v[119:122], v[123:124], off offset:32
	global_load_b128 v[123:126], v[123:124], off offset:48
	v_add_co_u32 v39, vcc_lo, 0x800, v39
	s_wait_alu 0xfffd
	v_add_co_ci_u32_e64 v40, null, 0, v40, vcc_lo
	v_add_co_u32 v45, vcc_lo, v45, 1
	s_wait_alu 0xfffd
	v_add_co_ci_u32_e64 v46, null, 0, v46, vcc_lo
	;; [unrolled: 3-line block ×3, first 2 shown]
	s_delay_alu instid0(VALU_DEP_3)
	v_cmp_eq_u64_e32 vcc_lo, 0, v[45:46]
	s_wait_alu 0xfffe
	s_or_b32 s10, vcc_lo, s10
	s_wait_loadcnt 0xb
	v_fma_f64 v[25:26], v[51:52], v[79:80], v[25:26]
	v_fma_f64 v[17:18], v[53:54], v[79:80], v[17:18]
	v_fma_f64 v[33:34], v[59:60], v[79:80], v[33:34]
	v_fma_f64 v[19:20], v[61:62], v[79:80], v[19:20]
	v_fma_f64 v[31:32], v[67:68], v[79:80], v[31:32]
	v_fma_f64 v[29:30], v[69:70], v[79:80], v[29:30]
	v_fma_f64 v[23:24], v[75:76], v[79:80], v[23:24]
	v_fma_f64 v[27:28], v[77:78], v[79:80], v[27:28]
	v_fma_f64 v[25:26], -v[53:54], v[81:82], v[25:26]
	v_fma_f64 v[17:18], v[51:52], v[81:82], v[17:18]
	v_fma_f64 v[33:34], -v[61:62], v[81:82], v[33:34]
	v_fma_f64 v[19:20], v[59:60], v[81:82], v[19:20]
	v_fma_f64 v[31:32], -v[69:70], v[81:82], v[31:32]
	v_fma_f64 v[29:30], v[67:68], v[81:82], v[29:30]
	v_fma_f64 v[23:24], -v[77:78], v[81:82], v[23:24]
	v_fma_f64 v[27:28], v[75:76], v[81:82], v[27:28]
	s_wait_loadcnt 0xa
	v_fma_f64 v[25:26], v[47:48], v[83:84], v[25:26]
	v_fma_f64 v[17:18], v[49:50], v[83:84], v[17:18]
	v_fma_f64 v[33:34], v[55:56], v[83:84], v[33:34]
	v_fma_f64 v[19:20], v[57:58], v[83:84], v[19:20]
	v_fma_f64 v[31:32], v[63:64], v[83:84], v[31:32]
	v_fma_f64 v[29:30], v[65:66], v[83:84], v[29:30]
	v_fma_f64 v[23:24], v[71:72], v[83:84], v[23:24]
	v_fma_f64 v[27:28], v[73:74], v[83:84], v[27:28]
	v_fma_f64 v[25:26], -v[49:50], v[85:86], v[25:26]
	v_fma_f64 v[17:18], v[47:48], v[85:86], v[17:18]
	v_fma_f64 v[33:34], -v[57:58], v[85:86], v[33:34]
	v_fma_f64 v[19:20], v[55:56], v[85:86], v[19:20]
	v_fma_f64 v[31:32], -v[65:66], v[85:86], v[31:32]
	v_fma_f64 v[29:30], v[63:64], v[85:86], v[29:30]
	v_fma_f64 v[23:24], -v[73:74], v[85:86], v[23:24]
	v_fma_f64 v[27:28], v[71:72], v[85:86], v[27:28]
	;; [unrolled: 17-line block ×4, first 2 shown]
	s_wait_alu 0xfffe
	s_and_not1_b32 exec_lo, exec_lo, s10
	s_cbranch_execnz .LBB56_17
; %bb.18:
	s_or_b32 exec_lo, exec_lo, s10
.LBB56_19:
	s_wait_alu 0xfffe
	s_or_b32 exec_lo, exec_lo, s4
	s_delay_alu instid0(SALU_CYCLE_1)
	s_mov_b32 s10, exec_lo
	v_cmpx_lt_u64_e32 23, v[41:42]
	s_cbranch_execz .LBB56_23
; %bb.20:
	v_lshlrev_b64_e32 v[41:42], 3, v[37:38]
	s_mov_b32 s11, 0
	s_delay_alu instid0(VALU_DEP_1) | instskip(SKIP_1) | instid1(VALU_DEP_2)
	v_add_co_u32 v41, vcc_lo, s8, v41
	s_wait_alu 0xfffd
	v_add_co_ci_u32_e64 v42, null, s9, v42, vcc_lo
	s_delay_alu instid0(VALU_DEP_2) | instskip(SKIP_1) | instid1(VALU_DEP_2)
	v_add_co_u32 v41, vcc_lo, 0x80, v41
	s_wait_alu 0xfffd
	v_add_co_ci_u32_e64 v42, null, 0, v42, vcc_lo
.LBB56_21:                              ; =>This Inner Loop Header: Depth=1
	s_clause 0x1
	global_load_b64 v[43:44], v[41:42], off offset:-128
	global_load_b64 v[141:142], v[41:42], off offset:-64
	s_clause 0x3
	global_load_b128 v[45:48], v[39:40], off
	global_load_b128 v[49:52], v[39:40], off offset:64
	global_load_b128 v[53:56], v[39:40], off offset:128
	global_load_b128 v[57:60], v[39:40], off offset:192
	s_wait_loadcnt 0x5
	v_sub_co_u32 v43, vcc_lo, v43, v9
	s_wait_alu 0xfffd
	v_sub_co_ci_u32_e64 v44, null, v44, v10, vcc_lo
	s_delay_alu instid0(VALU_DEP_1) | instskip(SKIP_1) | instid1(VALU_DEP_1)
	v_lshlrev_b64_e32 v[43:44], 6, v[43:44]
	s_wait_kmcnt 0x0
	v_add_co_u32 v43, vcc_lo, s6, v43
	s_wait_alu 0xfffd
	s_delay_alu instid0(VALU_DEP_2)
	v_add_co_ci_u32_e64 v44, null, s7, v44, vcc_lo
	global_load_b128 v[61:64], v[43:44], off
	s_clause 0x3
	global_load_b128 v[65:68], v[39:40], off offset:16
	global_load_b128 v[69:72], v[39:40], off offset:80
	global_load_b128 v[73:76], v[39:40], off offset:144
	global_load_b128 v[77:80], v[39:40], off offset:208
	global_load_b128 v[81:84], v[43:44], off offset:16
	s_clause 0x3
	global_load_b128 v[85:88], v[39:40], off offset:32
	global_load_b128 v[89:92], v[39:40], off offset:96
	global_load_b128 v[93:96], v[39:40], off offset:160
	global_load_b128 v[97:100], v[39:40], off offset:224
	global_load_b128 v[101:104], v[43:44], off offset:32
	;; [unrolled: 6-line block ×3, first 2 shown]
	global_load_b64 v[145:146], v[41:42], off
	s_clause 0x3
	global_load_b128 v[125:128], v[39:40], off offset:2048
	global_load_b128 v[129:132], v[39:40], off offset:2112
	;; [unrolled: 1-line block ×4, first 2 shown]
	s_wait_loadcnt 0x19
	v_sub_co_u32 v43, vcc_lo, v141, v9
	s_wait_alu 0xfffd
	v_sub_co_ci_u32_e64 v44, null, v142, v10, vcc_lo
	s_delay_alu instid0(VALU_DEP_1) | instskip(NEXT) | instid1(VALU_DEP_1)
	v_lshlrev_b64_e32 v[43:44], 6, v[43:44]
	v_add_co_u32 v147, vcc_lo, s6, v43
	s_wait_alu 0xfffd
	s_delay_alu instid0(VALU_DEP_2)
	v_add_co_ci_u32_e64 v148, null, s7, v44, vcc_lo
	global_load_b128 v[141:144], v[147:148], off
	s_wait_loadcnt 0x15
	v_fma_f64 v[25:26], v[45:46], v[61:62], v[25:26]
	v_fma_f64 v[17:18], v[47:48], v[61:62], v[17:18]
	;; [unrolled: 1-line block ×8, first 2 shown]
	s_wait_loadcnt 0x5
	v_sub_co_u32 v145, vcc_lo, v145, v9
	s_wait_alu 0xfffd
	v_sub_co_ci_u32_e64 v146, null, v146, v10, vcc_lo
	v_fma_f64 v[47:48], -v[47:48], v[63:64], v[25:26]
	v_fma_f64 v[61:62], v[45:46], v[63:64], v[17:18]
	v_fma_f64 v[51:52], -v[51:52], v[63:64], v[33:34]
	v_fma_f64 v[49:50], v[49:50], v[63:64], v[19:20]
	v_fma_f64 v[55:56], -v[55:56], v[63:64], v[31:32]
	v_fma_f64 v[53:54], v[53:54], v[63:64], v[29:30]
	v_fma_f64 v[59:60], -v[59:60], v[63:64], v[23:24]
	v_fma_f64 v[57:58], v[57:58], v[63:64], v[27:28]
	s_clause 0x3
	global_load_b128 v[17:20], v[39:40], off offset:2064
	global_load_b128 v[23:26], v[39:40], off offset:2128
	global_load_b128 v[27:30], v[39:40], off offset:2192
	global_load_b128 v[31:34], v[39:40], off offset:2256
	global_load_b128 v[43:46], v[147:148], off offset:16
	v_fma_f64 v[47:48], v[65:66], v[81:82], v[47:48]
	v_fma_f64 v[61:62], v[67:68], v[81:82], v[61:62]
	v_fma_f64 v[51:52], v[69:70], v[81:82], v[51:52]
	v_fma_f64 v[49:50], v[71:72], v[81:82], v[49:50]
	v_fma_f64 v[55:56], v[73:74], v[81:82], v[55:56]
	v_fma_f64 v[53:54], v[75:76], v[81:82], v[53:54]
	v_fma_f64 v[59:60], v[77:78], v[81:82], v[59:60]
	v_fma_f64 v[57:58], v[79:80], v[81:82], v[57:58]
	v_fma_f64 v[67:68], -v[67:68], v[83:84], v[47:48]
	v_fma_f64 v[81:82], v[65:66], v[83:84], v[61:62]
	v_fma_f64 v[71:72], -v[71:72], v[83:84], v[51:52]
	v_fma_f64 v[69:70], v[69:70], v[83:84], v[49:50]
	v_fma_f64 v[75:76], -v[75:76], v[83:84], v[55:56]
	v_fma_f64 v[73:74], v[73:74], v[83:84], v[53:54]
	v_fma_f64 v[79:80], -v[79:80], v[83:84], v[59:60]
	v_fma_f64 v[77:78], v[77:78], v[83:84], v[57:58]
	s_clause 0x3
	global_load_b128 v[47:50], v[39:40], off offset:2080
	global_load_b128 v[51:54], v[39:40], off offset:2144
	global_load_b128 v[55:58], v[39:40], off offset:2208
	global_load_b128 v[59:62], v[39:40], off offset:2272
	global_load_b128 v[63:66], v[147:148], off offset:32
	v_fma_f64 v[67:68], v[85:86], v[101:102], v[67:68]
	v_fma_f64 v[81:82], v[87:88], v[101:102], v[81:82]
	v_fma_f64 v[71:72], v[89:90], v[101:102], v[71:72]
	v_fma_f64 v[69:70], v[91:92], v[101:102], v[69:70]
	v_fma_f64 v[75:76], v[93:94], v[101:102], v[75:76]
	v_fma_f64 v[73:74], v[95:96], v[101:102], v[73:74]
	v_fma_f64 v[79:80], v[97:98], v[101:102], v[79:80]
	v_fma_f64 v[77:78], v[99:100], v[101:102], v[77:78]
	v_fma_f64 v[87:88], -v[87:88], v[103:104], v[67:68]
	v_fma_f64 v[101:102], v[85:86], v[103:104], v[81:82]
	v_fma_f64 v[91:92], -v[91:92], v[103:104], v[71:72]
	v_fma_f64 v[89:90], v[89:90], v[103:104], v[69:70]
	v_fma_f64 v[95:96], -v[95:96], v[103:104], v[75:76]
	v_fma_f64 v[93:94], v[93:94], v[103:104], v[73:74]
	v_fma_f64 v[99:100], -v[99:100], v[103:104], v[79:80]
	v_fma_f64 v[97:98], v[97:98], v[103:104], v[77:78]
	s_clause 0x3
	global_load_b128 v[67:70], v[39:40], off offset:2096
	global_load_b128 v[71:74], v[39:40], off offset:2160
	global_load_b128 v[75:78], v[39:40], off offset:2224
	global_load_b128 v[79:82], v[39:40], off offset:2288
	global_load_b128 v[83:86], v[147:148], off offset:48
	v_fma_f64 v[103:104], v[105:106], v[121:122], v[87:88]
	v_fma_f64 v[147:148], v[107:108], v[121:122], v[101:102]
	v_fma_f64 v[149:150], v[109:110], v[121:122], v[91:92]
	v_fma_f64 v[151:152], v[111:112], v[121:122], v[89:90]
	v_fma_f64 v[153:154], v[113:114], v[121:122], v[95:96]
	v_fma_f64 v[155:156], v[115:116], v[121:122], v[93:94]
	v_fma_f64 v[157:158], v[117:118], v[121:122], v[99:100]
	v_fma_f64 v[121:122], v[119:120], v[121:122], v[97:98]
	global_load_b64 v[159:160], v[41:42], off offset:64
	s_clause 0x3
	global_load_b128 v[87:90], v[39:40], off offset:4096
	global_load_b128 v[91:94], v[39:40], off offset:4160
	;; [unrolled: 1-line block ×4, first 2 shown]
	v_add_co_u32 v41, s3, 0x100, v41
	s_wait_alu 0xf1ff
	v_add_co_ci_u32_e64 v42, null, 0, v42, s3
	v_fma_f64 v[107:108], -v[107:108], v[123:124], v[103:104]
	v_fma_f64 v[147:148], v[105:106], v[123:124], v[147:148]
	v_fma_f64 v[111:112], -v[111:112], v[123:124], v[149:150]
	v_fma_f64 v[109:110], v[109:110], v[123:124], v[151:152]
	;; [unrolled: 2-line block ×4, first 2 shown]
	v_lshlrev_b64_e32 v[103:104], 6, v[145:146]
	s_delay_alu instid0(VALU_DEP_1) | instskip(SKIP_1) | instid1(VALU_DEP_2)
	v_add_co_u32 v145, vcc_lo, s6, v103
	s_wait_alu 0xfffd
	v_add_co_ci_u32_e64 v146, null, s7, v104, vcc_lo
	global_load_b128 v[103:106], v[145:146], off
	s_wait_loadcnt 0x15
	v_fma_f64 v[107:108], v[125:126], v[141:142], v[107:108]
	v_fma_f64 v[121:122], v[127:128], v[141:142], v[147:148]
	v_fma_f64 v[111:112], v[129:130], v[141:142], v[111:112]
	v_fma_f64 v[109:110], v[131:132], v[141:142], v[109:110]
	v_fma_f64 v[115:116], v[133:134], v[141:142], v[115:116]
	v_fma_f64 v[113:114], v[135:136], v[141:142], v[113:114]
	v_fma_f64 v[119:120], v[137:138], v[141:142], v[119:120]
	v_fma_f64 v[117:118], v[139:140], v[141:142], v[117:118]
	v_fma_f64 v[127:128], -v[127:128], v[143:144], v[107:108]
	v_fma_f64 v[141:142], v[125:126], v[143:144], v[121:122]
	v_fma_f64 v[131:132], -v[131:132], v[143:144], v[111:112]
	v_fma_f64 v[129:130], v[129:130], v[143:144], v[109:110]
	v_fma_f64 v[135:136], -v[135:136], v[143:144], v[115:116]
	v_fma_f64 v[133:134], v[133:134], v[143:144], v[113:114]
	v_fma_f64 v[139:140], -v[139:140], v[143:144], v[119:120]
	v_fma_f64 v[137:138], v[137:138], v[143:144], v[117:118]
	s_clause 0x3
	global_load_b128 v[107:110], v[39:40], off offset:4112
	global_load_b128 v[111:114], v[39:40], off offset:4176
	global_load_b128 v[115:118], v[39:40], off offset:4240
	global_load_b128 v[119:122], v[39:40], off offset:4304
	global_load_b128 v[123:126], v[145:146], off offset:16
	s_wait_loadcnt 0x15
	v_fma_f64 v[127:128], v[17:18], v[43:44], v[127:128]
	v_fma_f64 v[141:142], v[19:20], v[43:44], v[141:142]
	v_fma_f64 v[131:132], v[23:24], v[43:44], v[131:132]
	v_fma_f64 v[129:130], v[25:26], v[43:44], v[129:130]
	v_fma_f64 v[135:136], v[27:28], v[43:44], v[135:136]
	v_fma_f64 v[133:134], v[29:30], v[43:44], v[133:134]
	v_fma_f64 v[139:140], v[31:32], v[43:44], v[139:140]
	v_fma_f64 v[43:44], v[33:34], v[43:44], v[137:138]
	v_fma_f64 v[127:128], -v[19:20], v[45:46], v[127:128]
	v_fma_f64 v[137:138], v[17:18], v[45:46], v[141:142]
	v_fma_f64 v[131:132], -v[25:26], v[45:46], v[131:132]
	v_fma_f64 v[129:130], v[23:24], v[45:46], v[129:130]
	v_fma_f64 v[135:136], -v[29:30], v[45:46], v[135:136]
	v_fma_f64 v[133:134], v[27:28], v[45:46], v[133:134]
	v_fma_f64 v[139:140], -v[33:34], v[45:46], v[139:140]
	v_fma_f64 v[141:142], v[31:32], v[45:46], v[43:44]
	s_clause 0x3
	global_load_b128 v[17:20], v[39:40], off offset:4128
	global_load_b128 v[23:26], v[39:40], off offset:4192
	global_load_b128 v[27:30], v[39:40], off offset:4256
	global_load_b128 v[31:34], v[39:40], off offset:4320
	global_load_b128 v[43:46], v[145:146], off offset:32
	;; [unrolled: 23-line block ×3, first 2 shown]
	s_wait_loadcnt 0x15
	v_fma_f64 v[143:144], v[67:68], v[83:84], v[127:128]
	v_fma_f64 v[145:146], v[69:70], v[83:84], v[137:138]
	;; [unrolled: 1-line block ×8, first 2 shown]
	s_clause 0x3
	global_load_b128 v[127:130], v[39:40], off offset:6144
	global_load_b128 v[131:134], v[39:40], off offset:6208
	;; [unrolled: 1-line block ×4, first 2 shown]
	s_wait_loadcnt 0x18
	v_sub_co_u32 v157, vcc_lo, v159, v9
	s_wait_alu 0xfffd
	v_sub_co_ci_u32_e64 v158, null, v160, v10, vcc_lo
	v_fma_f64 v[143:144], -v[69:70], v[85:86], v[143:144]
	v_fma_f64 v[145:146], v[67:68], v[85:86], v[145:146]
	v_fma_f64 v[73:74], -v[73:74], v[85:86], v[147:148]
	v_fma_f64 v[71:72], v[71:72], v[85:86], v[149:150]
	;; [unrolled: 2-line block ×4, first 2 shown]
	v_lshlrev_b64_e32 v[67:68], 6, v[157:158]
	s_delay_alu instid0(VALU_DEP_1) | instskip(SKIP_1) | instid1(VALU_DEP_2)
	v_add_co_u32 v147, vcc_lo, s6, v67
	s_wait_alu 0xfffd
	v_add_co_ci_u32_e64 v148, null, s7, v68, vcc_lo
	v_add_co_u32 v37, vcc_lo, v37, 32
	s_wait_alu 0xfffd
	v_add_co_ci_u32_e64 v38, null, 0, v38, vcc_lo
	global_load_b128 v[67:70], v[147:148], off
	v_cmp_ge_i64_e64 s4, v[37:38], v[13:14]
	s_wait_alu 0xfffe
	s_or_b32 s11, s4, s11
	s_wait_loadcnt 0x14
	v_fma_f64 v[83:84], v[87:88], v[103:104], v[143:144]
	v_fma_f64 v[85:86], v[89:90], v[103:104], v[145:146]
	v_fma_f64 v[73:74], v[91:92], v[103:104], v[73:74]
	v_fma_f64 v[71:72], v[93:94], v[103:104], v[71:72]
	v_fma_f64 v[77:78], v[95:96], v[103:104], v[77:78]
	v_fma_f64 v[75:76], v[97:98], v[103:104], v[75:76]
	v_fma_f64 v[81:82], v[99:100], v[103:104], v[81:82]
	v_fma_f64 v[79:80], v[101:102], v[103:104], v[79:80]
	v_fma_f64 v[103:104], -v[89:90], v[105:106], v[83:84]
	v_fma_f64 v[143:144], v[87:88], v[105:106], v[85:86]
	v_fma_f64 v[93:94], -v[93:94], v[105:106], v[73:74]
	v_fma_f64 v[91:92], v[91:92], v[105:106], v[71:72]
	v_fma_f64 v[97:98], -v[97:98], v[105:106], v[77:78]
	v_fma_f64 v[95:96], v[95:96], v[105:106], v[75:76]
	v_fma_f64 v[101:102], -v[101:102], v[105:106], v[81:82]
	v_fma_f64 v[99:100], v[99:100], v[105:106], v[79:80]
	s_clause 0x3
	global_load_b128 v[71:74], v[39:40], off offset:6160
	global_load_b128 v[75:78], v[39:40], off offset:6224
	global_load_b128 v[79:82], v[39:40], off offset:6288
	global_load_b128 v[83:86], v[39:40], off offset:6352
	global_load_b128 v[87:90], v[147:148], off offset:16
	s_wait_loadcnt 0x14
	v_fma_f64 v[103:104], v[107:108], v[123:124], v[103:104]
	v_fma_f64 v[105:106], v[109:110], v[123:124], v[143:144]
	v_fma_f64 v[93:94], v[111:112], v[123:124], v[93:94]
	v_fma_f64 v[91:92], v[113:114], v[123:124], v[91:92]
	v_fma_f64 v[97:98], v[115:116], v[123:124], v[97:98]
	v_fma_f64 v[95:96], v[117:118], v[123:124], v[95:96]
	v_fma_f64 v[101:102], v[119:120], v[123:124], v[101:102]
	v_fma_f64 v[99:100], v[121:122], v[123:124], v[99:100]
	v_fma_f64 v[123:124], -v[109:110], v[125:126], v[103:104]
	v_fma_f64 v[143:144], v[107:108], v[125:126], v[105:106]
	v_fma_f64 v[113:114], -v[113:114], v[125:126], v[93:94]
	v_fma_f64 v[111:112], v[111:112], v[125:126], v[91:92]
	v_fma_f64 v[117:118], -v[117:118], v[125:126], v[97:98]
	v_fma_f64 v[115:116], v[115:116], v[125:126], v[95:96]
	v_fma_f64 v[121:122], -v[121:122], v[125:126], v[101:102]
	v_fma_f64 v[119:120], v[119:120], v[125:126], v[99:100]
	s_clause 0x3
	global_load_b128 v[91:94], v[39:40], off offset:6176
	global_load_b128 v[95:98], v[39:40], off offset:6240
	global_load_b128 v[99:102], v[39:40], off offset:6304
	global_load_b128 v[103:106], v[39:40], off offset:6368
	global_load_b128 v[107:110], v[147:148], off offset:32
	;; [unrolled: 23-line block ×3, first 2 shown]
	v_add_co_u32 v39, vcc_lo, 0x2000, v39
	s_wait_alu 0xfffd
	v_add_co_ci_u32_e64 v40, null, 0, v40, vcc_lo
	s_wait_loadcnt 0x14
	v_fma_f64 v[119:120], v[47:48], v[63:64], v[119:120]
	v_fma_f64 v[121:122], v[49:50], v[63:64], v[123:124]
	v_fma_f64 v[25:26], v[51:52], v[63:64], v[25:26]
	v_fma_f64 v[23:24], v[53:54], v[63:64], v[23:24]
	v_fma_f64 v[123:124], v[55:56], v[63:64], v[125:126]
	v_fma_f64 v[125:126], v[57:58], v[63:64], v[143:144]
	v_fma_f64 v[33:34], v[59:60], v[63:64], v[33:34]
	v_fma_f64 v[31:32], v[61:62], v[63:64], v[31:32]
	v_fma_f64 v[49:50], -v[49:50], v[65:66], v[119:120]
	v_fma_f64 v[47:48], v[47:48], v[65:66], v[121:122]
	v_fma_f64 v[25:26], -v[53:54], v[65:66], v[25:26]
	v_fma_f64 v[23:24], v[51:52], v[65:66], v[23:24]
	v_fma_f64 v[51:52], -v[57:58], v[65:66], v[123:124]
	v_fma_f64 v[53:54], v[55:56], v[65:66], v[125:126]
	v_fma_f64 v[33:34], -v[61:62], v[65:66], v[33:34]
	v_fma_f64 v[31:32], v[59:60], v[65:66], v[31:32]
	s_wait_loadcnt 0xf
	v_fma_f64 v[49:50], v[127:128], v[67:68], v[49:50]
	v_fma_f64 v[47:48], v[129:130], v[67:68], v[47:48]
	v_fma_f64 v[25:26], v[131:132], v[67:68], v[25:26]
	v_fma_f64 v[23:24], v[133:134], v[67:68], v[23:24]
	v_fma_f64 v[51:52], v[135:136], v[67:68], v[51:52]
	v_fma_f64 v[53:54], v[137:138], v[67:68], v[53:54]
	v_fma_f64 v[33:34], v[139:140], v[67:68], v[33:34]
	v_fma_f64 v[31:32], v[141:142], v[67:68], v[31:32]
	v_fma_f64 v[49:50], -v[129:130], v[69:70], v[49:50]
	v_fma_f64 v[47:48], v[127:128], v[69:70], v[47:48]
	v_fma_f64 v[25:26], -v[133:134], v[69:70], v[25:26]
	v_fma_f64 v[23:24], v[131:132], v[69:70], v[23:24]
	v_fma_f64 v[51:52], -v[137:138], v[69:70], v[51:52]
	v_fma_f64 v[53:54], v[135:136], v[69:70], v[53:54]
	v_fma_f64 v[33:34], -v[141:142], v[69:70], v[33:34]
	v_fma_f64 v[31:32], v[139:140], v[69:70], v[31:32]
	s_wait_loadcnt 0xa
	v_fma_f64 v[49:50], v[71:72], v[87:88], v[49:50]
	v_fma_f64 v[47:48], v[73:74], v[87:88], v[47:48]
	v_fma_f64 v[25:26], v[75:76], v[87:88], v[25:26]
	v_fma_f64 v[23:24], v[77:78], v[87:88], v[23:24]
	v_fma_f64 v[51:52], v[79:80], v[87:88], v[51:52]
	v_fma_f64 v[53:54], v[81:82], v[87:88], v[53:54]
	v_fma_f64 v[33:34], v[83:84], v[87:88], v[33:34]
	v_fma_f64 v[31:32], v[85:86], v[87:88], v[31:32]
	v_fma_f64 v[49:50], -v[73:74], v[89:90], v[49:50]
	v_fma_f64 v[47:48], v[71:72], v[89:90], v[47:48]
	v_fma_f64 v[25:26], -v[77:78], v[89:90], v[25:26]
	v_fma_f64 v[23:24], v[75:76], v[89:90], v[23:24]
	v_fma_f64 v[51:52], -v[81:82], v[89:90], v[51:52]
	v_fma_f64 v[53:54], v[79:80], v[89:90], v[53:54]
	v_fma_f64 v[33:34], -v[85:86], v[89:90], v[33:34]
	v_fma_f64 v[31:32], v[83:84], v[89:90], v[31:32]
	s_wait_loadcnt 0x5
	v_fma_f64 v[49:50], v[91:92], v[107:108], v[49:50]
	v_fma_f64 v[47:48], v[93:94], v[107:108], v[47:48]
	v_fma_f64 v[25:26], v[95:96], v[107:108], v[25:26]
	v_fma_f64 v[23:24], v[97:98], v[107:108], v[23:24]
	v_fma_f64 v[51:52], v[99:100], v[107:108], v[51:52]
	v_fma_f64 v[53:54], v[101:102], v[107:108], v[53:54]
	v_fma_f64 v[33:34], v[103:104], v[107:108], v[33:34]
	v_fma_f64 v[31:32], v[105:106], v[107:108], v[31:32]
	v_fma_f64 v[49:50], -v[93:94], v[109:110], v[49:50]
	v_fma_f64 v[47:48], v[91:92], v[109:110], v[47:48]
	v_fma_f64 v[25:26], -v[97:98], v[109:110], v[25:26]
	v_fma_f64 v[23:24], v[95:96], v[109:110], v[23:24]
	v_fma_f64 v[51:52], -v[101:102], v[109:110], v[51:52]
	v_fma_f64 v[53:54], v[99:100], v[109:110], v[53:54]
	v_fma_f64 v[33:34], -v[105:106], v[109:110], v[33:34]
	v_fma_f64 v[31:32], v[103:104], v[109:110], v[31:32]
	s_wait_loadcnt 0x0
	v_fma_f64 v[49:50], v[17:18], v[115:116], v[49:50]
	v_fma_f64 v[47:48], v[19:20], v[115:116], v[47:48]
	v_fma_f64 v[55:56], v[27:28], v[115:116], v[25:26]
	v_fma_f64 v[23:24], v[29:30], v[115:116], v[23:24]
	v_fma_f64 v[51:52], v[43:44], v[115:116], v[51:52]
	v_fma_f64 v[53:54], v[45:46], v[115:116], v[53:54]
	v_fma_f64 v[57:58], v[111:112], v[115:116], v[33:34]
	v_fma_f64 v[59:60], v[113:114], v[115:116], v[31:32]
	v_fma_f64 v[25:26], -v[19:20], v[117:118], v[49:50]
	v_fma_f64 v[17:18], v[17:18], v[117:118], v[47:48]
	v_fma_f64 v[33:34], -v[29:30], v[117:118], v[55:56]
	v_fma_f64 v[19:20], v[27:28], v[117:118], v[23:24]
	v_fma_f64 v[31:32], -v[45:46], v[117:118], v[51:52]
	v_fma_f64 v[29:30], v[43:44], v[117:118], v[53:54]
	v_fma_f64 v[23:24], -v[113:114], v[117:118], v[57:58]
	v_fma_f64 v[27:28], v[111:112], v[117:118], v[59:60]
	s_wait_alu 0xfffe
	s_and_not1_b32 exec_lo, exec_lo, s11
	s_cbranch_execnz .LBB56_21
; %bb.22:
	s_or_b32 exec_lo, exec_lo, s11
.LBB56_23:
	s_wait_alu 0xfffe
	s_or_b32 exec_lo, exec_lo, s10
.LBB56_24:
	s_wait_alu 0xfffe
	s_or_b32 exec_lo, exec_lo, s5
	s_cbranch_execz .LBB56_26
	s_branch .LBB56_37
.LBB56_25:
                                        ; implicit-def: $vgpr17_vgpr18
                                        ; implicit-def: $vgpr25_vgpr26
                                        ; implicit-def: $vgpr23_vgpr24
                                        ; implicit-def: $vgpr27_vgpr28
                                        ; implicit-def: $vgpr31_vgpr32
                                        ; implicit-def: $vgpr29_vgpr30
                                        ; implicit-def: $vgpr33_vgpr34
                                        ; implicit-def: $vgpr19_vgpr20
.LBB56_26:
	v_mov_b32_e32 v17, 0
	v_mov_b32_e32 v23, 0
	;; [unrolled: 1-line block ×3, first 2 shown]
	v_dual_mov_b32 v33, 0 :: v_dual_mov_b32 v18, 0
	v_dual_mov_b32 v25, 0 :: v_dual_mov_b32 v24, 0
	v_dual_mov_b32 v27, 0 :: v_dual_mov_b32 v32, 0
	v_dual_mov_b32 v29, 0 :: v_dual_mov_b32 v34, 0
	v_dual_mov_b32 v19, 0 :: v_dual_mov_b32 v26, 0
	v_mov_b32_e32 v28, 0
	v_mov_b32_e32 v30, 0
	;; [unrolled: 1-line block ×3, first 2 shown]
	s_and_saveexec_b32 s3, s2
	s_cbranch_execz .LBB56_36
; %bb.27:
	v_or_b32_e32 v17, 8, v0
	v_not_b32_e32 v19, v35
	v_sub_co_u32 v20, s2, v9, v0
	v_not_b32_e32 v23, v36
	s_delay_alu instid0(VALU_DEP_4)
	v_sub_co_u32 v17, vcc_lo, v17, v9
	s_wait_alu 0xfffd
	v_sub_co_ci_u32_e64 v18, null, 0, v10, vcc_lo
	s_wait_alu 0xf1ff
	v_subrev_co_ci_u32_e64 v24, null, 0, v10, s2
	v_add_co_u32 v17, vcc_lo, v17, v35
	s_wait_alu 0xfffd
	v_add_co_ci_u32_e64 v18, null, v18, v36, vcc_lo
	v_add_co_u32 v25, s2, v20, v19
	s_wait_alu 0xf1ff
	v_add_co_ci_u32_e64 v23, null, v24, v23, s2
	s_delay_alu instid0(VALU_DEP_3)
	v_cmp_gt_i64_e32 vcc_lo, v[17:18], v[13:14]
	v_dual_mov_b32 v38, 0 :: v_dual_mov_b32 v31, 0
	v_dual_mov_b32 v32, 0 :: v_dual_mov_b32 v27, 0
	s_wait_alu 0xfffd
	v_dual_mov_b32 v19, 0 :: v_dual_cndmask_b32 v18, v14, v18
	v_dual_cndmask_b32 v17, v13, v17 :: v_dual_mov_b32 v20, 0
	v_mov_b32_e32 v33, 0
	v_dual_mov_b32 v34, 0 :: v_dual_mov_b32 v29, 0
	s_delay_alu instid0(VALU_DEP_3)
	v_add_co_u32 v35, vcc_lo, v25, v17
	s_wait_alu 0xfffd
	v_add_co_ci_u32_e64 v36, null, v23, v18, vcc_lo
	v_mov_b32_e32 v23, 0
	v_dual_mov_b32 v24, 0 :: v_dual_mov_b32 v25, 0
	v_dual_mov_b32 v17, 0 :: v_dual_mov_b32 v30, 0
	v_dual_mov_b32 v28, 0 :: v_dual_and_b32 v37, 24, v35
	v_mov_b32_e32 v26, 0
	v_mov_b32_e32 v18, 0
	s_mov_b32 s4, exec_lo
	s_delay_alu instid0(VALU_DEP_3)
	v_cmpx_ne_u64_e32 24, v[37:38]
	s_cbranch_execz .LBB56_31
; %bb.28:
	v_lshrrev_b32_e32 v27, 3, v35
	v_mov_b32_e32 v23, 0
	v_mov_b32_e32 v24, 0
	v_lshlrev_b64_e32 v[19:20], 3, v[11:12]
	v_mov_b32_e32 v31, 0
	v_add_nc_u32_e32 v27, 1, v27
	v_mov_b32_e32 v17, 0
	v_dual_mov_b32 v18, 0 :: v_dual_mov_b32 v25, 0
	v_add_co_u32 v37, vcc_lo, s8, v19
	s_delay_alu instid0(VALU_DEP_4) | instskip(SKIP_3) | instid1(VALU_DEP_3)
	v_dual_mov_b32 v32, 0 :: v_dual_and_b32 v39, 3, v27
	s_wait_alu 0xfffd
	v_add_co_ci_u32_e64 v38, null, s9, v20, vcc_lo
	v_mov_b32_e32 v27, 0
	v_sub_co_u32 v39, s2, 0, v39
	v_mov_b32_e32 v29, 0
	v_mov_b32_e32 v33, 0
	v_dual_mov_b32 v19, 0 :: v_dual_mov_b32 v26, 0
	v_mov_b32_e32 v28, 0
	v_mov_b32_e32 v30, 0
	;; [unrolled: 1-line block ×4, first 2 shown]
	s_wait_alu 0xf1ff
	v_sub_co_ci_u32_e64 v40, null, 0, 0, s2
	s_mov_b32 s5, 0
.LBB56_29:                              ; =>This Inner Loop Header: Depth=1
	global_load_b64 v[57:58], v[37:38], off
	s_clause 0x3
	global_load_b128 v[41:44], v[15:16], off offset:48
	global_load_b128 v[45:48], v[15:16], off offset:32
	;; [unrolled: 1-line block ×3, first 2 shown]
	global_load_b128 v[53:56], v[15:16], off
	v_add_co_u32 v37, s2, v37, 64
	s_wait_alu 0xf1ff
	v_add_co_ci_u32_e64 v38, null, 0, v38, s2
	s_wait_loadcnt 0x4
	v_sub_co_u32 v57, vcc_lo, v57, v9
	s_wait_alu 0xfffd
	v_sub_co_ci_u32_e64 v58, null, v58, v10, vcc_lo
	s_delay_alu instid0(VALU_DEP_1) | instskip(SKIP_1) | instid1(VALU_DEP_1)
	v_lshlrev_b64_e32 v[57:58], 6, v[57:58]
	s_wait_kmcnt 0x0
	v_add_co_u32 v101, vcc_lo, s6, v57
	s_wait_alu 0xfffd
	s_delay_alu instid0(VALU_DEP_2)
	v_add_co_ci_u32_e64 v102, null, s7, v58, vcc_lo
	s_clause 0x1
	global_load_b128 v[57:60], v[101:102], off
	global_load_b128 v[61:64], v[101:102], off offset:16
	s_clause 0x7
	global_load_b128 v[65:68], v[15:16], off offset:64
	global_load_b128 v[69:72], v[15:16], off offset:80
	;; [unrolled: 1-line block ×8, first 2 shown]
	s_clause 0x1
	global_load_b128 v[97:100], v[101:102], off offset:32
	global_load_b128 v[101:104], v[101:102], off offset:48
	s_clause 0x3
	global_load_b128 v[105:108], v[15:16], off offset:192
	global_load_b128 v[109:112], v[15:16], off offset:208
	;; [unrolled: 1-line block ×4, first 2 shown]
	v_add_co_u32 v15, vcc_lo, 0x800, v15
	s_wait_alu 0xfffd
	v_add_co_ci_u32_e64 v16, null, 0, v16, vcc_lo
	v_add_co_u32 v39, vcc_lo, v39, 1
	s_wait_alu 0xfffd
	v_add_co_ci_u32_e64 v40, null, 0, v40, vcc_lo
	;; [unrolled: 3-line block ×3, first 2 shown]
	s_delay_alu instid0(VALU_DEP_3)
	v_cmp_eq_u64_e32 vcc_lo, 0, v[39:40]
	s_wait_alu 0xfffe
	s_or_b32 s5, vcc_lo, s5
	s_wait_loadcnt 0xf
	v_fma_f64 v[25:26], v[53:54], v[57:58], v[25:26]
	v_fma_f64 v[17:18], v[55:56], v[57:58], v[17:18]
	v_fma_f64 v[33:34], v[49:50], v[57:58], v[33:34]
	v_fma_f64 v[19:20], v[51:52], v[57:58], v[19:20]
	v_fma_f64 v[31:32], v[45:46], v[57:58], v[31:32]
	v_fma_f64 v[29:30], v[47:48], v[57:58], v[29:30]
	v_fma_f64 v[23:24], v[41:42], v[57:58], v[23:24]
	v_fma_f64 v[27:28], v[43:44], v[57:58], v[27:28]
	v_fma_f64 v[25:26], -v[55:56], v[59:60], v[25:26]
	v_fma_f64 v[17:18], v[53:54], v[59:60], v[17:18]
	v_fma_f64 v[33:34], -v[51:52], v[59:60], v[33:34]
	v_fma_f64 v[19:20], v[49:50], v[59:60], v[19:20]
	;; [unrolled: 2-line block ×4, first 2 shown]
	s_wait_loadcnt 0xd
	v_fma_f64 v[25:26], v[65:66], v[61:62], v[25:26]
	v_fma_f64 v[17:18], v[67:68], v[61:62], v[17:18]
	s_wait_loadcnt 0xc
	v_fma_f64 v[33:34], v[69:70], v[61:62], v[33:34]
	v_fma_f64 v[19:20], v[71:72], v[61:62], v[19:20]
	s_wait_loadcnt 0xb
	v_fma_f64 v[31:32], v[73:74], v[61:62], v[31:32]
	v_fma_f64 v[29:30], v[75:76], v[61:62], v[29:30]
	s_wait_loadcnt 0xa
	v_fma_f64 v[23:24], v[77:78], v[61:62], v[23:24]
	v_fma_f64 v[27:28], v[79:80], v[61:62], v[27:28]
	v_fma_f64 v[25:26], -v[67:68], v[63:64], v[25:26]
	v_fma_f64 v[17:18], v[65:66], v[63:64], v[17:18]
	v_fma_f64 v[33:34], -v[71:72], v[63:64], v[33:34]
	v_fma_f64 v[19:20], v[69:70], v[63:64], v[19:20]
	;; [unrolled: 2-line block ×4, first 2 shown]
	s_wait_loadcnt 0x5
	v_fma_f64 v[25:26], v[93:94], v[97:98], v[25:26]
	v_fma_f64 v[17:18], v[95:96], v[97:98], v[17:18]
	;; [unrolled: 1-line block ×8, first 2 shown]
	v_fma_f64 v[25:26], -v[95:96], v[99:100], v[25:26]
	v_fma_f64 v[17:18], v[93:94], v[99:100], v[17:18]
	v_fma_f64 v[33:34], -v[91:92], v[99:100], v[33:34]
	v_fma_f64 v[19:20], v[89:90], v[99:100], v[19:20]
	;; [unrolled: 2-line block ×4, first 2 shown]
	s_wait_loadcnt 0x3
	v_fma_f64 v[25:26], v[105:106], v[101:102], v[25:26]
	v_fma_f64 v[17:18], v[107:108], v[101:102], v[17:18]
	s_wait_loadcnt 0x2
	v_fma_f64 v[33:34], v[109:110], v[101:102], v[33:34]
	v_fma_f64 v[19:20], v[111:112], v[101:102], v[19:20]
	;; [unrolled: 3-line block ×4, first 2 shown]
	v_fma_f64 v[25:26], -v[107:108], v[103:104], v[25:26]
	v_fma_f64 v[17:18], v[105:106], v[103:104], v[17:18]
	v_fma_f64 v[33:34], -v[111:112], v[103:104], v[33:34]
	v_fma_f64 v[19:20], v[109:110], v[103:104], v[19:20]
	;; [unrolled: 2-line block ×4, first 2 shown]
	s_wait_alu 0xfffe
	s_and_not1_b32 exec_lo, exec_lo, s5
	s_cbranch_execnz .LBB56_29
; %bb.30:
	s_or_b32 exec_lo, exec_lo, s5
.LBB56_31:
	s_wait_alu 0xfffe
	s_or_b32 exec_lo, exec_lo, s4
	s_delay_alu instid0(SALU_CYCLE_1)
	s_mov_b32 s4, exec_lo
	v_cmpx_lt_u64_e32 23, v[35:36]
	s_cbranch_execz .LBB56_35
; %bb.32:
	v_lshlrev_b64_e32 v[35:36], 3, v[11:12]
	s_mov_b32 s5, 0
	s_delay_alu instid0(VALU_DEP_1) | instskip(SKIP_1) | instid1(VALU_DEP_2)
	v_add_co_u32 v35, vcc_lo, s8, v35
	s_wait_alu 0xfffd
	v_add_co_ci_u32_e64 v36, null, s9, v36, vcc_lo
	s_delay_alu instid0(VALU_DEP_2) | instskip(SKIP_1) | instid1(VALU_DEP_2)
	v_add_co_u32 v35, vcc_lo, 0x80, v35
	s_wait_alu 0xfffd
	v_add_co_ci_u32_e64 v36, null, 0, v36, vcc_lo
.LBB56_33:                              ; =>This Inner Loop Header: Depth=1
	s_clause 0x1
	global_load_b64 v[37:38], v[35:36], off offset:-128
	global_load_b64 v[135:136], v[35:36], off offset:-64
	s_clause 0x3
	global_load_b128 v[39:42], v[15:16], off offset:48
	global_load_b128 v[43:46], v[15:16], off offset:32
	;; [unrolled: 1-line block ×3, first 2 shown]
	global_load_b128 v[51:54], v[15:16], off
	s_clause 0x1
	global_load_b64 v[139:140], v[35:36], off
	global_load_b64 v[141:142], v[35:36], off offset:64
	v_add_co_u32 v35, s2, 0x100, v35
	s_wait_alu 0xf1ff
	v_add_co_ci_u32_e64 v36, null, 0, v36, s2
	s_wait_loadcnt 0x7
	v_sub_co_u32 v37, vcc_lo, v37, v9
	s_wait_alu 0xfffd
	v_sub_co_ci_u32_e64 v38, null, v38, v10, vcc_lo
	s_delay_alu instid0(VALU_DEP_1) | instskip(SKIP_1) | instid1(VALU_DEP_1)
	v_lshlrev_b64_e32 v[37:38], 6, v[37:38]
	s_wait_kmcnt 0x0
	v_add_co_u32 v37, vcc_lo, s6, v37
	s_wait_alu 0xfffd
	s_delay_alu instid0(VALU_DEP_2)
	v_add_co_ci_u32_e64 v38, null, s7, v38, vcc_lo
	global_load_b128 v[55:58], v[37:38], off
	s_clause 0x3
	global_load_b128 v[59:62], v[15:16], off offset:64
	global_load_b128 v[63:66], v[15:16], off offset:80
	global_load_b128 v[67:70], v[15:16], off offset:96
	global_load_b128 v[71:74], v[15:16], off offset:112
	global_load_b128 v[75:78], v[37:38], off offset:16
	s_clause 0x3
	global_load_b128 v[79:82], v[15:16], off offset:176
	global_load_b128 v[83:86], v[15:16], off offset:160
	global_load_b128 v[87:90], v[15:16], off offset:144
	global_load_b128 v[91:94], v[15:16], off offset:128
	global_load_b128 v[95:98], v[37:38], off offset:32
	;; [unrolled: 6-line block ×3, first 2 shown]
	s_clause 0x3
	global_load_b128 v[119:122], v[15:16], off offset:2096
	global_load_b128 v[123:126], v[15:16], off offset:2080
	;; [unrolled: 1-line block ×4, first 2 shown]
	s_wait_loadcnt 0x1a
	v_sub_co_u32 v37, vcc_lo, v135, v9
	s_wait_alu 0xfffd
	v_sub_co_ci_u32_e64 v38, null, v136, v10, vcc_lo
	s_delay_alu instid0(VALU_DEP_1) | instskip(NEXT) | instid1(VALU_DEP_1)
	v_lshlrev_b64_e32 v[37:38], 6, v[37:38]
	v_add_co_u32 v143, vcc_lo, s6, v37
	s_wait_alu 0xfffd
	s_delay_alu instid0(VALU_DEP_2)
	v_add_co_ci_u32_e64 v144, null, s7, v38, vcc_lo
	s_wait_loadcnt 0x15
	v_sub_co_u32 v139, vcc_lo, v139, v9
	s_wait_alu 0xfffd
	v_sub_co_ci_u32_e64 v140, null, v140, v10, vcc_lo
	global_load_b128 v[135:138], v[143:144], off
	s_wait_loadcnt 0x14
	v_fma_f64 v[25:26], v[51:52], v[55:56], v[25:26]
	v_fma_f64 v[17:18], v[53:54], v[55:56], v[17:18]
	v_fma_f64 v[33:34], v[47:48], v[55:56], v[33:34]
	v_fma_f64 v[19:20], v[49:50], v[55:56], v[19:20]
	v_fma_f64 v[31:32], v[43:44], v[55:56], v[31:32]
	v_fma_f64 v[29:30], v[45:46], v[55:56], v[29:30]
	v_fma_f64 v[23:24], v[39:40], v[55:56], v[23:24]
	v_fma_f64 v[27:28], v[41:42], v[55:56], v[27:28]
	v_fma_f64 v[53:54], -v[53:54], v[57:58], v[25:26]
	v_fma_f64 v[51:52], v[51:52], v[57:58], v[17:18]
	v_fma_f64 v[49:50], -v[49:50], v[57:58], v[33:34]
	v_fma_f64 v[47:48], v[47:48], v[57:58], v[19:20]
	v_fma_f64 v[45:46], -v[45:46], v[57:58], v[31:32]
	v_fma_f64 v[43:44], v[43:44], v[57:58], v[29:30]
	v_fma_f64 v[41:42], -v[41:42], v[57:58], v[23:24]
	v_fma_f64 v[55:56], v[39:40], v[57:58], v[27:28]
	s_clause 0x3
	global_load_b128 v[17:20], v[15:16], off offset:2112
	global_load_b128 v[23:26], v[15:16], off offset:2128
	global_load_b128 v[27:30], v[15:16], off offset:2144
	global_load_b128 v[31:34], v[15:16], off offset:2160
	global_load_b128 v[37:40], v[143:144], off offset:16
	s_wait_loadcnt 0x14
	v_fma_f64 v[53:54], v[59:60], v[75:76], v[53:54]
	v_fma_f64 v[51:52], v[61:62], v[75:76], v[51:52]
	v_fma_f64 v[49:50], v[63:64], v[75:76], v[49:50]
	v_fma_f64 v[47:48], v[65:66], v[75:76], v[47:48]
	v_fma_f64 v[45:46], v[67:68], v[75:76], v[45:46]
	v_fma_f64 v[43:44], v[69:70], v[75:76], v[43:44]
	v_fma_f64 v[41:42], v[71:72], v[75:76], v[41:42]
	v_fma_f64 v[55:56], v[73:74], v[75:76], v[55:56]
	v_fma_f64 v[61:62], -v[61:62], v[77:78], v[53:54]
	v_fma_f64 v[75:76], v[59:60], v[77:78], v[51:52]
	v_fma_f64 v[65:66], -v[65:66], v[77:78], v[49:50]
	v_fma_f64 v[63:64], v[63:64], v[77:78], v[47:48]
	v_fma_f64 v[69:70], -v[69:70], v[77:78], v[45:46]
	v_fma_f64 v[67:68], v[67:68], v[77:78], v[43:44]
	v_fma_f64 v[73:74], -v[73:74], v[77:78], v[41:42]
	v_fma_f64 v[71:72], v[71:72], v[77:78], v[55:56]
	s_clause 0x3
	global_load_b128 v[41:44], v[15:16], off offset:2224
	global_load_b128 v[45:48], v[15:16], off offset:2208
	global_load_b128 v[49:52], v[15:16], off offset:2192
	global_load_b128 v[53:56], v[15:16], off offset:2176
	global_load_b128 v[57:60], v[143:144], off offset:32
	;; [unrolled: 23-line block ×3, first 2 shown]
	s_wait_loadcnt 0x14
	v_fma_f64 v[97:98], v[99:100], v[115:116], v[93:94]
	v_fma_f64 v[143:144], v[101:102], v[115:116], v[91:92]
	;; [unrolled: 1-line block ×8, first 2 shown]
	s_clause 0x3
	global_load_b128 v[81:84], v[15:16], off offset:4144
	global_load_b128 v[85:88], v[15:16], off offset:4128
	;; [unrolled: 1-line block ×4, first 2 shown]
	v_fma_f64 v[101:102], -v[101:102], v[117:118], v[97:98]
	v_fma_f64 v[143:144], v[99:100], v[117:118], v[143:144]
	v_fma_f64 v[105:106], -v[105:106], v[117:118], v[145:146]
	v_fma_f64 v[103:104], v[103:104], v[117:118], v[147:148]
	v_fma_f64 v[109:110], -v[109:110], v[117:118], v[149:150]
	v_fma_f64 v[107:108], v[107:108], v[117:118], v[151:152]
	v_fma_f64 v[113:114], -v[113:114], v[117:118], v[153:154]
	v_fma_f64 v[111:112], v[111:112], v[117:118], v[115:116]
	v_lshlrev_b64_e32 v[97:98], 6, v[139:140]
	s_delay_alu instid0(VALU_DEP_1) | instskip(SKIP_1) | instid1(VALU_DEP_2)
	v_add_co_u32 v139, vcc_lo, s6, v97
	s_wait_alu 0xfffd
	v_add_co_ci_u32_e64 v140, null, s7, v98, vcc_lo
	v_sub_co_u32 v141, vcc_lo, v141, v9
	s_wait_alu 0xfffd
	v_sub_co_ci_u32_e64 v142, null, v142, v10, vcc_lo
	global_load_b128 v[97:100], v[139:140], off
	s_wait_loadcnt 0x14
	v_fma_f64 v[101:102], v[131:132], v[135:136], v[101:102]
	v_fma_f64 v[115:116], v[133:134], v[135:136], v[143:144]
	v_fma_f64 v[105:106], v[127:128], v[135:136], v[105:106]
	v_fma_f64 v[103:104], v[129:130], v[135:136], v[103:104]
	v_fma_f64 v[109:110], v[123:124], v[135:136], v[109:110]
	v_fma_f64 v[107:108], v[125:126], v[135:136], v[107:108]
	v_fma_f64 v[113:114], v[119:120], v[135:136], v[113:114]
	v_fma_f64 v[111:112], v[121:122], v[135:136], v[111:112]
	v_fma_f64 v[133:134], -v[133:134], v[137:138], v[101:102]
	v_fma_f64 v[131:132], v[131:132], v[137:138], v[115:116]
	v_fma_f64 v[129:130], -v[129:130], v[137:138], v[105:106]
	v_fma_f64 v[127:128], v[127:128], v[137:138], v[103:104]
	v_fma_f64 v[125:126], -v[125:126], v[137:138], v[109:110]
	v_fma_f64 v[123:124], v[123:124], v[137:138], v[107:108]
	v_fma_f64 v[121:122], -v[121:122], v[137:138], v[113:114]
	v_fma_f64 v[135:136], v[119:120], v[137:138], v[111:112]
	s_clause 0x3
	global_load_b128 v[101:104], v[15:16], off offset:4160
	global_load_b128 v[105:108], v[15:16], off offset:4176
	global_load_b128 v[109:112], v[15:16], off offset:4192
	global_load_b128 v[113:116], v[15:16], off offset:4208
	global_load_b128 v[117:120], v[139:140], off offset:16
	s_wait_loadcnt 0x14
	v_fma_f64 v[133:134], v[17:18], v[37:38], v[133:134]
	v_fma_f64 v[131:132], v[19:20], v[37:38], v[131:132]
	v_fma_f64 v[129:130], v[23:24], v[37:38], v[129:130]
	v_fma_f64 v[127:128], v[25:26], v[37:38], v[127:128]
	v_fma_f64 v[125:126], v[27:28], v[37:38], v[125:126]
	v_fma_f64 v[123:124], v[29:30], v[37:38], v[123:124]
	v_fma_f64 v[121:122], v[31:32], v[37:38], v[121:122]
	v_fma_f64 v[37:38], v[33:34], v[37:38], v[135:136]
	v_fma_f64 v[133:134], -v[19:20], v[39:40], v[133:134]
	v_fma_f64 v[131:132], v[17:18], v[39:40], v[131:132]
	v_fma_f64 v[129:130], -v[25:26], v[39:40], v[129:130]
	v_fma_f64 v[127:128], v[23:24], v[39:40], v[127:128]
	v_fma_f64 v[125:126], -v[29:30], v[39:40], v[125:126]
	v_fma_f64 v[123:124], v[27:28], v[39:40], v[123:124]
	v_fma_f64 v[121:122], -v[33:34], v[39:40], v[121:122]
	v_fma_f64 v[135:136], v[31:32], v[39:40], v[37:38]
	s_clause 0x3
	global_load_b128 v[17:20], v[15:16], off offset:4272
	global_load_b128 v[23:26], v[15:16], off offset:4256
	global_load_b128 v[27:30], v[15:16], off offset:4240
	global_load_b128 v[31:34], v[15:16], off offset:4224
	global_load_b128 v[37:40], v[139:140], off offset:32
	;; [unrolled: 23-line block ×3, first 2 shown]
	s_wait_loadcnt 0x14
	v_fma_f64 v[137:138], v[61:62], v[77:78], v[133:134]
	v_fma_f64 v[139:140], v[63:64], v[77:78], v[131:132]
	v_fma_f64 v[143:144], v[65:66], v[77:78], v[129:130]
	v_fma_f64 v[145:146], v[67:68], v[77:78], v[127:128]
	v_fma_f64 v[147:148], v[69:70], v[77:78], v[125:126]
	v_fma_f64 v[149:150], v[71:72], v[77:78], v[123:124]
	v_fma_f64 v[151:152], v[73:74], v[77:78], v[121:122]
	v_fma_f64 v[77:78], v[75:76], v[77:78], v[135:136]
	s_clause 0x3
	global_load_b128 v[121:124], v[15:16], off offset:6192
	global_load_b128 v[125:128], v[15:16], off offset:6176
	global_load_b128 v[129:132], v[15:16], off offset:6160
	global_load_b128 v[133:136], v[15:16], off offset:6144
	v_fma_f64 v[137:138], -v[63:64], v[79:80], v[137:138]
	v_fma_f64 v[139:140], v[61:62], v[79:80], v[139:140]
	v_fma_f64 v[67:68], -v[67:68], v[79:80], v[143:144]
	v_fma_f64 v[65:66], v[65:66], v[79:80], v[145:146]
	;; [unrolled: 2-line block ×4, first 2 shown]
	v_lshlrev_b64_e32 v[61:62], 6, v[141:142]
	s_delay_alu instid0(VALU_DEP_1) | instskip(SKIP_1) | instid1(VALU_DEP_2)
	v_add_co_u32 v141, vcc_lo, s6, v61
	s_wait_alu 0xfffd
	v_add_co_ci_u32_e64 v142, null, s7, v62, vcc_lo
	v_add_co_u32 v11, vcc_lo, v11, 32
	s_wait_alu 0xfffd
	v_add_co_ci_u32_e64 v12, null, 0, v12, vcc_lo
	global_load_b128 v[61:64], v[141:142], off
	s_wait_loadcnt 0x14
	v_fma_f64 v[77:78], v[93:94], v[97:98], v[137:138]
	v_fma_f64 v[79:80], v[95:96], v[97:98], v[139:140]
	v_fma_f64 v[67:68], v[89:90], v[97:98], v[67:68]
	v_fma_f64 v[65:66], v[91:92], v[97:98], v[65:66]
	v_fma_f64 v[71:72], v[85:86], v[97:98], v[71:72]
	v_fma_f64 v[69:70], v[87:88], v[97:98], v[69:70]
	v_fma_f64 v[75:76], v[81:82], v[97:98], v[75:76]
	v_fma_f64 v[73:74], v[83:84], v[97:98], v[73:74]
	v_fma_f64 v[95:96], -v[95:96], v[99:100], v[77:78]
	v_fma_f64 v[93:94], v[93:94], v[99:100], v[79:80]
	v_fma_f64 v[91:92], -v[91:92], v[99:100], v[67:68]
	v_fma_f64 v[89:90], v[89:90], v[99:100], v[65:66]
	v_fma_f64 v[87:88], -v[87:88], v[99:100], v[71:72]
	v_fma_f64 v[85:86], v[85:86], v[99:100], v[69:70]
	v_fma_f64 v[97:98], -v[83:84], v[99:100], v[75:76]
	v_fma_f64 v[99:100], v[81:82], v[99:100], v[73:74]
	s_clause 0x3
	global_load_b128 v[65:68], v[15:16], off offset:6208
	global_load_b128 v[69:72], v[15:16], off offset:6224
	global_load_b128 v[73:76], v[15:16], off offset:6240
	global_load_b128 v[77:80], v[15:16], off offset:6256
	global_load_b128 v[81:84], v[141:142], off offset:16
	s_wait_loadcnt 0x14
	v_fma_f64 v[95:96], v[101:102], v[117:118], v[95:96]
	v_fma_f64 v[93:94], v[103:104], v[117:118], v[93:94]
	v_fma_f64 v[91:92], v[105:106], v[117:118], v[91:92]
	v_fma_f64 v[89:90], v[107:108], v[117:118], v[89:90]
	v_fma_f64 v[87:88], v[109:110], v[117:118], v[87:88]
	v_fma_f64 v[85:86], v[111:112], v[117:118], v[85:86]
	v_fma_f64 v[97:98], v[113:114], v[117:118], v[97:98]
	v_fma_f64 v[99:100], v[115:116], v[117:118], v[99:100]
	v_fma_f64 v[117:118], -v[103:104], v[119:120], v[95:96]
	v_fma_f64 v[137:138], v[101:102], v[119:120], v[93:94]
	v_fma_f64 v[107:108], -v[107:108], v[119:120], v[91:92]
	v_fma_f64 v[105:106], v[105:106], v[119:120], v[89:90]
	v_fma_f64 v[111:112], -v[111:112], v[119:120], v[87:88]
	v_fma_f64 v[109:110], v[109:110], v[119:120], v[85:86]
	v_fma_f64 v[115:116], -v[115:116], v[119:120], v[97:98]
	v_fma_f64 v[113:114], v[113:114], v[119:120], v[99:100]
	s_clause 0x3
	global_load_b128 v[85:88], v[15:16], off offset:6320
	global_load_b128 v[89:92], v[15:16], off offset:6304
	global_load_b128 v[93:96], v[15:16], off offset:6288
	global_load_b128 v[97:100], v[15:16], off offset:6272
	global_load_b128 v[101:104], v[141:142], off offset:32
	;; [unrolled: 23-line block ×3, first 2 shown]
	v_add_co_u32 v15, vcc_lo, 0x2000, v15
	s_wait_alu 0xfffd
	v_add_co_ci_u32_e64 v16, null, 0, v16, vcc_lo
	v_cmp_ge_i64_e32 vcc_lo, v[11:12], v[13:14]
	s_wait_alu 0xfffe
	s_or_b32 s5, vcc_lo, s5
	s_wait_loadcnt 0x14
	v_fma_f64 v[33:34], v[41:42], v[57:58], v[33:34]
	v_fma_f64 v[31:32], v[43:44], v[57:58], v[31:32]
	v_fma_f64 v[113:114], v[45:46], v[57:58], v[113:114]
	v_fma_f64 v[117:118], v[47:48], v[57:58], v[117:118]
	v_fma_f64 v[25:26], v[49:50], v[57:58], v[25:26]
	v_fma_f64 v[23:24], v[51:52], v[57:58], v[23:24]
	v_fma_f64 v[115:116], v[53:54], v[57:58], v[115:116]
	v_fma_f64 v[57:58], v[55:56], v[57:58], v[119:120]
	v_fma_f64 v[33:34], -v[43:44], v[59:60], v[33:34]
	v_fma_f64 v[31:32], v[41:42], v[59:60], v[31:32]
	v_fma_f64 v[41:42], -v[47:48], v[59:60], v[113:114]
	v_fma_f64 v[43:44], v[45:46], v[59:60], v[117:118]
	v_fma_f64 v[25:26], -v[51:52], v[59:60], v[25:26]
	v_fma_f64 v[23:24], v[49:50], v[59:60], v[23:24]
	v_fma_f64 v[45:46], -v[55:56], v[59:60], v[115:116]
	v_fma_f64 v[47:48], v[53:54], v[59:60], v[57:58]
	s_wait_loadcnt 0xf
	v_fma_f64 v[33:34], v[133:134], v[61:62], v[33:34]
	v_fma_f64 v[31:32], v[135:136], v[61:62], v[31:32]
	v_fma_f64 v[41:42], v[129:130], v[61:62], v[41:42]
	v_fma_f64 v[43:44], v[131:132], v[61:62], v[43:44]
	v_fma_f64 v[25:26], v[125:126], v[61:62], v[25:26]
	v_fma_f64 v[23:24], v[127:128], v[61:62], v[23:24]
	v_fma_f64 v[45:46], v[121:122], v[61:62], v[45:46]
	v_fma_f64 v[47:48], v[123:124], v[61:62], v[47:48]
	v_fma_f64 v[33:34], -v[135:136], v[63:64], v[33:34]
	v_fma_f64 v[31:32], v[133:134], v[63:64], v[31:32]
	v_fma_f64 v[41:42], -v[131:132], v[63:64], v[41:42]
	v_fma_f64 v[43:44], v[129:130], v[63:64], v[43:44]
	v_fma_f64 v[25:26], -v[127:128], v[63:64], v[25:26]
	v_fma_f64 v[23:24], v[125:126], v[63:64], v[23:24]
	v_fma_f64 v[45:46], -v[123:124], v[63:64], v[45:46]
	v_fma_f64 v[47:48], v[121:122], v[63:64], v[47:48]
	;; [unrolled: 17-line block ×5, first 2 shown]
	s_wait_alu 0xfffe
	s_and_not1_b32 exec_lo, exec_lo, s5
	s_cbranch_execnz .LBB56_33
; %bb.34:
	s_or_b32 exec_lo, exec_lo, s5
.LBB56_35:
	s_wait_alu 0xfffe
	s_or_b32 exec_lo, exec_lo, s4
.LBB56_36:
	s_wait_alu 0xfffe
	s_or_b32 exec_lo, exec_lo, s3
.LBB56_37:
	v_mbcnt_lo_u32_b32 v43, -1, 0
	s_delay_alu instid0(VALU_DEP_1) | instskip(NEXT) | instid1(VALU_DEP_1)
	v_xor_b32_e32 v9, 4, v43
	v_cmp_gt_i32_e32 vcc_lo, 32, v9
	s_wait_alu 0xfffd
	v_cndmask_b32_e32 v9, v43, v9, vcc_lo
	s_delay_alu instid0(VALU_DEP_1)
	v_lshlrev_b32_e32 v42, 2, v9
	ds_bpermute_b32 v9, v42, v25
	ds_bpermute_b32 v10, v42, v26
	;; [unrolled: 1-line block ×16, first 2 shown]
	s_wait_dscnt 0xe
	v_add_f64_e32 v[9:10], v[25:26], v[9:10]
	v_xor_b32_e32 v25, 2, v43
	s_wait_dscnt 0xc
	v_add_f64_e32 v[11:12], v[17:18], v[11:12]
	s_wait_dscnt 0xa
	v_add_f64_e32 v[13:14], v[33:34], v[13:14]
	;; [unrolled: 2-line block ×3, first 2 shown]
	v_cmp_gt_i32_e32 vcc_lo, 32, v25
	s_wait_dscnt 0x6
	v_add_f64_e32 v[17:18], v[31:32], v[35:36]
	s_wait_dscnt 0x4
	v_add_f64_e32 v[19:20], v[29:30], v[37:38]
	;; [unrolled: 2-line block ×3, first 2 shown]
	s_wait_alu 0xfffd
	v_cndmask_b32_e32 v25, v43, v25, vcc_lo
	s_wait_dscnt 0x0
	v_add_f64_e32 v[27:28], v[27:28], v[41:42]
	s_delay_alu instid0(VALU_DEP_2)
	v_lshlrev_b32_e32 v42, 2, v25
	ds_bpermute_b32 v25, v42, v9
	ds_bpermute_b32 v26, v42, v10
	ds_bpermute_b32 v29, v42, v11
	ds_bpermute_b32 v30, v42, v12
	ds_bpermute_b32 v31, v42, v13
	ds_bpermute_b32 v32, v42, v14
	ds_bpermute_b32 v33, v42, v15
	ds_bpermute_b32 v34, v42, v16
	ds_bpermute_b32 v35, v42, v17
	ds_bpermute_b32 v36, v42, v18
	ds_bpermute_b32 v37, v42, v19
	ds_bpermute_b32 v38, v42, v20
	ds_bpermute_b32 v39, v42, v23
	ds_bpermute_b32 v40, v42, v24
	ds_bpermute_b32 v41, v42, v27
	ds_bpermute_b32 v42, v42, v28
	s_wait_dscnt 0xe
	v_add_f64_e32 v[9:10], v[9:10], v[25:26]
	s_wait_dscnt 0xc
	v_add_f64_e32 v[29:30], v[11:12], v[29:30]
	;; [unrolled: 2-line block ×7, first 2 shown]
	v_xor_b32_e32 v23, 1, v43
	s_wait_dscnt 0x0
	v_add_f64_e32 v[17:18], v[27:28], v[41:42]
	s_delay_alu instid0(VALU_DEP_2) | instskip(SKIP_3) | instid1(VALU_DEP_2)
	v_cmp_gt_i32_e32 vcc_lo, 32, v23
	s_wait_alu 0xfffd
	v_cndmask_b32_e32 v23, v43, v23, vcc_lo
	v_cmp_eq_u32_e32 vcc_lo, 7, v0
	v_lshlrev_b32_e32 v36, 2, v23
	ds_bpermute_b32 v23, v36, v9
	ds_bpermute_b32 v24, v36, v10
	;; [unrolled: 1-line block ×16, first 2 shown]
	s_and_b32 exec_lo, exec_lo, vcc_lo
	s_cbranch_execz .LBB56_8
; %bb.38:
	s_wait_dscnt 0xc
	v_add_f64_e32 v[29:30], v[29:30], v[41:42]
	s_wait_dscnt 0x8
	v_add_f64_e32 v[25:26], v[25:26], v[39:40]
	;; [unrolled: 2-line block ×4, first 2 shown]
	v_add_f64_e32 v[9:10], v[9:10], v[23:24]
	v_add_f64_e32 v[11:12], v[11:12], v[27:28]
	;; [unrolled: 1-line block ×4, first 2 shown]
	v_cmp_eq_f64_e32 vcc_lo, 0, v[1:2]
	v_cmp_eq_f64_e64 s2, 0, v[3:4]
	s_load_b64 s[0:1], s[0:1], 0x68
	v_lshlrev_b64_e32 v[21:22], 6, v[21:22]
	v_mul_f64_e64 v[13:14], v[29:30], -v[7:8]
	v_mul_f64_e32 v[15:16], v[5:6], v[29:30]
	v_mul_f64_e64 v[29:30], v[25:26], -v[7:8]
	v_mul_f64_e32 v[25:26], v[5:6], v[25:26]
	v_mul_f64_e64 v[31:32], v[19:20], -v[7:8]
	v_mul_f64_e32 v[33:34], v[5:6], v[19:20]
	v_mul_f64_e64 v[35:36], v[17:18], -v[7:8]
	v_mul_f64_e32 v[37:38], v[5:6], v[17:18]
	s_and_b32 s2, vcc_lo, s2
	v_fma_f64 v[17:18], v[5:6], v[9:10], v[13:14]
	v_fma_f64 v[19:20], v[7:8], v[9:10], v[15:16]
	;; [unrolled: 1-line block ×8, first 2 shown]
	s_wait_alu 0xfffe
	s_and_saveexec_b32 s3, s2
	s_wait_alu 0xfffe
	s_xor_b32 s2, exec_lo, s3
	s_cbranch_execz .LBB56_40
; %bb.39:
	s_wait_kmcnt 0x0
	v_add_co_u32 v0, vcc_lo, s0, v21
	s_wait_alu 0xfffd
	v_add_co_ci_u32_e64 v1, null, s1, v22, vcc_lo
                                        ; implicit-def: $vgpr21_vgpr22
	s_clause 0x3
	global_store_b128 v[0:1], v[17:20], off
	global_store_b128 v[0:1], v[13:16], off offset:16
	global_store_b128 v[0:1], v[9:12], off offset:32
	;; [unrolled: 1-line block ×3, first 2 shown]
                                        ; implicit-def: $vgpr3_vgpr4
                                        ; implicit-def: $vgpr17_vgpr18
                                        ; implicit-def: $vgpr13_vgpr14
                                        ; implicit-def: $vgpr9_vgpr10
                                        ; implicit-def: $vgpr5_vgpr6
.LBB56_40:
	s_wait_alu 0xfffe
	s_and_not1_saveexec_b32 s2, s2
	s_cbranch_execz .LBB56_8
; %bb.41:
	s_wait_kmcnt 0x0
	v_add_co_u32 v37, vcc_lo, s0, v21
	s_wait_alu 0xfffd
	v_add_co_ci_u32_e64 v38, null, s1, v22, vcc_lo
	s_clause 0x3
	global_load_b128 v[21:24], v[37:38], off
	global_load_b128 v[25:28], v[37:38], off offset:16
	global_load_b128 v[29:32], v[37:38], off offset:32
	;; [unrolled: 1-line block ×3, first 2 shown]
	s_wait_loadcnt 0x3
	v_fma_f64 v[17:18], v[1:2], v[21:22], v[17:18]
	v_fma_f64 v[19:20], v[3:4], v[21:22], v[19:20]
	s_wait_loadcnt 0x2
	v_fma_f64 v[13:14], v[1:2], v[25:26], v[13:14]
	v_fma_f64 v[15:16], v[3:4], v[25:26], v[15:16]
	;; [unrolled: 3-line block ×4, first 2 shown]
	v_fma_f64 v[5:6], -v[3:4], v[23:24], v[17:18]
	v_fma_f64 v[7:8], v[1:2], v[23:24], v[19:20]
	v_fma_f64 v[9:10], -v[3:4], v[27:28], v[13:14]
	v_fma_f64 v[11:12], v[1:2], v[27:28], v[15:16]
	;; [unrolled: 2-line block ×4, first 2 shown]
	s_clause 0x3
	global_store_b128 v[37:38], v[5:8], off
	global_store_b128 v[37:38], v[9:12], off offset:16
	global_store_b128 v[37:38], v[13:16], off offset:32
	;; [unrolled: 1-line block ×3, first 2 shown]
	s_nop 0
	s_sendmsg sendmsg(MSG_DEALLOC_VGPRS)
	s_endpgm
	.section	.rodata,"a",@progbits
	.p2align	6, 0x0
	.amdhsa_kernel _ZN9rocsparseL18bsrxmvn_4x4_kernelILj128ELj8E21rocsparse_complex_numIdEllS2_S2_S2_EEvT3_20rocsparse_direction_NS_24const_host_device_scalarIT1_EES3_PKS3_PKT2_SC_S9_PKT4_PKT5_S7_PT6_21rocsparse_index_base_b
		.amdhsa_group_segment_fixed_size 0
		.amdhsa_private_segment_fixed_size 0
		.amdhsa_kernarg_size 120
		.amdhsa_user_sgpr_count 2
		.amdhsa_user_sgpr_dispatch_ptr 0
		.amdhsa_user_sgpr_queue_ptr 0
		.amdhsa_user_sgpr_kernarg_segment_ptr 1
		.amdhsa_user_sgpr_dispatch_id 0
		.amdhsa_user_sgpr_private_segment_size 0
		.amdhsa_wavefront_size32 1
		.amdhsa_uses_dynamic_stack 0
		.amdhsa_enable_private_segment 0
		.amdhsa_system_sgpr_workgroup_id_x 1
		.amdhsa_system_sgpr_workgroup_id_y 0
		.amdhsa_system_sgpr_workgroup_id_z 0
		.amdhsa_system_sgpr_workgroup_info 0
		.amdhsa_system_vgpr_workitem_id 0
		.amdhsa_next_free_vgpr 161
		.amdhsa_next_free_sgpr 12
		.amdhsa_reserve_vcc 1
		.amdhsa_float_round_mode_32 0
		.amdhsa_float_round_mode_16_64 0
		.amdhsa_float_denorm_mode_32 3
		.amdhsa_float_denorm_mode_16_64 3
		.amdhsa_fp16_overflow 0
		.amdhsa_workgroup_processor_mode 1
		.amdhsa_memory_ordered 1
		.amdhsa_forward_progress 1
		.amdhsa_inst_pref_size 94
		.amdhsa_round_robin_scheduling 0
		.amdhsa_exception_fp_ieee_invalid_op 0
		.amdhsa_exception_fp_denorm_src 0
		.amdhsa_exception_fp_ieee_div_zero 0
		.amdhsa_exception_fp_ieee_overflow 0
		.amdhsa_exception_fp_ieee_underflow 0
		.amdhsa_exception_fp_ieee_inexact 0
		.amdhsa_exception_int_div_zero 0
	.end_amdhsa_kernel
	.section	.text._ZN9rocsparseL18bsrxmvn_4x4_kernelILj128ELj8E21rocsparse_complex_numIdEllS2_S2_S2_EEvT3_20rocsparse_direction_NS_24const_host_device_scalarIT1_EES3_PKS3_PKT2_SC_S9_PKT4_PKT5_S7_PT6_21rocsparse_index_base_b,"axG",@progbits,_ZN9rocsparseL18bsrxmvn_4x4_kernelILj128ELj8E21rocsparse_complex_numIdEllS2_S2_S2_EEvT3_20rocsparse_direction_NS_24const_host_device_scalarIT1_EES3_PKS3_PKT2_SC_S9_PKT4_PKT5_S7_PT6_21rocsparse_index_base_b,comdat
.Lfunc_end56:
	.size	_ZN9rocsparseL18bsrxmvn_4x4_kernelILj128ELj8E21rocsparse_complex_numIdEllS2_S2_S2_EEvT3_20rocsparse_direction_NS_24const_host_device_scalarIT1_EES3_PKS3_PKT2_SC_S9_PKT4_PKT5_S7_PT6_21rocsparse_index_base_b, .Lfunc_end56-_ZN9rocsparseL18bsrxmvn_4x4_kernelILj128ELj8E21rocsparse_complex_numIdEllS2_S2_S2_EEvT3_20rocsparse_direction_NS_24const_host_device_scalarIT1_EES3_PKS3_PKT2_SC_S9_PKT4_PKT5_S7_PT6_21rocsparse_index_base_b
                                        ; -- End function
	.set _ZN9rocsparseL18bsrxmvn_4x4_kernelILj128ELj8E21rocsparse_complex_numIdEllS2_S2_S2_EEvT3_20rocsparse_direction_NS_24const_host_device_scalarIT1_EES3_PKS3_PKT2_SC_S9_PKT4_PKT5_S7_PT6_21rocsparse_index_base_b.num_vgpr, 161
	.set _ZN9rocsparseL18bsrxmvn_4x4_kernelILj128ELj8E21rocsparse_complex_numIdEllS2_S2_S2_EEvT3_20rocsparse_direction_NS_24const_host_device_scalarIT1_EES3_PKS3_PKT2_SC_S9_PKT4_PKT5_S7_PT6_21rocsparse_index_base_b.num_agpr, 0
	.set _ZN9rocsparseL18bsrxmvn_4x4_kernelILj128ELj8E21rocsparse_complex_numIdEllS2_S2_S2_EEvT3_20rocsparse_direction_NS_24const_host_device_scalarIT1_EES3_PKS3_PKT2_SC_S9_PKT4_PKT5_S7_PT6_21rocsparse_index_base_b.numbered_sgpr, 12
	.set _ZN9rocsparseL18bsrxmvn_4x4_kernelILj128ELj8E21rocsparse_complex_numIdEllS2_S2_S2_EEvT3_20rocsparse_direction_NS_24const_host_device_scalarIT1_EES3_PKS3_PKT2_SC_S9_PKT4_PKT5_S7_PT6_21rocsparse_index_base_b.num_named_barrier, 0
	.set _ZN9rocsparseL18bsrxmvn_4x4_kernelILj128ELj8E21rocsparse_complex_numIdEllS2_S2_S2_EEvT3_20rocsparse_direction_NS_24const_host_device_scalarIT1_EES3_PKS3_PKT2_SC_S9_PKT4_PKT5_S7_PT6_21rocsparse_index_base_b.private_seg_size, 0
	.set _ZN9rocsparseL18bsrxmvn_4x4_kernelILj128ELj8E21rocsparse_complex_numIdEllS2_S2_S2_EEvT3_20rocsparse_direction_NS_24const_host_device_scalarIT1_EES3_PKS3_PKT2_SC_S9_PKT4_PKT5_S7_PT6_21rocsparse_index_base_b.uses_vcc, 1
	.set _ZN9rocsparseL18bsrxmvn_4x4_kernelILj128ELj8E21rocsparse_complex_numIdEllS2_S2_S2_EEvT3_20rocsparse_direction_NS_24const_host_device_scalarIT1_EES3_PKS3_PKT2_SC_S9_PKT4_PKT5_S7_PT6_21rocsparse_index_base_b.uses_flat_scratch, 0
	.set _ZN9rocsparseL18bsrxmvn_4x4_kernelILj128ELj8E21rocsparse_complex_numIdEllS2_S2_S2_EEvT3_20rocsparse_direction_NS_24const_host_device_scalarIT1_EES3_PKS3_PKT2_SC_S9_PKT4_PKT5_S7_PT6_21rocsparse_index_base_b.has_dyn_sized_stack, 0
	.set _ZN9rocsparseL18bsrxmvn_4x4_kernelILj128ELj8E21rocsparse_complex_numIdEllS2_S2_S2_EEvT3_20rocsparse_direction_NS_24const_host_device_scalarIT1_EES3_PKS3_PKT2_SC_S9_PKT4_PKT5_S7_PT6_21rocsparse_index_base_b.has_recursion, 0
	.set _ZN9rocsparseL18bsrxmvn_4x4_kernelILj128ELj8E21rocsparse_complex_numIdEllS2_S2_S2_EEvT3_20rocsparse_direction_NS_24const_host_device_scalarIT1_EES3_PKS3_PKT2_SC_S9_PKT4_PKT5_S7_PT6_21rocsparse_index_base_b.has_indirect_call, 0
	.section	.AMDGPU.csdata,"",@progbits
; Kernel info:
; codeLenInByte = 11976
; TotalNumSgprs: 14
; NumVgprs: 161
; ScratchSize: 0
; MemoryBound: 1
; FloatMode: 240
; IeeeMode: 1
; LDSByteSize: 0 bytes/workgroup (compile time only)
; SGPRBlocks: 0
; VGPRBlocks: 20
; NumSGPRsForWavesPerEU: 14
; NumVGPRsForWavesPerEU: 161
; Occupancy: 9
; WaveLimiterHint : 1
; COMPUTE_PGM_RSRC2:SCRATCH_EN: 0
; COMPUTE_PGM_RSRC2:USER_SGPR: 2
; COMPUTE_PGM_RSRC2:TRAP_HANDLER: 0
; COMPUTE_PGM_RSRC2:TGID_X_EN: 1
; COMPUTE_PGM_RSRC2:TGID_Y_EN: 0
; COMPUTE_PGM_RSRC2:TGID_Z_EN: 0
; COMPUTE_PGM_RSRC2:TIDIG_COMP_CNT: 0
	.section	.text._ZN9rocsparseL18bsrxmvn_4x4_kernelILj128ELj16E21rocsparse_complex_numIdEllS2_S2_S2_EEvT3_20rocsparse_direction_NS_24const_host_device_scalarIT1_EES3_PKS3_PKT2_SC_S9_PKT4_PKT5_S7_PT6_21rocsparse_index_base_b,"axG",@progbits,_ZN9rocsparseL18bsrxmvn_4x4_kernelILj128ELj16E21rocsparse_complex_numIdEllS2_S2_S2_EEvT3_20rocsparse_direction_NS_24const_host_device_scalarIT1_EES3_PKS3_PKT2_SC_S9_PKT4_PKT5_S7_PT6_21rocsparse_index_base_b,comdat
	.globl	_ZN9rocsparseL18bsrxmvn_4x4_kernelILj128ELj16E21rocsparse_complex_numIdEllS2_S2_S2_EEvT3_20rocsparse_direction_NS_24const_host_device_scalarIT1_EES3_PKS3_PKT2_SC_S9_PKT4_PKT5_S7_PT6_21rocsparse_index_base_b ; -- Begin function _ZN9rocsparseL18bsrxmvn_4x4_kernelILj128ELj16E21rocsparse_complex_numIdEllS2_S2_S2_EEvT3_20rocsparse_direction_NS_24const_host_device_scalarIT1_EES3_PKS3_PKT2_SC_S9_PKT4_PKT5_S7_PT6_21rocsparse_index_base_b
	.p2align	8
	.type	_ZN9rocsparseL18bsrxmvn_4x4_kernelILj128ELj16E21rocsparse_complex_numIdEllS2_S2_S2_EEvT3_20rocsparse_direction_NS_24const_host_device_scalarIT1_EES3_PKS3_PKT2_SC_S9_PKT4_PKT5_S7_PT6_21rocsparse_index_base_b,@function
_ZN9rocsparseL18bsrxmvn_4x4_kernelILj128ELj16E21rocsparse_complex_numIdEllS2_S2_S2_EEvT3_20rocsparse_direction_NS_24const_host_device_scalarIT1_EES3_PKS3_PKT2_SC_S9_PKT4_PKT5_S7_PT6_21rocsparse_index_base_b: ; @_ZN9rocsparseL18bsrxmvn_4x4_kernelILj128ELj16E21rocsparse_complex_numIdEllS2_S2_S2_EEvT3_20rocsparse_direction_NS_24const_host_device_scalarIT1_EES3_PKS3_PKT2_SC_S9_PKT4_PKT5_S7_PT6_21rocsparse_index_base_b
; %bb.0:
	s_clause 0x1
	s_load_b64 s[4:5], s[0:1], 0x70
	s_load_b64 s[2:3], s[0:1], 0x10
	s_add_nc_u64 s[6:7], s[0:1], 16
	s_load_b64 s[8:9], s[0:1], 0x58
	s_wait_kmcnt 0x0
	s_bitcmp1_b32 s5, 0
	s_cselect_b32 s2, s6, s2
	s_cselect_b32 s3, s7, s3
	s_delay_alu instid0(SALU_CYCLE_1)
	v_dual_mov_b32 v1, s2 :: v_dual_mov_b32 v2, s3
	s_add_nc_u64 s[2:3], s[0:1], 0x58
	s_wait_alu 0xfffe
	s_cselect_b32 s2, s2, s8
	s_cselect_b32 s3, s3, s9
	flat_load_b128 v[5:8], v[1:2]
	s_wait_alu 0xfffe
	v_dual_mov_b32 v1, s2 :: v_dual_mov_b32 v2, s3
	flat_load_b128 v[1:4], v[1:2]
	s_wait_loadcnt_dscnt 0x101
	v_cmp_eq_f64_e32 vcc_lo, 0, v[5:6]
	v_cmp_eq_f64_e64 s2, 0, v[7:8]
	s_and_b32 s5, vcc_lo, s2
	s_mov_b32 s2, -1
	s_and_saveexec_b32 s3, s5
	s_cbranch_execz .LBB57_2
; %bb.1:
	s_wait_loadcnt_dscnt 0x0
	v_cmp_neq_f64_e32 vcc_lo, 1.0, v[1:2]
	v_cmp_neq_f64_e64 s2, 0, v[3:4]
	s_wait_alu 0xfffe
	s_or_b32 s2, vcc_lo, s2
	s_wait_alu 0xfffe
	s_or_not1_b32 s2, s2, exec_lo
.LBB57_2:
	s_wait_alu 0xfffe
	s_or_b32 exec_lo, exec_lo, s3
	s_and_saveexec_b32 s3, s2
	s_cbranch_execz .LBB57_8
; %bb.3:
	s_load_b64 s[2:3], s[0:1], 0x28
	v_lshrrev_b32_e32 v9, 4, v0
	v_mov_b32_e32 v12, 0
	s_delay_alu instid0(VALU_DEP_2)
	v_lshl_or_b32 v11, ttmp9, 3, v9
	s_wait_kmcnt 0x0
	s_cmp_lg_u64 s[2:3], 0
	s_cbranch_scc0 .LBB57_9
; %bb.4:
	s_load_b64 s[6:7], s[0:1], 0x20
                                        ; implicit-def: $vgpr21_vgpr22
                                        ; implicit-def: $vgpr9_vgpr10
	s_wait_kmcnt 0x0
	v_cmp_gt_i64_e32 vcc_lo, s[6:7], v[11:12]
	s_mov_b32 s7, 0
	s_mov_b32 s6, 0
	s_and_saveexec_b32 s5, vcc_lo
	s_delay_alu instid0(SALU_CYCLE_1)
	s_xor_b32 s8, exec_lo, s5
	s_cbranch_execz .LBB57_6
; %bb.5:
	v_lshlrev_b64_e32 v[9:10], 3, v[11:12]
	s_mov_b32 s5, 0
	s_mov_b32 s6, exec_lo
	s_delay_alu instid0(VALU_DEP_1) | instskip(NEXT) | instid1(VALU_DEP_1)
	v_add_co_u32 v9, vcc_lo, s2, v9
	v_add_co_ci_u32_e64 v10, null, s3, v10, vcc_lo
	global_load_b64 v[9:10], v[9:10], off
	s_wait_loadcnt 0x0
	v_sub_co_u32 v21, vcc_lo, v9, s4
	s_wait_alu 0xfffd
	v_subrev_co_ci_u32_e64 v22, null, 0, v10, vcc_lo
	v_dual_mov_b32 v10, s5 :: v_dual_mov_b32 v9, s4
.LBB57_6:
	s_or_b32 exec_lo, exec_lo, s8
	s_wait_alu 0xfffe
	s_and_b32 vcc_lo, exec_lo, s7
	s_wait_alu 0xfffe
	s_cbranch_vccnz .LBB57_10
.LBB57_7:
	s_and_b32 exec_lo, exec_lo, s6
	s_cbranch_execnz .LBB57_13
.LBB57_8:
	s_nop 0
	s_sendmsg sendmsg(MSG_DEALLOC_VGPRS)
	s_endpgm
.LBB57_9:
	s_mov_b32 s6, 0
                                        ; implicit-def: $vgpr21_vgpr22
                                        ; implicit-def: $vgpr9_vgpr10
	s_cbranch_execz .LBB57_7
.LBB57_10:
	s_load_b64 s[2:3], s[0:1], 0x0
	s_wait_kmcnt 0x0
	v_cmp_gt_i64_e32 vcc_lo, s[2:3], v[11:12]
	s_and_saveexec_b32 s2, vcc_lo
; %bb.11:
	s_mov_b32 s5, 0
	s_or_b32 s6, s6, exec_lo
; %bb.12:
	s_wait_alu 0xfffe
	s_or_b32 exec_lo, exec_lo, s2
	v_dual_mov_b32 v10, s5 :: v_dual_mov_b32 v9, s4
	v_dual_mov_b32 v22, v12 :: v_dual_mov_b32 v21, v11
	s_and_b32 exec_lo, exec_lo, s6
	s_cbranch_execz .LBB57_8
.LBB57_13:
	s_load_b256 s[4:11], s[0:1], 0x30
	s_delay_alu instid0(VALU_DEP_1) | instskip(SKIP_3) | instid1(VALU_DEP_2)
	v_lshlrev_b64_e32 v[11:12], 3, v[21:22]
	v_and_b32_e32 v0, 15, v0
	s_load_b32 s3, s[0:1], 0x8
	s_wait_kmcnt 0x0
	v_add_co_u32 v13, vcc_lo, s4, v11
	s_wait_alu 0xfffd
	v_add_co_ci_u32_e64 v14, null, s5, v12, vcc_lo
	v_add_co_u32 v11, vcc_lo, s6, v11
	s_wait_alu 0xfffd
	v_add_co_ci_u32_e64 v12, null, s7, v12, vcc_lo
	v_add_co_u32 v15, vcc_lo, v13, 8
	global_load_b64 v[35:36], v[13:14], off
	s_wait_alu 0xfffd
	v_add_co_ci_u32_e64 v16, null, 0, v14, vcc_lo
	s_cmp_eq_u64 s[6:7], 0
	s_load_b64 s[6:7], s[0:1], 0x50
	s_cselect_b32 vcc_lo, -1, 0
	s_cmp_eq_u32 s3, 1
	s_wait_alu 0xfffe
	v_dual_cndmask_b32 v12, v12, v16 :: v_dual_cndmask_b32 v11, v11, v15
	global_load_b64 v[13:14], v[11:12], off
	s_wait_loadcnt 0x1
	v_sub_co_u32 v11, vcc_lo, v35, v9
	s_wait_alu 0xfffd
	v_sub_co_ci_u32_e64 v12, null, v36, v10, vcc_lo
	s_delay_alu instid0(VALU_DEP_2) | instskip(SKIP_1) | instid1(VALU_DEP_2)
	v_add_co_u32 v11, vcc_lo, v11, v0
	s_wait_alu 0xfffd
	v_add_co_ci_u32_e64 v12, null, 0, v12, vcc_lo
	s_delay_alu instid0(VALU_DEP_1) | instskip(SKIP_4) | instid1(VALU_DEP_3)
	v_lshlrev_b64_e32 v[15:16], 8, v[11:12]
	s_wait_loadcnt 0x0
	v_sub_co_u32 v13, vcc_lo, v13, v9
	s_wait_alu 0xfffd
	v_sub_co_ci_u32_e64 v14, null, v14, v10, vcc_lo
	v_add_co_u32 v15, vcc_lo, s10, v15
	s_delay_alu instid0(VALU_DEP_2)
	v_cmp_lt_i64_e64 s2, v[11:12], v[13:14]
	s_wait_alu 0xfffd
	v_add_co_ci_u32_e64 v16, null, s11, v16, vcc_lo
	s_cbranch_scc1 .LBB57_25
; %bb.14:
	v_mov_b32_e32 v17, 0
	v_mov_b32_e32 v23, 0
	;; [unrolled: 1-line block ×3, first 2 shown]
	v_dual_mov_b32 v33, 0 :: v_dual_mov_b32 v18, 0
	v_dual_mov_b32 v25, 0 :: v_dual_mov_b32 v24, 0
	;; [unrolled: 1-line block ×5, first 2 shown]
	v_mov_b32_e32 v28, 0
	v_mov_b32_e32 v30, 0
	;; [unrolled: 1-line block ×3, first 2 shown]
	s_and_saveexec_b32 s5, s2
	s_cbranch_execz .LBB57_24
; %bb.15:
	v_or_b32_e32 v17, 16, v0
	v_not_b32_e32 v24, v35
	v_dual_mov_b32 v38, 0 :: v_dual_mov_b32 v19, 0
	v_not_b32_e32 v23, v36
	s_delay_alu instid0(VALU_DEP_4) | instskip(SKIP_3) | instid1(VALU_DEP_3)
	v_sub_co_u32 v17, vcc_lo, v17, v9
	s_wait_alu 0xfffd
	v_sub_co_ci_u32_e64 v18, null, 0, v10, vcc_lo
	v_mov_b32_e32 v27, 0
	v_add_co_u32 v17, vcc_lo, v17, v35
	s_wait_alu 0xfffd
	s_delay_alu instid0(VALU_DEP_3) | instskip(SKIP_3) | instid1(VALU_DEP_3)
	v_add_co_ci_u32_e64 v18, null, v18, v36, vcc_lo
	v_sub_co_u32 v25, vcc_lo, v9, v0
	s_wait_alu 0xfffd
	v_subrev_co_ci_u32_e64 v26, null, 0, v10, vcc_lo
	v_cmp_gt_i64_e32 vcc_lo, v[17:18], v[13:14]
	v_mov_b32_e32 v20, 0
	v_add_co_u32 v24, s3, v25, v24
	s_wait_alu 0xf1ff
	v_add_co_ci_u32_e64 v23, null, v26, v23, s3
	s_wait_alu 0xfffd
	v_dual_cndmask_b32 v17, v13, v17 :: v_dual_cndmask_b32 v18, v14, v18
	v_mov_b32_e32 v33, 0
	v_dual_mov_b32 v34, 0 :: v_dual_mov_b32 v29, 0
	s_delay_alu instid0(VALU_DEP_3) | instskip(SKIP_1) | instid1(VALU_DEP_2)
	v_add_co_u32 v41, vcc_lo, v24, v17
	v_dual_mov_b32 v30, 0 :: v_dual_mov_b32 v31, 0
	v_dual_mov_b32 v32, 0 :: v_dual_and_b32 v37, 48, v41
	v_mov_b32_e32 v25, 0
	s_wait_alu 0xfffd
	v_add_co_ci_u32_e64 v42, null, v23, v18, vcc_lo
	v_dual_mov_b32 v28, 0 :: v_dual_mov_b32 v23, 0
	v_dual_mov_b32 v26, 0 :: v_dual_mov_b32 v17, 0
	v_cmp_ne_u64_e32 vcc_lo, 48, v[37:38]
	v_mov_b32_e32 v24, 0
	v_mov_b32_e32 v18, 0
	v_dual_mov_b32 v40, v16 :: v_dual_mov_b32 v39, v15
	v_dual_mov_b32 v38, v12 :: v_dual_mov_b32 v37, v11
	s_and_saveexec_b32 s4, vcc_lo
	s_cbranch_execz .LBB57_19
; %bb.16:
	v_lshrrev_b32_e32 v17, 4, v41
	v_lshlrev_b64_e32 v[19:20], 3, v[11:12]
	v_mov_b32_e32 v31, 0
	v_mov_b32_e32 v25, 0
	;; [unrolled: 1-line block ×3, first 2 shown]
	v_add_nc_u32_e32 v27, 1, v17
	v_dual_mov_b32 v17, 0 :: v_dual_mov_b32 v38, v12
	v_mov_b32_e32 v18, 0
	v_add_co_u32 v43, vcc_lo, s8, v19
	s_delay_alu instid0(VALU_DEP_4) | instskip(SKIP_3) | instid1(VALU_DEP_3)
	v_dual_mov_b32 v32, 0 :: v_dual_and_b32 v27, 3, v27
	s_wait_alu 0xfffd
	v_add_co_ci_u32_e64 v44, null, s9, v20, vcc_lo
	v_mov_b32_e32 v29, 0
	v_sub_co_u32 v45, s3, 0, v27
	v_dual_mov_b32 v27, 0 :: v_dual_mov_b32 v30, 0
	v_dual_mov_b32 v33, 0 :: v_dual_mov_b32 v40, v16
	v_mov_b32_e32 v19, 0
	v_dual_mov_b32 v37, v11 :: v_dual_mov_b32 v26, 0
	v_mov_b32_e32 v24, 0
	s_wait_alu 0xf1ff
	v_sub_co_ci_u32_e64 v46, null, 0, 0, s3
	v_mov_b32_e32 v28, 0
	v_mov_b32_e32 v34, 0
	v_dual_mov_b32 v20, 0 :: v_dual_mov_b32 v39, v15
	s_mov_b32 s10, 0
.LBB57_17:                              ; =>This Inner Loop Header: Depth=1
	global_load_b64 v[79:80], v[43:44], off
	s_clause 0x7
	global_load_b128 v[47:50], v[39:40], off offset:16
	global_load_b128 v[51:54], v[39:40], off
	global_load_b128 v[55:58], v[39:40], off offset:80
	global_load_b128 v[59:62], v[39:40], off offset:64
	;; [unrolled: 1-line block ×6, first 2 shown]
	v_add_co_u32 v43, s3, 0x80, v43
	s_wait_alu 0xf1ff
	v_add_co_ci_u32_e64 v44, null, 0, v44, s3
	s_wait_loadcnt 0x8
	v_sub_co_u32 v79, vcc_lo, v79, v9
	s_wait_alu 0xfffd
	v_sub_co_ci_u32_e64 v80, null, v80, v10, vcc_lo
	s_delay_alu instid0(VALU_DEP_1) | instskip(SKIP_1) | instid1(VALU_DEP_1)
	v_lshlrev_b64_e32 v[79:80], 6, v[79:80]
	s_wait_kmcnt 0x0
	v_add_co_u32 v123, vcc_lo, s6, v79
	s_wait_alu 0xfffd
	s_delay_alu instid0(VALU_DEP_2)
	v_add_co_ci_u32_e64 v124, null, s7, v80, vcc_lo
	s_clause 0x1
	global_load_b128 v[79:82], v[123:124], off
	global_load_b128 v[83:86], v[123:124], off offset:16
	s_clause 0x7
	global_load_b128 v[87:90], v[39:40], off offset:48
	global_load_b128 v[91:94], v[39:40], off offset:32
	;; [unrolled: 1-line block ×8, first 2 shown]
	s_clause 0x1
	global_load_b128 v[119:122], v[123:124], off offset:32
	global_load_b128 v[123:126], v[123:124], off offset:48
	v_add_co_u32 v39, vcc_lo, 0x1000, v39
	s_wait_alu 0xfffd
	v_add_co_ci_u32_e64 v40, null, 0, v40, vcc_lo
	v_add_co_u32 v45, vcc_lo, v45, 1
	s_wait_alu 0xfffd
	v_add_co_ci_u32_e64 v46, null, 0, v46, vcc_lo
	;; [unrolled: 3-line block ×3, first 2 shown]
	s_delay_alu instid0(VALU_DEP_3)
	v_cmp_eq_u64_e32 vcc_lo, 0, v[45:46]
	s_wait_alu 0xfffe
	s_or_b32 s10, vcc_lo, s10
	s_wait_loadcnt 0xb
	v_fma_f64 v[25:26], v[51:52], v[79:80], v[25:26]
	v_fma_f64 v[17:18], v[53:54], v[79:80], v[17:18]
	v_fma_f64 v[33:34], v[59:60], v[79:80], v[33:34]
	v_fma_f64 v[19:20], v[61:62], v[79:80], v[19:20]
	v_fma_f64 v[31:32], v[67:68], v[79:80], v[31:32]
	v_fma_f64 v[29:30], v[69:70], v[79:80], v[29:30]
	v_fma_f64 v[23:24], v[75:76], v[79:80], v[23:24]
	v_fma_f64 v[27:28], v[77:78], v[79:80], v[27:28]
	v_fma_f64 v[25:26], -v[53:54], v[81:82], v[25:26]
	v_fma_f64 v[17:18], v[51:52], v[81:82], v[17:18]
	v_fma_f64 v[33:34], -v[61:62], v[81:82], v[33:34]
	v_fma_f64 v[19:20], v[59:60], v[81:82], v[19:20]
	v_fma_f64 v[31:32], -v[69:70], v[81:82], v[31:32]
	v_fma_f64 v[29:30], v[67:68], v[81:82], v[29:30]
	v_fma_f64 v[23:24], -v[77:78], v[81:82], v[23:24]
	v_fma_f64 v[27:28], v[75:76], v[81:82], v[27:28]
	s_wait_loadcnt 0xa
	v_fma_f64 v[25:26], v[47:48], v[83:84], v[25:26]
	v_fma_f64 v[17:18], v[49:50], v[83:84], v[17:18]
	v_fma_f64 v[33:34], v[55:56], v[83:84], v[33:34]
	v_fma_f64 v[19:20], v[57:58], v[83:84], v[19:20]
	v_fma_f64 v[31:32], v[63:64], v[83:84], v[31:32]
	v_fma_f64 v[29:30], v[65:66], v[83:84], v[29:30]
	v_fma_f64 v[23:24], v[71:72], v[83:84], v[23:24]
	v_fma_f64 v[27:28], v[73:74], v[83:84], v[27:28]
	v_fma_f64 v[25:26], -v[49:50], v[85:86], v[25:26]
	v_fma_f64 v[17:18], v[47:48], v[85:86], v[17:18]
	v_fma_f64 v[33:34], -v[57:58], v[85:86], v[33:34]
	v_fma_f64 v[19:20], v[55:56], v[85:86], v[19:20]
	v_fma_f64 v[31:32], -v[65:66], v[85:86], v[31:32]
	v_fma_f64 v[29:30], v[63:64], v[85:86], v[29:30]
	v_fma_f64 v[23:24], -v[73:74], v[85:86], v[23:24]
	v_fma_f64 v[27:28], v[71:72], v[85:86], v[27:28]
	;; [unrolled: 17-line block ×4, first 2 shown]
	s_wait_alu 0xfffe
	s_and_not1_b32 exec_lo, exec_lo, s10
	s_cbranch_execnz .LBB57_17
; %bb.18:
	s_or_b32 exec_lo, exec_lo, s10
.LBB57_19:
	s_wait_alu 0xfffe
	s_or_b32 exec_lo, exec_lo, s4
	s_delay_alu instid0(SALU_CYCLE_1)
	s_mov_b32 s10, exec_lo
	v_cmpx_lt_u64_e32 47, v[41:42]
	s_cbranch_execz .LBB57_23
; %bb.20:
	v_lshlrev_b64_e32 v[41:42], 3, v[37:38]
	s_mov_b32 s11, 0
	s_delay_alu instid0(VALU_DEP_1) | instskip(SKIP_1) | instid1(VALU_DEP_2)
	v_add_co_u32 v41, vcc_lo, s8, v41
	s_wait_alu 0xfffd
	v_add_co_ci_u32_e64 v42, null, s9, v42, vcc_lo
	s_delay_alu instid0(VALU_DEP_2) | instskip(SKIP_1) | instid1(VALU_DEP_2)
	v_add_co_u32 v41, vcc_lo, 0x100, v41
	s_wait_alu 0xfffd
	v_add_co_ci_u32_e64 v42, null, 0, v42, vcc_lo
.LBB57_21:                              ; =>This Inner Loop Header: Depth=1
	s_clause 0x1
	global_load_b64 v[43:44], v[41:42], off offset:-256
	global_load_b64 v[141:142], v[41:42], off offset:-128
	s_clause 0x3
	global_load_b128 v[45:48], v[39:40], off
	global_load_b128 v[49:52], v[39:40], off offset:64
	global_load_b128 v[53:56], v[39:40], off offset:128
	;; [unrolled: 1-line block ×3, first 2 shown]
	s_wait_loadcnt 0x5
	v_sub_co_u32 v43, vcc_lo, v43, v9
	s_wait_alu 0xfffd
	v_sub_co_ci_u32_e64 v44, null, v44, v10, vcc_lo
	s_delay_alu instid0(VALU_DEP_1) | instskip(SKIP_1) | instid1(VALU_DEP_1)
	v_lshlrev_b64_e32 v[43:44], 6, v[43:44]
	s_wait_kmcnt 0x0
	v_add_co_u32 v43, vcc_lo, s6, v43
	s_wait_alu 0xfffd
	s_delay_alu instid0(VALU_DEP_2)
	v_add_co_ci_u32_e64 v44, null, s7, v44, vcc_lo
	global_load_b128 v[61:64], v[43:44], off
	s_clause 0x3
	global_load_b128 v[65:68], v[39:40], off offset:16
	global_load_b128 v[69:72], v[39:40], off offset:80
	global_load_b128 v[73:76], v[39:40], off offset:144
	global_load_b128 v[77:80], v[39:40], off offset:208
	global_load_b128 v[81:84], v[43:44], off offset:16
	s_clause 0x3
	global_load_b128 v[85:88], v[39:40], off offset:32
	global_load_b128 v[89:92], v[39:40], off offset:96
	global_load_b128 v[93:96], v[39:40], off offset:160
	global_load_b128 v[97:100], v[39:40], off offset:224
	global_load_b128 v[101:104], v[43:44], off offset:32
	;; [unrolled: 6-line block ×3, first 2 shown]
	global_load_b64 v[145:146], v[41:42], off
	s_clause 0x3
	global_load_b128 v[125:128], v[39:40], off offset:4096
	global_load_b128 v[129:132], v[39:40], off offset:4160
	;; [unrolled: 1-line block ×4, first 2 shown]
	s_wait_loadcnt 0x19
	v_sub_co_u32 v43, vcc_lo, v141, v9
	s_wait_alu 0xfffd
	v_sub_co_ci_u32_e64 v44, null, v142, v10, vcc_lo
	s_delay_alu instid0(VALU_DEP_1) | instskip(NEXT) | instid1(VALU_DEP_1)
	v_lshlrev_b64_e32 v[43:44], 6, v[43:44]
	v_add_co_u32 v147, vcc_lo, s6, v43
	s_wait_alu 0xfffd
	s_delay_alu instid0(VALU_DEP_2)
	v_add_co_ci_u32_e64 v148, null, s7, v44, vcc_lo
	global_load_b128 v[141:144], v[147:148], off
	s_wait_loadcnt 0x15
	v_fma_f64 v[25:26], v[45:46], v[61:62], v[25:26]
	v_fma_f64 v[17:18], v[47:48], v[61:62], v[17:18]
	;; [unrolled: 1-line block ×8, first 2 shown]
	s_wait_loadcnt 0x5
	v_sub_co_u32 v145, vcc_lo, v145, v9
	s_wait_alu 0xfffd
	v_sub_co_ci_u32_e64 v146, null, v146, v10, vcc_lo
	v_fma_f64 v[47:48], -v[47:48], v[63:64], v[25:26]
	v_fma_f64 v[61:62], v[45:46], v[63:64], v[17:18]
	v_fma_f64 v[51:52], -v[51:52], v[63:64], v[33:34]
	v_fma_f64 v[49:50], v[49:50], v[63:64], v[19:20]
	v_fma_f64 v[55:56], -v[55:56], v[63:64], v[31:32]
	v_fma_f64 v[53:54], v[53:54], v[63:64], v[29:30]
	v_fma_f64 v[59:60], -v[59:60], v[63:64], v[23:24]
	v_fma_f64 v[57:58], v[57:58], v[63:64], v[27:28]
	s_clause 0x3
	global_load_b128 v[17:20], v[39:40], off offset:4112
	global_load_b128 v[23:26], v[39:40], off offset:4176
	global_load_b128 v[27:30], v[39:40], off offset:4240
	global_load_b128 v[31:34], v[39:40], off offset:4304
	global_load_b128 v[43:46], v[147:148], off offset:16
	v_fma_f64 v[47:48], v[65:66], v[81:82], v[47:48]
	v_fma_f64 v[61:62], v[67:68], v[81:82], v[61:62]
	v_fma_f64 v[51:52], v[69:70], v[81:82], v[51:52]
	v_fma_f64 v[49:50], v[71:72], v[81:82], v[49:50]
	v_fma_f64 v[55:56], v[73:74], v[81:82], v[55:56]
	v_fma_f64 v[53:54], v[75:76], v[81:82], v[53:54]
	v_fma_f64 v[59:60], v[77:78], v[81:82], v[59:60]
	v_fma_f64 v[57:58], v[79:80], v[81:82], v[57:58]
	v_fma_f64 v[67:68], -v[67:68], v[83:84], v[47:48]
	v_fma_f64 v[81:82], v[65:66], v[83:84], v[61:62]
	v_fma_f64 v[71:72], -v[71:72], v[83:84], v[51:52]
	v_fma_f64 v[69:70], v[69:70], v[83:84], v[49:50]
	v_fma_f64 v[75:76], -v[75:76], v[83:84], v[55:56]
	v_fma_f64 v[73:74], v[73:74], v[83:84], v[53:54]
	v_fma_f64 v[79:80], -v[79:80], v[83:84], v[59:60]
	v_fma_f64 v[77:78], v[77:78], v[83:84], v[57:58]
	s_clause 0x3
	global_load_b128 v[47:50], v[39:40], off offset:4128
	global_load_b128 v[51:54], v[39:40], off offset:4192
	global_load_b128 v[55:58], v[39:40], off offset:4256
	global_load_b128 v[59:62], v[39:40], off offset:4320
	global_load_b128 v[63:66], v[147:148], off offset:32
	v_fma_f64 v[67:68], v[85:86], v[101:102], v[67:68]
	v_fma_f64 v[81:82], v[87:88], v[101:102], v[81:82]
	v_fma_f64 v[71:72], v[89:90], v[101:102], v[71:72]
	v_fma_f64 v[69:70], v[91:92], v[101:102], v[69:70]
	v_fma_f64 v[75:76], v[93:94], v[101:102], v[75:76]
	v_fma_f64 v[73:74], v[95:96], v[101:102], v[73:74]
	v_fma_f64 v[79:80], v[97:98], v[101:102], v[79:80]
	v_fma_f64 v[77:78], v[99:100], v[101:102], v[77:78]
	;; [unrolled: 22-line block ×3, first 2 shown]
	global_load_b64 v[159:160], v[41:42], off offset:128
	s_clause 0x3
	global_load_b128 v[87:90], v[39:40], off offset:8192
	global_load_b128 v[91:94], v[39:40], off offset:8256
	;; [unrolled: 1-line block ×4, first 2 shown]
	v_add_co_u32 v41, s3, 0x200, v41
	s_wait_alu 0xf1ff
	v_add_co_ci_u32_e64 v42, null, 0, v42, s3
	v_fma_f64 v[107:108], -v[107:108], v[123:124], v[103:104]
	v_fma_f64 v[147:148], v[105:106], v[123:124], v[147:148]
	v_fma_f64 v[111:112], -v[111:112], v[123:124], v[149:150]
	v_fma_f64 v[109:110], v[109:110], v[123:124], v[151:152]
	;; [unrolled: 2-line block ×4, first 2 shown]
	v_lshlrev_b64_e32 v[103:104], 6, v[145:146]
	s_delay_alu instid0(VALU_DEP_1) | instskip(SKIP_1) | instid1(VALU_DEP_2)
	v_add_co_u32 v145, vcc_lo, s6, v103
	s_wait_alu 0xfffd
	v_add_co_ci_u32_e64 v146, null, s7, v104, vcc_lo
	global_load_b128 v[103:106], v[145:146], off
	s_wait_loadcnt 0x15
	v_fma_f64 v[107:108], v[125:126], v[141:142], v[107:108]
	v_fma_f64 v[121:122], v[127:128], v[141:142], v[147:148]
	v_fma_f64 v[111:112], v[129:130], v[141:142], v[111:112]
	v_fma_f64 v[109:110], v[131:132], v[141:142], v[109:110]
	v_fma_f64 v[115:116], v[133:134], v[141:142], v[115:116]
	v_fma_f64 v[113:114], v[135:136], v[141:142], v[113:114]
	v_fma_f64 v[119:120], v[137:138], v[141:142], v[119:120]
	v_fma_f64 v[117:118], v[139:140], v[141:142], v[117:118]
	v_fma_f64 v[127:128], -v[127:128], v[143:144], v[107:108]
	v_fma_f64 v[141:142], v[125:126], v[143:144], v[121:122]
	v_fma_f64 v[131:132], -v[131:132], v[143:144], v[111:112]
	v_fma_f64 v[129:130], v[129:130], v[143:144], v[109:110]
	v_fma_f64 v[135:136], -v[135:136], v[143:144], v[115:116]
	v_fma_f64 v[133:134], v[133:134], v[143:144], v[113:114]
	v_fma_f64 v[139:140], -v[139:140], v[143:144], v[119:120]
	v_fma_f64 v[137:138], v[137:138], v[143:144], v[117:118]
	s_clause 0x3
	global_load_b128 v[107:110], v[39:40], off offset:8208
	global_load_b128 v[111:114], v[39:40], off offset:8272
	global_load_b128 v[115:118], v[39:40], off offset:8336
	global_load_b128 v[119:122], v[39:40], off offset:8400
	global_load_b128 v[123:126], v[145:146], off offset:16
	s_wait_loadcnt 0x15
	v_fma_f64 v[127:128], v[17:18], v[43:44], v[127:128]
	v_fma_f64 v[141:142], v[19:20], v[43:44], v[141:142]
	v_fma_f64 v[131:132], v[23:24], v[43:44], v[131:132]
	v_fma_f64 v[129:130], v[25:26], v[43:44], v[129:130]
	v_fma_f64 v[135:136], v[27:28], v[43:44], v[135:136]
	v_fma_f64 v[133:134], v[29:30], v[43:44], v[133:134]
	v_fma_f64 v[139:140], v[31:32], v[43:44], v[139:140]
	v_fma_f64 v[43:44], v[33:34], v[43:44], v[137:138]
	v_fma_f64 v[127:128], -v[19:20], v[45:46], v[127:128]
	v_fma_f64 v[137:138], v[17:18], v[45:46], v[141:142]
	v_fma_f64 v[131:132], -v[25:26], v[45:46], v[131:132]
	v_fma_f64 v[129:130], v[23:24], v[45:46], v[129:130]
	v_fma_f64 v[135:136], -v[29:30], v[45:46], v[135:136]
	v_fma_f64 v[133:134], v[27:28], v[45:46], v[133:134]
	v_fma_f64 v[139:140], -v[33:34], v[45:46], v[139:140]
	v_fma_f64 v[141:142], v[31:32], v[45:46], v[43:44]
	s_clause 0x3
	global_load_b128 v[17:20], v[39:40], off offset:8224
	global_load_b128 v[23:26], v[39:40], off offset:8288
	global_load_b128 v[27:30], v[39:40], off offset:8352
	global_load_b128 v[31:34], v[39:40], off offset:8416
	global_load_b128 v[43:46], v[145:146], off offset:32
	;; [unrolled: 23-line block ×3, first 2 shown]
	s_wait_loadcnt 0x15
	v_fma_f64 v[143:144], v[67:68], v[83:84], v[127:128]
	v_fma_f64 v[145:146], v[69:70], v[83:84], v[137:138]
	;; [unrolled: 1-line block ×8, first 2 shown]
	s_clause 0x3
	global_load_b128 v[127:130], v[39:40], off offset:12288
	global_load_b128 v[131:134], v[39:40], off offset:12352
	;; [unrolled: 1-line block ×4, first 2 shown]
	s_wait_loadcnt 0x18
	v_sub_co_u32 v157, vcc_lo, v159, v9
	s_wait_alu 0xfffd
	v_sub_co_ci_u32_e64 v158, null, v160, v10, vcc_lo
	v_fma_f64 v[143:144], -v[69:70], v[85:86], v[143:144]
	v_fma_f64 v[145:146], v[67:68], v[85:86], v[145:146]
	v_fma_f64 v[73:74], -v[73:74], v[85:86], v[147:148]
	v_fma_f64 v[71:72], v[71:72], v[85:86], v[149:150]
	;; [unrolled: 2-line block ×4, first 2 shown]
	v_lshlrev_b64_e32 v[67:68], 6, v[157:158]
	s_delay_alu instid0(VALU_DEP_1) | instskip(SKIP_1) | instid1(VALU_DEP_2)
	v_add_co_u32 v147, vcc_lo, s6, v67
	s_wait_alu 0xfffd
	v_add_co_ci_u32_e64 v148, null, s7, v68, vcc_lo
	v_add_co_u32 v37, vcc_lo, v37, 64
	s_wait_alu 0xfffd
	v_add_co_ci_u32_e64 v38, null, 0, v38, vcc_lo
	global_load_b128 v[67:70], v[147:148], off
	v_cmp_ge_i64_e64 s4, v[37:38], v[13:14]
	s_wait_alu 0xfffe
	s_or_b32 s11, s4, s11
	s_wait_loadcnt 0x14
	v_fma_f64 v[83:84], v[87:88], v[103:104], v[143:144]
	v_fma_f64 v[85:86], v[89:90], v[103:104], v[145:146]
	v_fma_f64 v[73:74], v[91:92], v[103:104], v[73:74]
	v_fma_f64 v[71:72], v[93:94], v[103:104], v[71:72]
	v_fma_f64 v[77:78], v[95:96], v[103:104], v[77:78]
	v_fma_f64 v[75:76], v[97:98], v[103:104], v[75:76]
	v_fma_f64 v[81:82], v[99:100], v[103:104], v[81:82]
	v_fma_f64 v[79:80], v[101:102], v[103:104], v[79:80]
	v_fma_f64 v[103:104], -v[89:90], v[105:106], v[83:84]
	v_fma_f64 v[143:144], v[87:88], v[105:106], v[85:86]
	v_fma_f64 v[93:94], -v[93:94], v[105:106], v[73:74]
	v_fma_f64 v[91:92], v[91:92], v[105:106], v[71:72]
	v_fma_f64 v[97:98], -v[97:98], v[105:106], v[77:78]
	v_fma_f64 v[95:96], v[95:96], v[105:106], v[75:76]
	v_fma_f64 v[101:102], -v[101:102], v[105:106], v[81:82]
	v_fma_f64 v[99:100], v[99:100], v[105:106], v[79:80]
	s_clause 0x3
	global_load_b128 v[71:74], v[39:40], off offset:12304
	global_load_b128 v[75:78], v[39:40], off offset:12368
	global_load_b128 v[79:82], v[39:40], off offset:12432
	global_load_b128 v[83:86], v[39:40], off offset:12496
	global_load_b128 v[87:90], v[147:148], off offset:16
	s_wait_loadcnt 0x14
	v_fma_f64 v[103:104], v[107:108], v[123:124], v[103:104]
	v_fma_f64 v[105:106], v[109:110], v[123:124], v[143:144]
	v_fma_f64 v[93:94], v[111:112], v[123:124], v[93:94]
	v_fma_f64 v[91:92], v[113:114], v[123:124], v[91:92]
	v_fma_f64 v[97:98], v[115:116], v[123:124], v[97:98]
	v_fma_f64 v[95:96], v[117:118], v[123:124], v[95:96]
	v_fma_f64 v[101:102], v[119:120], v[123:124], v[101:102]
	v_fma_f64 v[99:100], v[121:122], v[123:124], v[99:100]
	v_fma_f64 v[123:124], -v[109:110], v[125:126], v[103:104]
	v_fma_f64 v[143:144], v[107:108], v[125:126], v[105:106]
	v_fma_f64 v[113:114], -v[113:114], v[125:126], v[93:94]
	v_fma_f64 v[111:112], v[111:112], v[125:126], v[91:92]
	v_fma_f64 v[117:118], -v[117:118], v[125:126], v[97:98]
	v_fma_f64 v[115:116], v[115:116], v[125:126], v[95:96]
	v_fma_f64 v[121:122], -v[121:122], v[125:126], v[101:102]
	v_fma_f64 v[119:120], v[119:120], v[125:126], v[99:100]
	s_clause 0x3
	global_load_b128 v[91:94], v[39:40], off offset:12320
	global_load_b128 v[95:98], v[39:40], off offset:12384
	global_load_b128 v[99:102], v[39:40], off offset:12448
	global_load_b128 v[103:106], v[39:40], off offset:12512
	global_load_b128 v[107:110], v[147:148], off offset:32
	;; [unrolled: 23-line block ×3, first 2 shown]
	v_add_co_u32 v39, vcc_lo, 0x4000, v39
	s_wait_alu 0xfffd
	v_add_co_ci_u32_e64 v40, null, 0, v40, vcc_lo
	s_wait_loadcnt 0x14
	v_fma_f64 v[119:120], v[47:48], v[63:64], v[119:120]
	v_fma_f64 v[121:122], v[49:50], v[63:64], v[123:124]
	v_fma_f64 v[25:26], v[51:52], v[63:64], v[25:26]
	v_fma_f64 v[23:24], v[53:54], v[63:64], v[23:24]
	v_fma_f64 v[123:124], v[55:56], v[63:64], v[125:126]
	v_fma_f64 v[125:126], v[57:58], v[63:64], v[143:144]
	v_fma_f64 v[33:34], v[59:60], v[63:64], v[33:34]
	v_fma_f64 v[31:32], v[61:62], v[63:64], v[31:32]
	v_fma_f64 v[49:50], -v[49:50], v[65:66], v[119:120]
	v_fma_f64 v[47:48], v[47:48], v[65:66], v[121:122]
	v_fma_f64 v[25:26], -v[53:54], v[65:66], v[25:26]
	v_fma_f64 v[23:24], v[51:52], v[65:66], v[23:24]
	v_fma_f64 v[51:52], -v[57:58], v[65:66], v[123:124]
	v_fma_f64 v[53:54], v[55:56], v[65:66], v[125:126]
	v_fma_f64 v[33:34], -v[61:62], v[65:66], v[33:34]
	v_fma_f64 v[31:32], v[59:60], v[65:66], v[31:32]
	s_wait_loadcnt 0xf
	v_fma_f64 v[49:50], v[127:128], v[67:68], v[49:50]
	v_fma_f64 v[47:48], v[129:130], v[67:68], v[47:48]
	v_fma_f64 v[25:26], v[131:132], v[67:68], v[25:26]
	v_fma_f64 v[23:24], v[133:134], v[67:68], v[23:24]
	v_fma_f64 v[51:52], v[135:136], v[67:68], v[51:52]
	v_fma_f64 v[53:54], v[137:138], v[67:68], v[53:54]
	v_fma_f64 v[33:34], v[139:140], v[67:68], v[33:34]
	v_fma_f64 v[31:32], v[141:142], v[67:68], v[31:32]
	v_fma_f64 v[49:50], -v[129:130], v[69:70], v[49:50]
	v_fma_f64 v[47:48], v[127:128], v[69:70], v[47:48]
	v_fma_f64 v[25:26], -v[133:134], v[69:70], v[25:26]
	v_fma_f64 v[23:24], v[131:132], v[69:70], v[23:24]
	v_fma_f64 v[51:52], -v[137:138], v[69:70], v[51:52]
	v_fma_f64 v[53:54], v[135:136], v[69:70], v[53:54]
	v_fma_f64 v[33:34], -v[141:142], v[69:70], v[33:34]
	v_fma_f64 v[31:32], v[139:140], v[69:70], v[31:32]
	;; [unrolled: 17-line block ×5, first 2 shown]
	s_wait_alu 0xfffe
	s_and_not1_b32 exec_lo, exec_lo, s11
	s_cbranch_execnz .LBB57_21
; %bb.22:
	s_or_b32 exec_lo, exec_lo, s11
.LBB57_23:
	s_wait_alu 0xfffe
	s_or_b32 exec_lo, exec_lo, s10
.LBB57_24:
	s_wait_alu 0xfffe
	s_or_b32 exec_lo, exec_lo, s5
	s_cbranch_execz .LBB57_26
	s_branch .LBB57_37
.LBB57_25:
                                        ; implicit-def: $vgpr17_vgpr18
                                        ; implicit-def: $vgpr25_vgpr26
                                        ; implicit-def: $vgpr23_vgpr24
                                        ; implicit-def: $vgpr27_vgpr28
                                        ; implicit-def: $vgpr31_vgpr32
                                        ; implicit-def: $vgpr29_vgpr30
                                        ; implicit-def: $vgpr33_vgpr34
                                        ; implicit-def: $vgpr19_vgpr20
.LBB57_26:
	v_mov_b32_e32 v17, 0
	v_mov_b32_e32 v23, 0
	v_mov_b32_e32 v31, 0
	v_dual_mov_b32 v33, 0 :: v_dual_mov_b32 v18, 0
	v_dual_mov_b32 v25, 0 :: v_dual_mov_b32 v24, 0
	;; [unrolled: 1-line block ×5, first 2 shown]
	v_mov_b32_e32 v28, 0
	v_mov_b32_e32 v30, 0
	;; [unrolled: 1-line block ×3, first 2 shown]
	s_and_saveexec_b32 s3, s2
	s_cbranch_execz .LBB57_36
; %bb.27:
	v_or_b32_e32 v17, 16, v0
	v_not_b32_e32 v19, v35
	v_sub_co_u32 v20, s2, v9, v0
	v_not_b32_e32 v23, v36
	s_delay_alu instid0(VALU_DEP_4)
	v_sub_co_u32 v17, vcc_lo, v17, v9
	s_wait_alu 0xfffd
	v_sub_co_ci_u32_e64 v18, null, 0, v10, vcc_lo
	s_wait_alu 0xf1ff
	v_subrev_co_ci_u32_e64 v24, null, 0, v10, s2
	v_add_co_u32 v17, vcc_lo, v17, v35
	s_wait_alu 0xfffd
	v_add_co_ci_u32_e64 v18, null, v18, v36, vcc_lo
	v_add_co_u32 v25, s2, v20, v19
	s_wait_alu 0xf1ff
	v_add_co_ci_u32_e64 v23, null, v24, v23, s2
	s_delay_alu instid0(VALU_DEP_3)
	v_cmp_gt_i64_e32 vcc_lo, v[17:18], v[13:14]
	v_dual_mov_b32 v38, 0 :: v_dual_mov_b32 v31, 0
	v_dual_mov_b32 v32, 0 :: v_dual_mov_b32 v27, 0
	s_wait_alu 0xfffd
	v_dual_mov_b32 v19, 0 :: v_dual_cndmask_b32 v18, v14, v18
	v_dual_cndmask_b32 v17, v13, v17 :: v_dual_mov_b32 v20, 0
	v_mov_b32_e32 v33, 0
	v_dual_mov_b32 v34, 0 :: v_dual_mov_b32 v29, 0
	s_delay_alu instid0(VALU_DEP_3)
	v_add_co_u32 v35, vcc_lo, v25, v17
	s_wait_alu 0xfffd
	v_add_co_ci_u32_e64 v36, null, v23, v18, vcc_lo
	v_mov_b32_e32 v23, 0
	v_dual_mov_b32 v24, 0 :: v_dual_mov_b32 v25, 0
	v_dual_mov_b32 v17, 0 :: v_dual_mov_b32 v30, 0
	v_dual_mov_b32 v28, 0 :: v_dual_and_b32 v37, 48, v35
	v_mov_b32_e32 v26, 0
	v_mov_b32_e32 v18, 0
	s_mov_b32 s4, exec_lo
	s_delay_alu instid0(VALU_DEP_3)
	v_cmpx_ne_u64_e32 48, v[37:38]
	s_cbranch_execz .LBB57_31
; %bb.28:
	v_lshrrev_b32_e32 v27, 4, v35
	v_mov_b32_e32 v23, 0
	v_mov_b32_e32 v24, 0
	v_lshlrev_b64_e32 v[19:20], 3, v[11:12]
	v_mov_b32_e32 v31, 0
	v_add_nc_u32_e32 v27, 1, v27
	v_mov_b32_e32 v17, 0
	v_dual_mov_b32 v18, 0 :: v_dual_mov_b32 v25, 0
	v_add_co_u32 v37, vcc_lo, s8, v19
	s_delay_alu instid0(VALU_DEP_4) | instskip(SKIP_3) | instid1(VALU_DEP_3)
	v_dual_mov_b32 v32, 0 :: v_dual_and_b32 v39, 3, v27
	s_wait_alu 0xfffd
	v_add_co_ci_u32_e64 v38, null, s9, v20, vcc_lo
	v_mov_b32_e32 v27, 0
	v_sub_co_u32 v39, s2, 0, v39
	v_mov_b32_e32 v29, 0
	v_mov_b32_e32 v33, 0
	v_dual_mov_b32 v19, 0 :: v_dual_mov_b32 v26, 0
	v_mov_b32_e32 v28, 0
	v_mov_b32_e32 v30, 0
	;; [unrolled: 1-line block ×4, first 2 shown]
	s_wait_alu 0xf1ff
	v_sub_co_ci_u32_e64 v40, null, 0, 0, s2
	s_mov_b32 s5, 0
.LBB57_29:                              ; =>This Inner Loop Header: Depth=1
	global_load_b64 v[57:58], v[37:38], off
	s_clause 0x3
	global_load_b128 v[41:44], v[15:16], off offset:48
	global_load_b128 v[45:48], v[15:16], off offset:32
	;; [unrolled: 1-line block ×3, first 2 shown]
	global_load_b128 v[53:56], v[15:16], off
	v_add_co_u32 v37, s2, 0x80, v37
	s_wait_alu 0xf1ff
	v_add_co_ci_u32_e64 v38, null, 0, v38, s2
	s_wait_loadcnt 0x4
	v_sub_co_u32 v57, vcc_lo, v57, v9
	s_wait_alu 0xfffd
	v_sub_co_ci_u32_e64 v58, null, v58, v10, vcc_lo
	s_delay_alu instid0(VALU_DEP_1) | instskip(SKIP_1) | instid1(VALU_DEP_1)
	v_lshlrev_b64_e32 v[57:58], 6, v[57:58]
	s_wait_kmcnt 0x0
	v_add_co_u32 v101, vcc_lo, s6, v57
	s_wait_alu 0xfffd
	s_delay_alu instid0(VALU_DEP_2)
	v_add_co_ci_u32_e64 v102, null, s7, v58, vcc_lo
	s_clause 0x1
	global_load_b128 v[57:60], v[101:102], off
	global_load_b128 v[61:64], v[101:102], off offset:16
	s_clause 0x7
	global_load_b128 v[65:68], v[15:16], off offset:64
	global_load_b128 v[69:72], v[15:16], off offset:80
	;; [unrolled: 1-line block ×8, first 2 shown]
	s_clause 0x1
	global_load_b128 v[97:100], v[101:102], off offset:32
	global_load_b128 v[101:104], v[101:102], off offset:48
	s_clause 0x3
	global_load_b128 v[105:108], v[15:16], off offset:192
	global_load_b128 v[109:112], v[15:16], off offset:208
	;; [unrolled: 1-line block ×4, first 2 shown]
	v_add_co_u32 v15, vcc_lo, 0x1000, v15
	s_wait_alu 0xfffd
	v_add_co_ci_u32_e64 v16, null, 0, v16, vcc_lo
	v_add_co_u32 v39, vcc_lo, v39, 1
	s_wait_alu 0xfffd
	v_add_co_ci_u32_e64 v40, null, 0, v40, vcc_lo
	;; [unrolled: 3-line block ×3, first 2 shown]
	s_delay_alu instid0(VALU_DEP_3)
	v_cmp_eq_u64_e32 vcc_lo, 0, v[39:40]
	s_wait_alu 0xfffe
	s_or_b32 s5, vcc_lo, s5
	s_wait_loadcnt 0xf
	v_fma_f64 v[25:26], v[53:54], v[57:58], v[25:26]
	v_fma_f64 v[17:18], v[55:56], v[57:58], v[17:18]
	;; [unrolled: 1-line block ×8, first 2 shown]
	v_fma_f64 v[25:26], -v[55:56], v[59:60], v[25:26]
	v_fma_f64 v[17:18], v[53:54], v[59:60], v[17:18]
	v_fma_f64 v[33:34], -v[51:52], v[59:60], v[33:34]
	v_fma_f64 v[19:20], v[49:50], v[59:60], v[19:20]
	;; [unrolled: 2-line block ×4, first 2 shown]
	s_wait_loadcnt 0xd
	v_fma_f64 v[25:26], v[65:66], v[61:62], v[25:26]
	v_fma_f64 v[17:18], v[67:68], v[61:62], v[17:18]
	s_wait_loadcnt 0xc
	v_fma_f64 v[33:34], v[69:70], v[61:62], v[33:34]
	v_fma_f64 v[19:20], v[71:72], v[61:62], v[19:20]
	;; [unrolled: 3-line block ×4, first 2 shown]
	v_fma_f64 v[25:26], -v[67:68], v[63:64], v[25:26]
	v_fma_f64 v[17:18], v[65:66], v[63:64], v[17:18]
	v_fma_f64 v[33:34], -v[71:72], v[63:64], v[33:34]
	v_fma_f64 v[19:20], v[69:70], v[63:64], v[19:20]
	;; [unrolled: 2-line block ×4, first 2 shown]
	s_wait_loadcnt 0x5
	v_fma_f64 v[25:26], v[93:94], v[97:98], v[25:26]
	v_fma_f64 v[17:18], v[95:96], v[97:98], v[17:18]
	;; [unrolled: 1-line block ×8, first 2 shown]
	v_fma_f64 v[25:26], -v[95:96], v[99:100], v[25:26]
	v_fma_f64 v[17:18], v[93:94], v[99:100], v[17:18]
	v_fma_f64 v[33:34], -v[91:92], v[99:100], v[33:34]
	v_fma_f64 v[19:20], v[89:90], v[99:100], v[19:20]
	;; [unrolled: 2-line block ×4, first 2 shown]
	s_wait_loadcnt 0x3
	v_fma_f64 v[25:26], v[105:106], v[101:102], v[25:26]
	v_fma_f64 v[17:18], v[107:108], v[101:102], v[17:18]
	s_wait_loadcnt 0x2
	v_fma_f64 v[33:34], v[109:110], v[101:102], v[33:34]
	v_fma_f64 v[19:20], v[111:112], v[101:102], v[19:20]
	s_wait_loadcnt 0x1
	v_fma_f64 v[31:32], v[113:114], v[101:102], v[31:32]
	v_fma_f64 v[29:30], v[115:116], v[101:102], v[29:30]
	s_wait_loadcnt 0x0
	v_fma_f64 v[23:24], v[117:118], v[101:102], v[23:24]
	v_fma_f64 v[27:28], v[119:120], v[101:102], v[27:28]
	v_fma_f64 v[25:26], -v[107:108], v[103:104], v[25:26]
	v_fma_f64 v[17:18], v[105:106], v[103:104], v[17:18]
	v_fma_f64 v[33:34], -v[111:112], v[103:104], v[33:34]
	v_fma_f64 v[19:20], v[109:110], v[103:104], v[19:20]
	;; [unrolled: 2-line block ×4, first 2 shown]
	s_wait_alu 0xfffe
	s_and_not1_b32 exec_lo, exec_lo, s5
	s_cbranch_execnz .LBB57_29
; %bb.30:
	s_or_b32 exec_lo, exec_lo, s5
.LBB57_31:
	s_wait_alu 0xfffe
	s_or_b32 exec_lo, exec_lo, s4
	s_delay_alu instid0(SALU_CYCLE_1)
	s_mov_b32 s4, exec_lo
	v_cmpx_lt_u64_e32 47, v[35:36]
	s_cbranch_execz .LBB57_35
; %bb.32:
	v_lshlrev_b64_e32 v[35:36], 3, v[11:12]
	s_mov_b32 s5, 0
	s_delay_alu instid0(VALU_DEP_1) | instskip(SKIP_1) | instid1(VALU_DEP_2)
	v_add_co_u32 v35, vcc_lo, s8, v35
	s_wait_alu 0xfffd
	v_add_co_ci_u32_e64 v36, null, s9, v36, vcc_lo
	s_delay_alu instid0(VALU_DEP_2) | instskip(SKIP_1) | instid1(VALU_DEP_2)
	v_add_co_u32 v35, vcc_lo, 0x100, v35
	s_wait_alu 0xfffd
	v_add_co_ci_u32_e64 v36, null, 0, v36, vcc_lo
.LBB57_33:                              ; =>This Inner Loop Header: Depth=1
	s_clause 0x1
	global_load_b64 v[37:38], v[35:36], off offset:-256
	global_load_b64 v[135:136], v[35:36], off offset:-128
	s_clause 0x3
	global_load_b128 v[39:42], v[15:16], off offset:48
	global_load_b128 v[43:46], v[15:16], off offset:32
	;; [unrolled: 1-line block ×3, first 2 shown]
	global_load_b128 v[51:54], v[15:16], off
	s_clause 0x1
	global_load_b64 v[139:140], v[35:36], off
	global_load_b64 v[141:142], v[35:36], off offset:128
	v_add_co_u32 v35, s2, 0x200, v35
	s_wait_alu 0xf1ff
	v_add_co_ci_u32_e64 v36, null, 0, v36, s2
	s_wait_loadcnt 0x7
	v_sub_co_u32 v37, vcc_lo, v37, v9
	s_wait_alu 0xfffd
	v_sub_co_ci_u32_e64 v38, null, v38, v10, vcc_lo
	s_delay_alu instid0(VALU_DEP_1) | instskip(SKIP_1) | instid1(VALU_DEP_1)
	v_lshlrev_b64_e32 v[37:38], 6, v[37:38]
	s_wait_kmcnt 0x0
	v_add_co_u32 v37, vcc_lo, s6, v37
	s_wait_alu 0xfffd
	s_delay_alu instid0(VALU_DEP_2)
	v_add_co_ci_u32_e64 v38, null, s7, v38, vcc_lo
	global_load_b128 v[55:58], v[37:38], off
	s_clause 0x3
	global_load_b128 v[59:62], v[15:16], off offset:64
	global_load_b128 v[63:66], v[15:16], off offset:80
	global_load_b128 v[67:70], v[15:16], off offset:96
	global_load_b128 v[71:74], v[15:16], off offset:112
	global_load_b128 v[75:78], v[37:38], off offset:16
	s_clause 0x3
	global_load_b128 v[79:82], v[15:16], off offset:176
	global_load_b128 v[83:86], v[15:16], off offset:160
	global_load_b128 v[87:90], v[15:16], off offset:144
	global_load_b128 v[91:94], v[15:16], off offset:128
	global_load_b128 v[95:98], v[37:38], off offset:32
	;; [unrolled: 6-line block ×3, first 2 shown]
	s_clause 0x3
	global_load_b128 v[119:122], v[15:16], off offset:4144
	global_load_b128 v[123:126], v[15:16], off offset:4128
	;; [unrolled: 1-line block ×4, first 2 shown]
	s_wait_loadcnt 0x1a
	v_sub_co_u32 v37, vcc_lo, v135, v9
	s_wait_alu 0xfffd
	v_sub_co_ci_u32_e64 v38, null, v136, v10, vcc_lo
	s_delay_alu instid0(VALU_DEP_1) | instskip(NEXT) | instid1(VALU_DEP_1)
	v_lshlrev_b64_e32 v[37:38], 6, v[37:38]
	v_add_co_u32 v143, vcc_lo, s6, v37
	s_wait_alu 0xfffd
	s_delay_alu instid0(VALU_DEP_2)
	v_add_co_ci_u32_e64 v144, null, s7, v38, vcc_lo
	s_wait_loadcnt 0x15
	v_sub_co_u32 v139, vcc_lo, v139, v9
	s_wait_alu 0xfffd
	v_sub_co_ci_u32_e64 v140, null, v140, v10, vcc_lo
	global_load_b128 v[135:138], v[143:144], off
	s_wait_loadcnt 0x14
	v_fma_f64 v[25:26], v[51:52], v[55:56], v[25:26]
	v_fma_f64 v[17:18], v[53:54], v[55:56], v[17:18]
	v_fma_f64 v[33:34], v[47:48], v[55:56], v[33:34]
	v_fma_f64 v[19:20], v[49:50], v[55:56], v[19:20]
	v_fma_f64 v[31:32], v[43:44], v[55:56], v[31:32]
	v_fma_f64 v[29:30], v[45:46], v[55:56], v[29:30]
	v_fma_f64 v[23:24], v[39:40], v[55:56], v[23:24]
	v_fma_f64 v[27:28], v[41:42], v[55:56], v[27:28]
	v_fma_f64 v[53:54], -v[53:54], v[57:58], v[25:26]
	v_fma_f64 v[51:52], v[51:52], v[57:58], v[17:18]
	v_fma_f64 v[49:50], -v[49:50], v[57:58], v[33:34]
	v_fma_f64 v[47:48], v[47:48], v[57:58], v[19:20]
	v_fma_f64 v[45:46], -v[45:46], v[57:58], v[31:32]
	v_fma_f64 v[43:44], v[43:44], v[57:58], v[29:30]
	v_fma_f64 v[41:42], -v[41:42], v[57:58], v[23:24]
	v_fma_f64 v[55:56], v[39:40], v[57:58], v[27:28]
	s_clause 0x3
	global_load_b128 v[17:20], v[15:16], off offset:4160
	global_load_b128 v[23:26], v[15:16], off offset:4176
	global_load_b128 v[27:30], v[15:16], off offset:4192
	global_load_b128 v[31:34], v[15:16], off offset:4208
	global_load_b128 v[37:40], v[143:144], off offset:16
	s_wait_loadcnt 0x14
	v_fma_f64 v[53:54], v[59:60], v[75:76], v[53:54]
	v_fma_f64 v[51:52], v[61:62], v[75:76], v[51:52]
	v_fma_f64 v[49:50], v[63:64], v[75:76], v[49:50]
	v_fma_f64 v[47:48], v[65:66], v[75:76], v[47:48]
	v_fma_f64 v[45:46], v[67:68], v[75:76], v[45:46]
	v_fma_f64 v[43:44], v[69:70], v[75:76], v[43:44]
	v_fma_f64 v[41:42], v[71:72], v[75:76], v[41:42]
	v_fma_f64 v[55:56], v[73:74], v[75:76], v[55:56]
	v_fma_f64 v[61:62], -v[61:62], v[77:78], v[53:54]
	v_fma_f64 v[75:76], v[59:60], v[77:78], v[51:52]
	v_fma_f64 v[65:66], -v[65:66], v[77:78], v[49:50]
	v_fma_f64 v[63:64], v[63:64], v[77:78], v[47:48]
	v_fma_f64 v[69:70], -v[69:70], v[77:78], v[45:46]
	v_fma_f64 v[67:68], v[67:68], v[77:78], v[43:44]
	v_fma_f64 v[73:74], -v[73:74], v[77:78], v[41:42]
	v_fma_f64 v[71:72], v[71:72], v[77:78], v[55:56]
	s_clause 0x3
	global_load_b128 v[41:44], v[15:16], off offset:4272
	global_load_b128 v[45:48], v[15:16], off offset:4256
	global_load_b128 v[49:52], v[15:16], off offset:4240
	global_load_b128 v[53:56], v[15:16], off offset:4224
	global_load_b128 v[57:60], v[143:144], off offset:32
	;; [unrolled: 23-line block ×3, first 2 shown]
	s_wait_loadcnt 0x14
	v_fma_f64 v[97:98], v[99:100], v[115:116], v[93:94]
	v_fma_f64 v[143:144], v[101:102], v[115:116], v[91:92]
	;; [unrolled: 1-line block ×8, first 2 shown]
	s_clause 0x3
	global_load_b128 v[81:84], v[15:16], off offset:8240
	global_load_b128 v[85:88], v[15:16], off offset:8224
	;; [unrolled: 1-line block ×4, first 2 shown]
	v_fma_f64 v[101:102], -v[101:102], v[117:118], v[97:98]
	v_fma_f64 v[143:144], v[99:100], v[117:118], v[143:144]
	v_fma_f64 v[105:106], -v[105:106], v[117:118], v[145:146]
	v_fma_f64 v[103:104], v[103:104], v[117:118], v[147:148]
	;; [unrolled: 2-line block ×4, first 2 shown]
	v_lshlrev_b64_e32 v[97:98], 6, v[139:140]
	s_delay_alu instid0(VALU_DEP_1) | instskip(SKIP_1) | instid1(VALU_DEP_2)
	v_add_co_u32 v139, vcc_lo, s6, v97
	s_wait_alu 0xfffd
	v_add_co_ci_u32_e64 v140, null, s7, v98, vcc_lo
	v_sub_co_u32 v141, vcc_lo, v141, v9
	s_wait_alu 0xfffd
	v_sub_co_ci_u32_e64 v142, null, v142, v10, vcc_lo
	global_load_b128 v[97:100], v[139:140], off
	s_wait_loadcnt 0x14
	v_fma_f64 v[101:102], v[131:132], v[135:136], v[101:102]
	v_fma_f64 v[115:116], v[133:134], v[135:136], v[143:144]
	v_fma_f64 v[105:106], v[127:128], v[135:136], v[105:106]
	v_fma_f64 v[103:104], v[129:130], v[135:136], v[103:104]
	v_fma_f64 v[109:110], v[123:124], v[135:136], v[109:110]
	v_fma_f64 v[107:108], v[125:126], v[135:136], v[107:108]
	v_fma_f64 v[113:114], v[119:120], v[135:136], v[113:114]
	v_fma_f64 v[111:112], v[121:122], v[135:136], v[111:112]
	v_fma_f64 v[133:134], -v[133:134], v[137:138], v[101:102]
	v_fma_f64 v[131:132], v[131:132], v[137:138], v[115:116]
	v_fma_f64 v[129:130], -v[129:130], v[137:138], v[105:106]
	v_fma_f64 v[127:128], v[127:128], v[137:138], v[103:104]
	v_fma_f64 v[125:126], -v[125:126], v[137:138], v[109:110]
	v_fma_f64 v[123:124], v[123:124], v[137:138], v[107:108]
	v_fma_f64 v[121:122], -v[121:122], v[137:138], v[113:114]
	v_fma_f64 v[135:136], v[119:120], v[137:138], v[111:112]
	s_clause 0x3
	global_load_b128 v[101:104], v[15:16], off offset:8256
	global_load_b128 v[105:108], v[15:16], off offset:8272
	global_load_b128 v[109:112], v[15:16], off offset:8288
	global_load_b128 v[113:116], v[15:16], off offset:8304
	global_load_b128 v[117:120], v[139:140], off offset:16
	s_wait_loadcnt 0x14
	v_fma_f64 v[133:134], v[17:18], v[37:38], v[133:134]
	v_fma_f64 v[131:132], v[19:20], v[37:38], v[131:132]
	v_fma_f64 v[129:130], v[23:24], v[37:38], v[129:130]
	v_fma_f64 v[127:128], v[25:26], v[37:38], v[127:128]
	v_fma_f64 v[125:126], v[27:28], v[37:38], v[125:126]
	v_fma_f64 v[123:124], v[29:30], v[37:38], v[123:124]
	v_fma_f64 v[121:122], v[31:32], v[37:38], v[121:122]
	v_fma_f64 v[37:38], v[33:34], v[37:38], v[135:136]
	v_fma_f64 v[133:134], -v[19:20], v[39:40], v[133:134]
	v_fma_f64 v[131:132], v[17:18], v[39:40], v[131:132]
	v_fma_f64 v[129:130], -v[25:26], v[39:40], v[129:130]
	v_fma_f64 v[127:128], v[23:24], v[39:40], v[127:128]
	v_fma_f64 v[125:126], -v[29:30], v[39:40], v[125:126]
	v_fma_f64 v[123:124], v[27:28], v[39:40], v[123:124]
	v_fma_f64 v[121:122], -v[33:34], v[39:40], v[121:122]
	v_fma_f64 v[135:136], v[31:32], v[39:40], v[37:38]
	s_clause 0x3
	global_load_b128 v[17:20], v[15:16], off offset:8368
	global_load_b128 v[23:26], v[15:16], off offset:8352
	global_load_b128 v[27:30], v[15:16], off offset:8336
	global_load_b128 v[31:34], v[15:16], off offset:8320
	global_load_b128 v[37:40], v[139:140], off offset:32
	;; [unrolled: 23-line block ×3, first 2 shown]
	s_wait_loadcnt 0x14
	v_fma_f64 v[137:138], v[61:62], v[77:78], v[133:134]
	v_fma_f64 v[139:140], v[63:64], v[77:78], v[131:132]
	;; [unrolled: 1-line block ×8, first 2 shown]
	s_clause 0x3
	global_load_b128 v[121:124], v[15:16], off offset:12336
	global_load_b128 v[125:128], v[15:16], off offset:12320
	;; [unrolled: 1-line block ×4, first 2 shown]
	v_fma_f64 v[137:138], -v[63:64], v[79:80], v[137:138]
	v_fma_f64 v[139:140], v[61:62], v[79:80], v[139:140]
	v_fma_f64 v[67:68], -v[67:68], v[79:80], v[143:144]
	v_fma_f64 v[65:66], v[65:66], v[79:80], v[145:146]
	;; [unrolled: 2-line block ×4, first 2 shown]
	v_lshlrev_b64_e32 v[61:62], 6, v[141:142]
	s_delay_alu instid0(VALU_DEP_1) | instskip(SKIP_1) | instid1(VALU_DEP_2)
	v_add_co_u32 v141, vcc_lo, s6, v61
	s_wait_alu 0xfffd
	v_add_co_ci_u32_e64 v142, null, s7, v62, vcc_lo
	v_add_co_u32 v11, vcc_lo, v11, 64
	s_wait_alu 0xfffd
	v_add_co_ci_u32_e64 v12, null, 0, v12, vcc_lo
	global_load_b128 v[61:64], v[141:142], off
	s_wait_loadcnt 0x14
	v_fma_f64 v[77:78], v[93:94], v[97:98], v[137:138]
	v_fma_f64 v[79:80], v[95:96], v[97:98], v[139:140]
	v_fma_f64 v[67:68], v[89:90], v[97:98], v[67:68]
	v_fma_f64 v[65:66], v[91:92], v[97:98], v[65:66]
	v_fma_f64 v[71:72], v[85:86], v[97:98], v[71:72]
	v_fma_f64 v[69:70], v[87:88], v[97:98], v[69:70]
	v_fma_f64 v[75:76], v[81:82], v[97:98], v[75:76]
	v_fma_f64 v[73:74], v[83:84], v[97:98], v[73:74]
	v_fma_f64 v[95:96], -v[95:96], v[99:100], v[77:78]
	v_fma_f64 v[93:94], v[93:94], v[99:100], v[79:80]
	v_fma_f64 v[91:92], -v[91:92], v[99:100], v[67:68]
	v_fma_f64 v[89:90], v[89:90], v[99:100], v[65:66]
	v_fma_f64 v[87:88], -v[87:88], v[99:100], v[71:72]
	v_fma_f64 v[85:86], v[85:86], v[99:100], v[69:70]
	v_fma_f64 v[97:98], -v[83:84], v[99:100], v[75:76]
	v_fma_f64 v[99:100], v[81:82], v[99:100], v[73:74]
	s_clause 0x3
	global_load_b128 v[65:68], v[15:16], off offset:12352
	global_load_b128 v[69:72], v[15:16], off offset:12368
	global_load_b128 v[73:76], v[15:16], off offset:12384
	global_load_b128 v[77:80], v[15:16], off offset:12400
	global_load_b128 v[81:84], v[141:142], off offset:16
	s_wait_loadcnt 0x14
	v_fma_f64 v[95:96], v[101:102], v[117:118], v[95:96]
	v_fma_f64 v[93:94], v[103:104], v[117:118], v[93:94]
	v_fma_f64 v[91:92], v[105:106], v[117:118], v[91:92]
	v_fma_f64 v[89:90], v[107:108], v[117:118], v[89:90]
	v_fma_f64 v[87:88], v[109:110], v[117:118], v[87:88]
	v_fma_f64 v[85:86], v[111:112], v[117:118], v[85:86]
	v_fma_f64 v[97:98], v[113:114], v[117:118], v[97:98]
	v_fma_f64 v[99:100], v[115:116], v[117:118], v[99:100]
	v_fma_f64 v[117:118], -v[103:104], v[119:120], v[95:96]
	v_fma_f64 v[137:138], v[101:102], v[119:120], v[93:94]
	v_fma_f64 v[107:108], -v[107:108], v[119:120], v[91:92]
	v_fma_f64 v[105:106], v[105:106], v[119:120], v[89:90]
	v_fma_f64 v[111:112], -v[111:112], v[119:120], v[87:88]
	v_fma_f64 v[109:110], v[109:110], v[119:120], v[85:86]
	v_fma_f64 v[115:116], -v[115:116], v[119:120], v[97:98]
	v_fma_f64 v[113:114], v[113:114], v[119:120], v[99:100]
	s_clause 0x3
	global_load_b128 v[85:88], v[15:16], off offset:12464
	global_load_b128 v[89:92], v[15:16], off offset:12448
	global_load_b128 v[93:96], v[15:16], off offset:12432
	global_load_b128 v[97:100], v[15:16], off offset:12416
	global_load_b128 v[101:104], v[141:142], off offset:32
	;; [unrolled: 23-line block ×3, first 2 shown]
	v_add_co_u32 v15, vcc_lo, 0x4000, v15
	s_wait_alu 0xfffd
	v_add_co_ci_u32_e64 v16, null, 0, v16, vcc_lo
	v_cmp_ge_i64_e32 vcc_lo, v[11:12], v[13:14]
	s_wait_alu 0xfffe
	s_or_b32 s5, vcc_lo, s5
	s_wait_loadcnt 0x14
	v_fma_f64 v[33:34], v[41:42], v[57:58], v[33:34]
	v_fma_f64 v[31:32], v[43:44], v[57:58], v[31:32]
	v_fma_f64 v[113:114], v[45:46], v[57:58], v[113:114]
	v_fma_f64 v[117:118], v[47:48], v[57:58], v[117:118]
	v_fma_f64 v[25:26], v[49:50], v[57:58], v[25:26]
	v_fma_f64 v[23:24], v[51:52], v[57:58], v[23:24]
	v_fma_f64 v[115:116], v[53:54], v[57:58], v[115:116]
	v_fma_f64 v[57:58], v[55:56], v[57:58], v[119:120]
	v_fma_f64 v[33:34], -v[43:44], v[59:60], v[33:34]
	v_fma_f64 v[31:32], v[41:42], v[59:60], v[31:32]
	v_fma_f64 v[41:42], -v[47:48], v[59:60], v[113:114]
	v_fma_f64 v[43:44], v[45:46], v[59:60], v[117:118]
	v_fma_f64 v[25:26], -v[51:52], v[59:60], v[25:26]
	v_fma_f64 v[23:24], v[49:50], v[59:60], v[23:24]
	v_fma_f64 v[45:46], -v[55:56], v[59:60], v[115:116]
	v_fma_f64 v[47:48], v[53:54], v[59:60], v[57:58]
	s_wait_loadcnt 0xf
	v_fma_f64 v[33:34], v[133:134], v[61:62], v[33:34]
	v_fma_f64 v[31:32], v[135:136], v[61:62], v[31:32]
	v_fma_f64 v[41:42], v[129:130], v[61:62], v[41:42]
	v_fma_f64 v[43:44], v[131:132], v[61:62], v[43:44]
	v_fma_f64 v[25:26], v[125:126], v[61:62], v[25:26]
	v_fma_f64 v[23:24], v[127:128], v[61:62], v[23:24]
	v_fma_f64 v[45:46], v[121:122], v[61:62], v[45:46]
	v_fma_f64 v[47:48], v[123:124], v[61:62], v[47:48]
	v_fma_f64 v[33:34], -v[135:136], v[63:64], v[33:34]
	v_fma_f64 v[31:32], v[133:134], v[63:64], v[31:32]
	v_fma_f64 v[41:42], -v[131:132], v[63:64], v[41:42]
	v_fma_f64 v[43:44], v[129:130], v[63:64], v[43:44]
	v_fma_f64 v[25:26], -v[127:128], v[63:64], v[25:26]
	v_fma_f64 v[23:24], v[125:126], v[63:64], v[23:24]
	v_fma_f64 v[45:46], -v[123:124], v[63:64], v[45:46]
	v_fma_f64 v[47:48], v[121:122], v[63:64], v[47:48]
	;; [unrolled: 17-line block ×5, first 2 shown]
	s_wait_alu 0xfffe
	s_and_not1_b32 exec_lo, exec_lo, s5
	s_cbranch_execnz .LBB57_33
; %bb.34:
	s_or_b32 exec_lo, exec_lo, s5
.LBB57_35:
	s_wait_alu 0xfffe
	s_or_b32 exec_lo, exec_lo, s4
.LBB57_36:
	s_wait_alu 0xfffe
	s_or_b32 exec_lo, exec_lo, s3
.LBB57_37:
	v_mbcnt_lo_u32_b32 v43, -1, 0
	s_delay_alu instid0(VALU_DEP_1) | instskip(NEXT) | instid1(VALU_DEP_1)
	v_xor_b32_e32 v9, 8, v43
	v_cmp_gt_i32_e32 vcc_lo, 32, v9
	s_wait_alu 0xfffd
	v_cndmask_b32_e32 v9, v43, v9, vcc_lo
	s_delay_alu instid0(VALU_DEP_1)
	v_lshlrev_b32_e32 v42, 2, v9
	ds_bpermute_b32 v9, v42, v25
	ds_bpermute_b32 v10, v42, v26
	ds_bpermute_b32 v15, v42, v19
	ds_bpermute_b32 v16, v42, v20
	ds_bpermute_b32 v39, v42, v23
	ds_bpermute_b32 v40, v42, v24
	ds_bpermute_b32 v11, v42, v17
	ds_bpermute_b32 v12, v42, v18
	ds_bpermute_b32 v13, v42, v33
	ds_bpermute_b32 v14, v42, v34
	ds_bpermute_b32 v35, v42, v31
	ds_bpermute_b32 v36, v42, v32
	ds_bpermute_b32 v37, v42, v29
	ds_bpermute_b32 v38, v42, v30
	ds_bpermute_b32 v41, v42, v27
	ds_bpermute_b32 v42, v42, v28
	s_wait_dscnt 0xe
	v_add_f64_e32 v[9:10], v[25:26], v[9:10]
	s_wait_dscnt 0xc
	v_add_f64_e32 v[15:16], v[19:20], v[15:16]
	;; [unrolled: 2-line block ×8, first 2 shown]
	v_xor_b32_e32 v27, 4, v43
	s_delay_alu instid0(VALU_DEP_1) | instskip(SKIP_2) | instid1(VALU_DEP_1)
	v_cmp_gt_i32_e32 vcc_lo, 32, v27
	s_wait_alu 0xfffd
	v_cndmask_b32_e32 v27, v43, v27, vcc_lo
	v_lshlrev_b32_e32 v42, 2, v27
	ds_bpermute_b32 v27, v42, v9
	ds_bpermute_b32 v28, v42, v10
	;; [unrolled: 1-line block ×16, first 2 shown]
	s_wait_dscnt 0xe
	v_add_f64_e32 v[9:10], v[9:10], v[27:28]
	s_wait_dscnt 0xc
	v_add_f64_e32 v[15:16], v[15:16], v[33:34]
	;; [unrolled: 2-line block ×8, first 2 shown]
	v_xor_b32_e32 v25, 2, v43
	s_delay_alu instid0(VALU_DEP_1) | instskip(SKIP_2) | instid1(VALU_DEP_1)
	v_cmp_gt_i32_e32 vcc_lo, 32, v25
	s_wait_alu 0xfffd
	v_cndmask_b32_e32 v25, v43, v25, vcc_lo
	v_lshlrev_b32_e32 v42, 2, v25
	ds_bpermute_b32 v25, v42, v9
	ds_bpermute_b32 v26, v42, v10
	;; [unrolled: 1-line block ×6, first 2 shown]
	s_wait_dscnt 0x4
	v_add_f64_e32 v[9:10], v[9:10], v[25:26]
	s_wait_dscnt 0x2
	v_add_f64_e32 v[25:26], v[15:16], v[33:34]
	;; [unrolled: 2-line block ×3, first 2 shown]
	v_xor_b32_e32 v23, 1, v43
	s_delay_alu instid0(VALU_DEP_1)
	v_cmp_gt_i32_e32 vcc_lo, 32, v23
	s_wait_alu 0xfffd
	v_cndmask_b32_e32 v23, v43, v23, vcc_lo
	ds_bpermute_b32 v29, v42, v11
	ds_bpermute_b32 v30, v42, v12
	;; [unrolled: 1-line block ×10, first 2 shown]
	v_cmp_eq_u32_e32 vcc_lo, 15, v0
	s_wait_dscnt 0x8
	v_add_f64_e32 v[29:30], v[11:12], v[29:30]
	s_wait_dscnt 0x6
	v_add_f64_e32 v[11:12], v[13:14], v[31:32]
	;; [unrolled: 2-line block ×3, first 2 shown]
	v_lshlrev_b32_e32 v36, 2, v23
	s_wait_dscnt 0x2
	v_add_f64_e32 v[19:20], v[19:20], v[37:38]
	s_wait_dscnt 0x0
	v_add_f64_e32 v[17:18], v[27:28], v[41:42]
	ds_bpermute_b32 v23, v36, v9
	ds_bpermute_b32 v24, v36, v10
	;; [unrolled: 1-line block ×16, first 2 shown]
	s_and_b32 exec_lo, exec_lo, vcc_lo
	s_cbranch_execz .LBB57_8
; %bb.38:
	s_wait_dscnt 0x8
	v_add_f64_e32 v[29:30], v[29:30], v[41:42]
	v_add_f64_e32 v[25:26], v[25:26], v[39:40]
	s_wait_dscnt 0x2
	v_add_f64_e32 v[19:20], v[19:20], v[37:38]
	s_wait_dscnt 0x0
	v_add_f64_e32 v[17:18], v[17:18], v[35:36]
	v_add_f64_e32 v[9:10], v[9:10], v[23:24]
	;; [unrolled: 1-line block ×5, first 2 shown]
	v_cmp_eq_f64_e32 vcc_lo, 0, v[1:2]
	v_cmp_eq_f64_e64 s2, 0, v[3:4]
	s_load_b64 s[0:1], s[0:1], 0x68
	v_lshlrev_b64_e32 v[21:22], 6, v[21:22]
	v_mul_f64_e64 v[13:14], v[29:30], -v[7:8]
	v_mul_f64_e32 v[15:16], v[5:6], v[29:30]
	v_mul_f64_e64 v[29:30], v[25:26], -v[7:8]
	v_mul_f64_e32 v[25:26], v[5:6], v[25:26]
	v_mul_f64_e64 v[31:32], v[19:20], -v[7:8]
	v_mul_f64_e32 v[33:34], v[5:6], v[19:20]
	v_mul_f64_e64 v[35:36], v[17:18], -v[7:8]
	v_mul_f64_e32 v[37:38], v[5:6], v[17:18]
	s_and_b32 s2, vcc_lo, s2
	v_fma_f64 v[17:18], v[5:6], v[9:10], v[13:14]
	v_fma_f64 v[19:20], v[7:8], v[9:10], v[15:16]
	;; [unrolled: 1-line block ×8, first 2 shown]
	s_wait_alu 0xfffe
	s_and_saveexec_b32 s3, s2
	s_wait_alu 0xfffe
	s_xor_b32 s2, exec_lo, s3
	s_cbranch_execz .LBB57_40
; %bb.39:
	s_wait_kmcnt 0x0
	v_add_co_u32 v0, vcc_lo, s0, v21
	s_wait_alu 0xfffd
	v_add_co_ci_u32_e64 v1, null, s1, v22, vcc_lo
                                        ; implicit-def: $vgpr21_vgpr22
	s_clause 0x3
	global_store_b128 v[0:1], v[17:20], off
	global_store_b128 v[0:1], v[13:16], off offset:16
	global_store_b128 v[0:1], v[9:12], off offset:32
	;; [unrolled: 1-line block ×3, first 2 shown]
                                        ; implicit-def: $vgpr3_vgpr4
                                        ; implicit-def: $vgpr17_vgpr18
                                        ; implicit-def: $vgpr13_vgpr14
                                        ; implicit-def: $vgpr9_vgpr10
                                        ; implicit-def: $vgpr5_vgpr6
.LBB57_40:
	s_wait_alu 0xfffe
	s_and_not1_saveexec_b32 s2, s2
	s_cbranch_execz .LBB57_8
; %bb.41:
	s_wait_kmcnt 0x0
	v_add_co_u32 v37, vcc_lo, s0, v21
	s_wait_alu 0xfffd
	v_add_co_ci_u32_e64 v38, null, s1, v22, vcc_lo
	s_clause 0x3
	global_load_b128 v[21:24], v[37:38], off
	global_load_b128 v[25:28], v[37:38], off offset:16
	global_load_b128 v[29:32], v[37:38], off offset:32
	;; [unrolled: 1-line block ×3, first 2 shown]
	s_wait_loadcnt 0x3
	v_fma_f64 v[17:18], v[1:2], v[21:22], v[17:18]
	v_fma_f64 v[19:20], v[3:4], v[21:22], v[19:20]
	s_wait_loadcnt 0x2
	v_fma_f64 v[13:14], v[1:2], v[25:26], v[13:14]
	v_fma_f64 v[15:16], v[3:4], v[25:26], v[15:16]
	;; [unrolled: 3-line block ×4, first 2 shown]
	v_fma_f64 v[5:6], -v[3:4], v[23:24], v[17:18]
	v_fma_f64 v[7:8], v[1:2], v[23:24], v[19:20]
	v_fma_f64 v[9:10], -v[3:4], v[27:28], v[13:14]
	v_fma_f64 v[11:12], v[1:2], v[27:28], v[15:16]
	;; [unrolled: 2-line block ×4, first 2 shown]
	s_clause 0x3
	global_store_b128 v[37:38], v[5:8], off
	global_store_b128 v[37:38], v[9:12], off offset:16
	global_store_b128 v[37:38], v[13:16], off offset:32
	;; [unrolled: 1-line block ×3, first 2 shown]
	s_nop 0
	s_sendmsg sendmsg(MSG_DEALLOC_VGPRS)
	s_endpgm
	.section	.rodata,"a",@progbits
	.p2align	6, 0x0
	.amdhsa_kernel _ZN9rocsparseL18bsrxmvn_4x4_kernelILj128ELj16E21rocsparse_complex_numIdEllS2_S2_S2_EEvT3_20rocsparse_direction_NS_24const_host_device_scalarIT1_EES3_PKS3_PKT2_SC_S9_PKT4_PKT5_S7_PT6_21rocsparse_index_base_b
		.amdhsa_group_segment_fixed_size 0
		.amdhsa_private_segment_fixed_size 0
		.amdhsa_kernarg_size 120
		.amdhsa_user_sgpr_count 2
		.amdhsa_user_sgpr_dispatch_ptr 0
		.amdhsa_user_sgpr_queue_ptr 0
		.amdhsa_user_sgpr_kernarg_segment_ptr 1
		.amdhsa_user_sgpr_dispatch_id 0
		.amdhsa_user_sgpr_private_segment_size 0
		.amdhsa_wavefront_size32 1
		.amdhsa_uses_dynamic_stack 0
		.amdhsa_enable_private_segment 0
		.amdhsa_system_sgpr_workgroup_id_x 1
		.amdhsa_system_sgpr_workgroup_id_y 0
		.amdhsa_system_sgpr_workgroup_id_z 0
		.amdhsa_system_sgpr_workgroup_info 0
		.amdhsa_system_vgpr_workitem_id 0
		.amdhsa_next_free_vgpr 161
		.amdhsa_next_free_sgpr 12
		.amdhsa_reserve_vcc 1
		.amdhsa_float_round_mode_32 0
		.amdhsa_float_round_mode_16_64 0
		.amdhsa_float_denorm_mode_32 3
		.amdhsa_float_denorm_mode_16_64 3
		.amdhsa_fp16_overflow 0
		.amdhsa_workgroup_processor_mode 1
		.amdhsa_memory_ordered 1
		.amdhsa_forward_progress 1
		.amdhsa_inst_pref_size 96
		.amdhsa_round_robin_scheduling 0
		.amdhsa_exception_fp_ieee_invalid_op 0
		.amdhsa_exception_fp_denorm_src 0
		.amdhsa_exception_fp_ieee_div_zero 0
		.amdhsa_exception_fp_ieee_overflow 0
		.amdhsa_exception_fp_ieee_underflow 0
		.amdhsa_exception_fp_ieee_inexact 0
		.amdhsa_exception_int_div_zero 0
	.end_amdhsa_kernel
	.section	.text._ZN9rocsparseL18bsrxmvn_4x4_kernelILj128ELj16E21rocsparse_complex_numIdEllS2_S2_S2_EEvT3_20rocsparse_direction_NS_24const_host_device_scalarIT1_EES3_PKS3_PKT2_SC_S9_PKT4_PKT5_S7_PT6_21rocsparse_index_base_b,"axG",@progbits,_ZN9rocsparseL18bsrxmvn_4x4_kernelILj128ELj16E21rocsparse_complex_numIdEllS2_S2_S2_EEvT3_20rocsparse_direction_NS_24const_host_device_scalarIT1_EES3_PKS3_PKT2_SC_S9_PKT4_PKT5_S7_PT6_21rocsparse_index_base_b,comdat
.Lfunc_end57:
	.size	_ZN9rocsparseL18bsrxmvn_4x4_kernelILj128ELj16E21rocsparse_complex_numIdEllS2_S2_S2_EEvT3_20rocsparse_direction_NS_24const_host_device_scalarIT1_EES3_PKS3_PKT2_SC_S9_PKT4_PKT5_S7_PT6_21rocsparse_index_base_b, .Lfunc_end57-_ZN9rocsparseL18bsrxmvn_4x4_kernelILj128ELj16E21rocsparse_complex_numIdEllS2_S2_S2_EEvT3_20rocsparse_direction_NS_24const_host_device_scalarIT1_EES3_PKS3_PKT2_SC_S9_PKT4_PKT5_S7_PT6_21rocsparse_index_base_b
                                        ; -- End function
	.set _ZN9rocsparseL18bsrxmvn_4x4_kernelILj128ELj16E21rocsparse_complex_numIdEllS2_S2_S2_EEvT3_20rocsparse_direction_NS_24const_host_device_scalarIT1_EES3_PKS3_PKT2_SC_S9_PKT4_PKT5_S7_PT6_21rocsparse_index_base_b.num_vgpr, 161
	.set _ZN9rocsparseL18bsrxmvn_4x4_kernelILj128ELj16E21rocsparse_complex_numIdEllS2_S2_S2_EEvT3_20rocsparse_direction_NS_24const_host_device_scalarIT1_EES3_PKS3_PKT2_SC_S9_PKT4_PKT5_S7_PT6_21rocsparse_index_base_b.num_agpr, 0
	.set _ZN9rocsparseL18bsrxmvn_4x4_kernelILj128ELj16E21rocsparse_complex_numIdEllS2_S2_S2_EEvT3_20rocsparse_direction_NS_24const_host_device_scalarIT1_EES3_PKS3_PKT2_SC_S9_PKT4_PKT5_S7_PT6_21rocsparse_index_base_b.numbered_sgpr, 12
	.set _ZN9rocsparseL18bsrxmvn_4x4_kernelILj128ELj16E21rocsparse_complex_numIdEllS2_S2_S2_EEvT3_20rocsparse_direction_NS_24const_host_device_scalarIT1_EES3_PKS3_PKT2_SC_S9_PKT4_PKT5_S7_PT6_21rocsparse_index_base_b.num_named_barrier, 0
	.set _ZN9rocsparseL18bsrxmvn_4x4_kernelILj128ELj16E21rocsparse_complex_numIdEllS2_S2_S2_EEvT3_20rocsparse_direction_NS_24const_host_device_scalarIT1_EES3_PKS3_PKT2_SC_S9_PKT4_PKT5_S7_PT6_21rocsparse_index_base_b.private_seg_size, 0
	.set _ZN9rocsparseL18bsrxmvn_4x4_kernelILj128ELj16E21rocsparse_complex_numIdEllS2_S2_S2_EEvT3_20rocsparse_direction_NS_24const_host_device_scalarIT1_EES3_PKS3_PKT2_SC_S9_PKT4_PKT5_S7_PT6_21rocsparse_index_base_b.uses_vcc, 1
	.set _ZN9rocsparseL18bsrxmvn_4x4_kernelILj128ELj16E21rocsparse_complex_numIdEllS2_S2_S2_EEvT3_20rocsparse_direction_NS_24const_host_device_scalarIT1_EES3_PKS3_PKT2_SC_S9_PKT4_PKT5_S7_PT6_21rocsparse_index_base_b.uses_flat_scratch, 0
	.set _ZN9rocsparseL18bsrxmvn_4x4_kernelILj128ELj16E21rocsparse_complex_numIdEllS2_S2_S2_EEvT3_20rocsparse_direction_NS_24const_host_device_scalarIT1_EES3_PKS3_PKT2_SC_S9_PKT4_PKT5_S7_PT6_21rocsparse_index_base_b.has_dyn_sized_stack, 0
	.set _ZN9rocsparseL18bsrxmvn_4x4_kernelILj128ELj16E21rocsparse_complex_numIdEllS2_S2_S2_EEvT3_20rocsparse_direction_NS_24const_host_device_scalarIT1_EES3_PKS3_PKT2_SC_S9_PKT4_PKT5_S7_PT6_21rocsparse_index_base_b.has_recursion, 0
	.set _ZN9rocsparseL18bsrxmvn_4x4_kernelILj128ELj16E21rocsparse_complex_numIdEllS2_S2_S2_EEvT3_20rocsparse_direction_NS_24const_host_device_scalarIT1_EES3_PKS3_PKT2_SC_S9_PKT4_PKT5_S7_PT6_21rocsparse_index_base_b.has_indirect_call, 0
	.section	.AMDGPU.csdata,"",@progbits
; Kernel info:
; codeLenInByte = 12196
; TotalNumSgprs: 14
; NumVgprs: 161
; ScratchSize: 0
; MemoryBound: 1
; FloatMode: 240
; IeeeMode: 1
; LDSByteSize: 0 bytes/workgroup (compile time only)
; SGPRBlocks: 0
; VGPRBlocks: 20
; NumSGPRsForWavesPerEU: 14
; NumVGPRsForWavesPerEU: 161
; Occupancy: 9
; WaveLimiterHint : 1
; COMPUTE_PGM_RSRC2:SCRATCH_EN: 0
; COMPUTE_PGM_RSRC2:USER_SGPR: 2
; COMPUTE_PGM_RSRC2:TRAP_HANDLER: 0
; COMPUTE_PGM_RSRC2:TGID_X_EN: 1
; COMPUTE_PGM_RSRC2:TGID_Y_EN: 0
; COMPUTE_PGM_RSRC2:TGID_Z_EN: 0
; COMPUTE_PGM_RSRC2:TIDIG_COMP_CNT: 0
	.section	.text._ZN9rocsparseL18bsrxmvn_4x4_kernelILj128ELj32E21rocsparse_complex_numIdEllS2_S2_S2_EEvT3_20rocsparse_direction_NS_24const_host_device_scalarIT1_EES3_PKS3_PKT2_SC_S9_PKT4_PKT5_S7_PT6_21rocsparse_index_base_b,"axG",@progbits,_ZN9rocsparseL18bsrxmvn_4x4_kernelILj128ELj32E21rocsparse_complex_numIdEllS2_S2_S2_EEvT3_20rocsparse_direction_NS_24const_host_device_scalarIT1_EES3_PKS3_PKT2_SC_S9_PKT4_PKT5_S7_PT6_21rocsparse_index_base_b,comdat
	.globl	_ZN9rocsparseL18bsrxmvn_4x4_kernelILj128ELj32E21rocsparse_complex_numIdEllS2_S2_S2_EEvT3_20rocsparse_direction_NS_24const_host_device_scalarIT1_EES3_PKS3_PKT2_SC_S9_PKT4_PKT5_S7_PT6_21rocsparse_index_base_b ; -- Begin function _ZN9rocsparseL18bsrxmvn_4x4_kernelILj128ELj32E21rocsparse_complex_numIdEllS2_S2_S2_EEvT3_20rocsparse_direction_NS_24const_host_device_scalarIT1_EES3_PKS3_PKT2_SC_S9_PKT4_PKT5_S7_PT6_21rocsparse_index_base_b
	.p2align	8
	.type	_ZN9rocsparseL18bsrxmvn_4x4_kernelILj128ELj32E21rocsparse_complex_numIdEllS2_S2_S2_EEvT3_20rocsparse_direction_NS_24const_host_device_scalarIT1_EES3_PKS3_PKT2_SC_S9_PKT4_PKT5_S7_PT6_21rocsparse_index_base_b,@function
_ZN9rocsparseL18bsrxmvn_4x4_kernelILj128ELj32E21rocsparse_complex_numIdEllS2_S2_S2_EEvT3_20rocsparse_direction_NS_24const_host_device_scalarIT1_EES3_PKS3_PKT2_SC_S9_PKT4_PKT5_S7_PT6_21rocsparse_index_base_b: ; @_ZN9rocsparseL18bsrxmvn_4x4_kernelILj128ELj32E21rocsparse_complex_numIdEllS2_S2_S2_EEvT3_20rocsparse_direction_NS_24const_host_device_scalarIT1_EES3_PKS3_PKT2_SC_S9_PKT4_PKT5_S7_PT6_21rocsparse_index_base_b
; %bb.0:
	s_clause 0x1
	s_load_b64 s[4:5], s[0:1], 0x70
	s_load_b64 s[2:3], s[0:1], 0x10
	s_add_nc_u64 s[6:7], s[0:1], 16
	s_load_b64 s[8:9], s[0:1], 0x58
	s_wait_kmcnt 0x0
	s_bitcmp1_b32 s5, 0
	s_cselect_b32 s2, s6, s2
	s_cselect_b32 s3, s7, s3
	s_delay_alu instid0(SALU_CYCLE_1)
	v_dual_mov_b32 v1, s2 :: v_dual_mov_b32 v2, s3
	s_add_nc_u64 s[2:3], s[0:1], 0x58
	s_wait_alu 0xfffe
	s_cselect_b32 s2, s2, s8
	s_cselect_b32 s3, s3, s9
	flat_load_b128 v[5:8], v[1:2]
	s_wait_alu 0xfffe
	v_dual_mov_b32 v1, s2 :: v_dual_mov_b32 v2, s3
	flat_load_b128 v[1:4], v[1:2]
	s_wait_loadcnt_dscnt 0x101
	v_cmp_eq_f64_e32 vcc_lo, 0, v[5:6]
	v_cmp_eq_f64_e64 s2, 0, v[7:8]
	s_and_b32 s5, vcc_lo, s2
	s_mov_b32 s2, -1
	s_and_saveexec_b32 s3, s5
	s_cbranch_execz .LBB58_2
; %bb.1:
	s_wait_loadcnt_dscnt 0x0
	v_cmp_neq_f64_e32 vcc_lo, 1.0, v[1:2]
	v_cmp_neq_f64_e64 s2, 0, v[3:4]
	s_wait_alu 0xfffe
	s_or_b32 s2, vcc_lo, s2
	s_wait_alu 0xfffe
	s_or_not1_b32 s2, s2, exec_lo
.LBB58_2:
	s_wait_alu 0xfffe
	s_or_b32 exec_lo, exec_lo, s3
	s_and_saveexec_b32 s3, s2
	s_cbranch_execz .LBB58_8
; %bb.3:
	s_load_b64 s[2:3], s[0:1], 0x28
	v_lshrrev_b32_e32 v9, 5, v0
	v_mov_b32_e32 v12, 0
	s_delay_alu instid0(VALU_DEP_2)
	v_lshl_or_b32 v11, ttmp9, 2, v9
	s_wait_kmcnt 0x0
	s_cmp_lg_u64 s[2:3], 0
	s_cbranch_scc0 .LBB58_9
; %bb.4:
	s_load_b64 s[6:7], s[0:1], 0x20
                                        ; implicit-def: $vgpr21_vgpr22
                                        ; implicit-def: $vgpr9_vgpr10
	s_wait_kmcnt 0x0
	v_cmp_gt_i64_e32 vcc_lo, s[6:7], v[11:12]
	s_mov_b32 s7, 0
	s_mov_b32 s6, 0
	s_and_saveexec_b32 s5, vcc_lo
	s_delay_alu instid0(SALU_CYCLE_1)
	s_xor_b32 s8, exec_lo, s5
	s_cbranch_execz .LBB58_6
; %bb.5:
	v_lshlrev_b64_e32 v[9:10], 3, v[11:12]
	s_mov_b32 s5, 0
	s_mov_b32 s6, exec_lo
	s_delay_alu instid0(VALU_DEP_1) | instskip(NEXT) | instid1(VALU_DEP_1)
	v_add_co_u32 v9, vcc_lo, s2, v9
	v_add_co_ci_u32_e64 v10, null, s3, v10, vcc_lo
	global_load_b64 v[9:10], v[9:10], off
	s_wait_loadcnt 0x0
	v_sub_co_u32 v21, vcc_lo, v9, s4
	s_wait_alu 0xfffd
	v_subrev_co_ci_u32_e64 v22, null, 0, v10, vcc_lo
	v_dual_mov_b32 v10, s5 :: v_dual_mov_b32 v9, s4
.LBB58_6:
	s_or_b32 exec_lo, exec_lo, s8
	s_wait_alu 0xfffe
	s_and_b32 vcc_lo, exec_lo, s7
	s_wait_alu 0xfffe
	s_cbranch_vccnz .LBB58_10
.LBB58_7:
	s_and_b32 exec_lo, exec_lo, s6
	s_cbranch_execnz .LBB58_13
.LBB58_8:
	s_nop 0
	s_sendmsg sendmsg(MSG_DEALLOC_VGPRS)
	s_endpgm
.LBB58_9:
	s_mov_b32 s6, 0
                                        ; implicit-def: $vgpr21_vgpr22
                                        ; implicit-def: $vgpr9_vgpr10
	s_cbranch_execz .LBB58_7
.LBB58_10:
	s_load_b64 s[2:3], s[0:1], 0x0
	s_wait_kmcnt 0x0
	v_cmp_gt_i64_e32 vcc_lo, s[2:3], v[11:12]
	s_and_saveexec_b32 s2, vcc_lo
; %bb.11:
	s_mov_b32 s5, 0
	s_or_b32 s6, s6, exec_lo
; %bb.12:
	s_wait_alu 0xfffe
	s_or_b32 exec_lo, exec_lo, s2
	v_dual_mov_b32 v10, s5 :: v_dual_mov_b32 v9, s4
	v_dual_mov_b32 v22, v12 :: v_dual_mov_b32 v21, v11
	s_and_b32 exec_lo, exec_lo, s6
	s_cbranch_execz .LBB58_8
.LBB58_13:
	s_load_b256 s[4:11], s[0:1], 0x30
	s_delay_alu instid0(VALU_DEP_1) | instskip(SKIP_3) | instid1(VALU_DEP_2)
	v_lshlrev_b64_e32 v[11:12], 3, v[21:22]
	v_and_b32_e32 v0, 31, v0
	s_load_b32 s3, s[0:1], 0x8
	s_wait_kmcnt 0x0
	v_add_co_u32 v13, vcc_lo, s4, v11
	s_wait_alu 0xfffd
	v_add_co_ci_u32_e64 v14, null, s5, v12, vcc_lo
	v_add_co_u32 v11, vcc_lo, s6, v11
	s_wait_alu 0xfffd
	v_add_co_ci_u32_e64 v12, null, s7, v12, vcc_lo
	v_add_co_u32 v15, vcc_lo, v13, 8
	global_load_b64 v[35:36], v[13:14], off
	s_wait_alu 0xfffd
	v_add_co_ci_u32_e64 v16, null, 0, v14, vcc_lo
	s_cmp_eq_u64 s[6:7], 0
	s_load_b64 s[6:7], s[0:1], 0x50
	s_cselect_b32 vcc_lo, -1, 0
	s_cmp_eq_u32 s3, 1
	s_wait_alu 0xfffe
	v_dual_cndmask_b32 v12, v12, v16 :: v_dual_cndmask_b32 v11, v11, v15
	global_load_b64 v[13:14], v[11:12], off
	s_wait_loadcnt 0x1
	v_sub_co_u32 v11, vcc_lo, v35, v9
	s_wait_alu 0xfffd
	v_sub_co_ci_u32_e64 v12, null, v36, v10, vcc_lo
	s_delay_alu instid0(VALU_DEP_2) | instskip(SKIP_1) | instid1(VALU_DEP_2)
	v_add_co_u32 v11, vcc_lo, v11, v0
	s_wait_alu 0xfffd
	v_add_co_ci_u32_e64 v12, null, 0, v12, vcc_lo
	s_delay_alu instid0(VALU_DEP_1) | instskip(SKIP_4) | instid1(VALU_DEP_3)
	v_lshlrev_b64_e32 v[15:16], 8, v[11:12]
	s_wait_loadcnt 0x0
	v_sub_co_u32 v13, vcc_lo, v13, v9
	s_wait_alu 0xfffd
	v_sub_co_ci_u32_e64 v14, null, v14, v10, vcc_lo
	v_add_co_u32 v15, vcc_lo, s10, v15
	s_delay_alu instid0(VALU_DEP_2)
	v_cmp_lt_i64_e64 s2, v[11:12], v[13:14]
	s_wait_alu 0xfffd
	v_add_co_ci_u32_e64 v16, null, s11, v16, vcc_lo
	s_cbranch_scc1 .LBB58_25
; %bb.14:
	v_mov_b32_e32 v17, 0
	v_mov_b32_e32 v23, 0
	;; [unrolled: 1-line block ×3, first 2 shown]
	v_dual_mov_b32 v33, 0 :: v_dual_mov_b32 v18, 0
	v_dual_mov_b32 v25, 0 :: v_dual_mov_b32 v24, 0
	;; [unrolled: 1-line block ×5, first 2 shown]
	v_mov_b32_e32 v28, 0
	v_mov_b32_e32 v30, 0
	;; [unrolled: 1-line block ×3, first 2 shown]
	s_and_saveexec_b32 s5, s2
	s_cbranch_execz .LBB58_24
; %bb.15:
	v_or_b32_e32 v17, 32, v0
	v_not_b32_e32 v24, v35
	v_dual_mov_b32 v38, 0 :: v_dual_mov_b32 v19, 0
	v_not_b32_e32 v23, v36
	s_delay_alu instid0(VALU_DEP_4) | instskip(SKIP_3) | instid1(VALU_DEP_3)
	v_sub_co_u32 v17, vcc_lo, v17, v9
	s_wait_alu 0xfffd
	v_sub_co_ci_u32_e64 v18, null, 0, v10, vcc_lo
	v_mov_b32_e32 v27, 0
	v_add_co_u32 v17, vcc_lo, v17, v35
	s_wait_alu 0xfffd
	s_delay_alu instid0(VALU_DEP_3) | instskip(SKIP_3) | instid1(VALU_DEP_3)
	v_add_co_ci_u32_e64 v18, null, v18, v36, vcc_lo
	v_sub_co_u32 v25, vcc_lo, v9, v0
	s_wait_alu 0xfffd
	v_subrev_co_ci_u32_e64 v26, null, 0, v10, vcc_lo
	v_cmp_gt_i64_e32 vcc_lo, v[17:18], v[13:14]
	v_mov_b32_e32 v20, 0
	v_add_co_u32 v24, s3, v25, v24
	s_wait_alu 0xf1ff
	v_add_co_ci_u32_e64 v23, null, v26, v23, s3
	s_wait_alu 0xfffd
	v_dual_cndmask_b32 v17, v13, v17 :: v_dual_cndmask_b32 v18, v14, v18
	v_mov_b32_e32 v33, 0
	v_dual_mov_b32 v34, 0 :: v_dual_mov_b32 v29, 0
	s_delay_alu instid0(VALU_DEP_3) | instskip(SKIP_1) | instid1(VALU_DEP_2)
	v_add_co_u32 v41, vcc_lo, v24, v17
	v_dual_mov_b32 v30, 0 :: v_dual_mov_b32 v31, 0
	v_dual_mov_b32 v32, 0 :: v_dual_and_b32 v37, 0x60, v41
	v_mov_b32_e32 v25, 0
	s_wait_alu 0xfffd
	v_add_co_ci_u32_e64 v42, null, v23, v18, vcc_lo
	v_dual_mov_b32 v28, 0 :: v_dual_mov_b32 v23, 0
	v_dual_mov_b32 v26, 0 :: v_dual_mov_b32 v17, 0
	v_cmp_ne_u64_e32 vcc_lo, 0x60, v[37:38]
	v_mov_b32_e32 v24, 0
	v_mov_b32_e32 v18, 0
	v_dual_mov_b32 v40, v16 :: v_dual_mov_b32 v39, v15
	v_dual_mov_b32 v38, v12 :: v_dual_mov_b32 v37, v11
	s_and_saveexec_b32 s4, vcc_lo
	s_cbranch_execz .LBB58_19
; %bb.16:
	v_lshrrev_b32_e32 v17, 5, v41
	v_lshlrev_b64_e32 v[19:20], 3, v[11:12]
	v_mov_b32_e32 v31, 0
	v_mov_b32_e32 v25, 0
	;; [unrolled: 1-line block ×3, first 2 shown]
	v_add_nc_u32_e32 v27, 1, v17
	v_dual_mov_b32 v17, 0 :: v_dual_mov_b32 v38, v12
	v_mov_b32_e32 v18, 0
	v_add_co_u32 v43, vcc_lo, s8, v19
	s_delay_alu instid0(VALU_DEP_4) | instskip(SKIP_3) | instid1(VALU_DEP_3)
	v_dual_mov_b32 v32, 0 :: v_dual_and_b32 v27, 3, v27
	s_wait_alu 0xfffd
	v_add_co_ci_u32_e64 v44, null, s9, v20, vcc_lo
	v_mov_b32_e32 v29, 0
	v_sub_co_u32 v45, s3, 0, v27
	v_dual_mov_b32 v27, 0 :: v_dual_mov_b32 v30, 0
	v_dual_mov_b32 v33, 0 :: v_dual_mov_b32 v40, v16
	v_mov_b32_e32 v19, 0
	v_dual_mov_b32 v37, v11 :: v_dual_mov_b32 v26, 0
	v_mov_b32_e32 v24, 0
	s_wait_alu 0xf1ff
	v_sub_co_ci_u32_e64 v46, null, 0, 0, s3
	v_mov_b32_e32 v28, 0
	v_mov_b32_e32 v34, 0
	v_dual_mov_b32 v20, 0 :: v_dual_mov_b32 v39, v15
	s_mov_b32 s10, 0
.LBB58_17:                              ; =>This Inner Loop Header: Depth=1
	global_load_b64 v[79:80], v[43:44], off
	s_clause 0x7
	global_load_b128 v[47:50], v[39:40], off offset:16
	global_load_b128 v[51:54], v[39:40], off
	global_load_b128 v[55:58], v[39:40], off offset:80
	global_load_b128 v[59:62], v[39:40], off offset:64
	;; [unrolled: 1-line block ×6, first 2 shown]
	v_add_co_u32 v43, s3, 0x100, v43
	s_wait_alu 0xf1ff
	v_add_co_ci_u32_e64 v44, null, 0, v44, s3
	s_wait_loadcnt 0x8
	v_sub_co_u32 v79, vcc_lo, v79, v9
	s_wait_alu 0xfffd
	v_sub_co_ci_u32_e64 v80, null, v80, v10, vcc_lo
	s_delay_alu instid0(VALU_DEP_1) | instskip(SKIP_1) | instid1(VALU_DEP_1)
	v_lshlrev_b64_e32 v[79:80], 6, v[79:80]
	s_wait_kmcnt 0x0
	v_add_co_u32 v123, vcc_lo, s6, v79
	s_wait_alu 0xfffd
	s_delay_alu instid0(VALU_DEP_2)
	v_add_co_ci_u32_e64 v124, null, s7, v80, vcc_lo
	s_clause 0x1
	global_load_b128 v[79:82], v[123:124], off
	global_load_b128 v[83:86], v[123:124], off offset:16
	s_clause 0x7
	global_load_b128 v[87:90], v[39:40], off offset:48
	global_load_b128 v[91:94], v[39:40], off offset:32
	;; [unrolled: 1-line block ×8, first 2 shown]
	s_clause 0x1
	global_load_b128 v[119:122], v[123:124], off offset:32
	global_load_b128 v[123:126], v[123:124], off offset:48
	v_add_co_u32 v39, vcc_lo, 0x2000, v39
	s_wait_alu 0xfffd
	v_add_co_ci_u32_e64 v40, null, 0, v40, vcc_lo
	v_add_co_u32 v45, vcc_lo, v45, 1
	s_wait_alu 0xfffd
	v_add_co_ci_u32_e64 v46, null, 0, v46, vcc_lo
	;; [unrolled: 3-line block ×3, first 2 shown]
	s_delay_alu instid0(VALU_DEP_3)
	v_cmp_eq_u64_e32 vcc_lo, 0, v[45:46]
	s_wait_alu 0xfffe
	s_or_b32 s10, vcc_lo, s10
	s_wait_loadcnt 0xb
	v_fma_f64 v[25:26], v[51:52], v[79:80], v[25:26]
	v_fma_f64 v[17:18], v[53:54], v[79:80], v[17:18]
	v_fma_f64 v[33:34], v[59:60], v[79:80], v[33:34]
	v_fma_f64 v[19:20], v[61:62], v[79:80], v[19:20]
	v_fma_f64 v[31:32], v[67:68], v[79:80], v[31:32]
	v_fma_f64 v[29:30], v[69:70], v[79:80], v[29:30]
	v_fma_f64 v[23:24], v[75:76], v[79:80], v[23:24]
	v_fma_f64 v[27:28], v[77:78], v[79:80], v[27:28]
	v_fma_f64 v[25:26], -v[53:54], v[81:82], v[25:26]
	v_fma_f64 v[17:18], v[51:52], v[81:82], v[17:18]
	v_fma_f64 v[33:34], -v[61:62], v[81:82], v[33:34]
	v_fma_f64 v[19:20], v[59:60], v[81:82], v[19:20]
	v_fma_f64 v[31:32], -v[69:70], v[81:82], v[31:32]
	v_fma_f64 v[29:30], v[67:68], v[81:82], v[29:30]
	v_fma_f64 v[23:24], -v[77:78], v[81:82], v[23:24]
	v_fma_f64 v[27:28], v[75:76], v[81:82], v[27:28]
	s_wait_loadcnt 0xa
	v_fma_f64 v[25:26], v[47:48], v[83:84], v[25:26]
	v_fma_f64 v[17:18], v[49:50], v[83:84], v[17:18]
	v_fma_f64 v[33:34], v[55:56], v[83:84], v[33:34]
	v_fma_f64 v[19:20], v[57:58], v[83:84], v[19:20]
	v_fma_f64 v[31:32], v[63:64], v[83:84], v[31:32]
	v_fma_f64 v[29:30], v[65:66], v[83:84], v[29:30]
	v_fma_f64 v[23:24], v[71:72], v[83:84], v[23:24]
	v_fma_f64 v[27:28], v[73:74], v[83:84], v[27:28]
	v_fma_f64 v[25:26], -v[49:50], v[85:86], v[25:26]
	v_fma_f64 v[17:18], v[47:48], v[85:86], v[17:18]
	v_fma_f64 v[33:34], -v[57:58], v[85:86], v[33:34]
	v_fma_f64 v[19:20], v[55:56], v[85:86], v[19:20]
	v_fma_f64 v[31:32], -v[65:66], v[85:86], v[31:32]
	v_fma_f64 v[29:30], v[63:64], v[85:86], v[29:30]
	v_fma_f64 v[23:24], -v[73:74], v[85:86], v[23:24]
	v_fma_f64 v[27:28], v[71:72], v[85:86], v[27:28]
	;; [unrolled: 17-line block ×4, first 2 shown]
	s_wait_alu 0xfffe
	s_and_not1_b32 exec_lo, exec_lo, s10
	s_cbranch_execnz .LBB58_17
; %bb.18:
	s_or_b32 exec_lo, exec_lo, s10
.LBB58_19:
	s_wait_alu 0xfffe
	s_or_b32 exec_lo, exec_lo, s4
	s_delay_alu instid0(SALU_CYCLE_1)
	s_mov_b32 s10, exec_lo
	v_cmpx_lt_u64_e32 0x5f, v[41:42]
	s_cbranch_execz .LBB58_23
; %bb.20:
	v_lshlrev_b64_e32 v[41:42], 3, v[37:38]
	s_mov_b32 s11, 0
	s_delay_alu instid0(VALU_DEP_1) | instskip(SKIP_1) | instid1(VALU_DEP_2)
	v_add_co_u32 v41, vcc_lo, s8, v41
	s_wait_alu 0xfffd
	v_add_co_ci_u32_e64 v42, null, s9, v42, vcc_lo
	s_delay_alu instid0(VALU_DEP_2) | instskip(SKIP_1) | instid1(VALU_DEP_2)
	v_add_co_u32 v41, vcc_lo, 0x200, v41
	s_wait_alu 0xfffd
	v_add_co_ci_u32_e64 v42, null, 0, v42, vcc_lo
.LBB58_21:                              ; =>This Inner Loop Header: Depth=1
	s_clause 0x1
	global_load_b64 v[43:44], v[41:42], off offset:-512
	global_load_b64 v[141:142], v[41:42], off offset:-256
	s_clause 0x3
	global_load_b128 v[45:48], v[39:40], off
	global_load_b128 v[49:52], v[39:40], off offset:64
	global_load_b128 v[53:56], v[39:40], off offset:128
	;; [unrolled: 1-line block ×3, first 2 shown]
	s_wait_loadcnt 0x5
	v_sub_co_u32 v43, vcc_lo, v43, v9
	s_wait_alu 0xfffd
	v_sub_co_ci_u32_e64 v44, null, v44, v10, vcc_lo
	s_delay_alu instid0(VALU_DEP_1) | instskip(SKIP_1) | instid1(VALU_DEP_1)
	v_lshlrev_b64_e32 v[43:44], 6, v[43:44]
	s_wait_kmcnt 0x0
	v_add_co_u32 v43, vcc_lo, s6, v43
	s_wait_alu 0xfffd
	s_delay_alu instid0(VALU_DEP_2)
	v_add_co_ci_u32_e64 v44, null, s7, v44, vcc_lo
	global_load_b128 v[61:64], v[43:44], off
	s_clause 0x3
	global_load_b128 v[65:68], v[39:40], off offset:16
	global_load_b128 v[69:72], v[39:40], off offset:80
	global_load_b128 v[73:76], v[39:40], off offset:144
	global_load_b128 v[77:80], v[39:40], off offset:208
	global_load_b128 v[81:84], v[43:44], off offset:16
	s_clause 0x3
	global_load_b128 v[85:88], v[39:40], off offset:32
	global_load_b128 v[89:92], v[39:40], off offset:96
	global_load_b128 v[93:96], v[39:40], off offset:160
	global_load_b128 v[97:100], v[39:40], off offset:224
	global_load_b128 v[101:104], v[43:44], off offset:32
	;; [unrolled: 6-line block ×3, first 2 shown]
	global_load_b64 v[145:146], v[41:42], off
	s_clause 0x3
	global_load_b128 v[125:128], v[39:40], off offset:8192
	global_load_b128 v[129:132], v[39:40], off offset:8256
	;; [unrolled: 1-line block ×4, first 2 shown]
	s_wait_loadcnt 0x19
	v_sub_co_u32 v43, vcc_lo, v141, v9
	s_wait_alu 0xfffd
	v_sub_co_ci_u32_e64 v44, null, v142, v10, vcc_lo
	s_delay_alu instid0(VALU_DEP_1) | instskip(NEXT) | instid1(VALU_DEP_1)
	v_lshlrev_b64_e32 v[43:44], 6, v[43:44]
	v_add_co_u32 v147, vcc_lo, s6, v43
	s_wait_alu 0xfffd
	s_delay_alu instid0(VALU_DEP_2)
	v_add_co_ci_u32_e64 v148, null, s7, v44, vcc_lo
	global_load_b128 v[141:144], v[147:148], off
	s_wait_loadcnt 0x15
	v_fma_f64 v[25:26], v[45:46], v[61:62], v[25:26]
	v_fma_f64 v[17:18], v[47:48], v[61:62], v[17:18]
	;; [unrolled: 1-line block ×8, first 2 shown]
	s_wait_loadcnt 0x5
	v_sub_co_u32 v145, vcc_lo, v145, v9
	s_wait_alu 0xfffd
	v_sub_co_ci_u32_e64 v146, null, v146, v10, vcc_lo
	v_fma_f64 v[47:48], -v[47:48], v[63:64], v[25:26]
	v_fma_f64 v[61:62], v[45:46], v[63:64], v[17:18]
	v_fma_f64 v[51:52], -v[51:52], v[63:64], v[33:34]
	v_fma_f64 v[49:50], v[49:50], v[63:64], v[19:20]
	v_fma_f64 v[55:56], -v[55:56], v[63:64], v[31:32]
	v_fma_f64 v[53:54], v[53:54], v[63:64], v[29:30]
	v_fma_f64 v[59:60], -v[59:60], v[63:64], v[23:24]
	v_fma_f64 v[57:58], v[57:58], v[63:64], v[27:28]
	s_clause 0x3
	global_load_b128 v[17:20], v[39:40], off offset:8208
	global_load_b128 v[23:26], v[39:40], off offset:8272
	global_load_b128 v[27:30], v[39:40], off offset:8336
	global_load_b128 v[31:34], v[39:40], off offset:8400
	global_load_b128 v[43:46], v[147:148], off offset:16
	v_fma_f64 v[47:48], v[65:66], v[81:82], v[47:48]
	v_fma_f64 v[61:62], v[67:68], v[81:82], v[61:62]
	v_fma_f64 v[51:52], v[69:70], v[81:82], v[51:52]
	v_fma_f64 v[49:50], v[71:72], v[81:82], v[49:50]
	v_fma_f64 v[55:56], v[73:74], v[81:82], v[55:56]
	v_fma_f64 v[53:54], v[75:76], v[81:82], v[53:54]
	v_fma_f64 v[59:60], v[77:78], v[81:82], v[59:60]
	v_fma_f64 v[57:58], v[79:80], v[81:82], v[57:58]
	v_fma_f64 v[67:68], -v[67:68], v[83:84], v[47:48]
	v_fma_f64 v[81:82], v[65:66], v[83:84], v[61:62]
	v_fma_f64 v[71:72], -v[71:72], v[83:84], v[51:52]
	v_fma_f64 v[69:70], v[69:70], v[83:84], v[49:50]
	v_fma_f64 v[75:76], -v[75:76], v[83:84], v[55:56]
	v_fma_f64 v[73:74], v[73:74], v[83:84], v[53:54]
	v_fma_f64 v[79:80], -v[79:80], v[83:84], v[59:60]
	v_fma_f64 v[77:78], v[77:78], v[83:84], v[57:58]
	s_clause 0x3
	global_load_b128 v[47:50], v[39:40], off offset:8224
	global_load_b128 v[51:54], v[39:40], off offset:8288
	global_load_b128 v[55:58], v[39:40], off offset:8352
	global_load_b128 v[59:62], v[39:40], off offset:8416
	global_load_b128 v[63:66], v[147:148], off offset:32
	v_fma_f64 v[67:68], v[85:86], v[101:102], v[67:68]
	v_fma_f64 v[81:82], v[87:88], v[101:102], v[81:82]
	v_fma_f64 v[71:72], v[89:90], v[101:102], v[71:72]
	v_fma_f64 v[69:70], v[91:92], v[101:102], v[69:70]
	v_fma_f64 v[75:76], v[93:94], v[101:102], v[75:76]
	v_fma_f64 v[73:74], v[95:96], v[101:102], v[73:74]
	v_fma_f64 v[79:80], v[97:98], v[101:102], v[79:80]
	v_fma_f64 v[77:78], v[99:100], v[101:102], v[77:78]
	;; [unrolled: 22-line block ×3, first 2 shown]
	global_load_b64 v[159:160], v[41:42], off offset:256
	s_clause 0x3
	global_load_b128 v[87:90], v[39:40], off offset:16384
	global_load_b128 v[91:94], v[39:40], off offset:16448
	;; [unrolled: 1-line block ×4, first 2 shown]
	v_add_co_u32 v41, s3, 0x400, v41
	s_wait_alu 0xf1ff
	v_add_co_ci_u32_e64 v42, null, 0, v42, s3
	v_fma_f64 v[107:108], -v[107:108], v[123:124], v[103:104]
	v_fma_f64 v[147:148], v[105:106], v[123:124], v[147:148]
	v_fma_f64 v[111:112], -v[111:112], v[123:124], v[149:150]
	v_fma_f64 v[109:110], v[109:110], v[123:124], v[151:152]
	v_fma_f64 v[115:116], -v[115:116], v[123:124], v[153:154]
	v_fma_f64 v[113:114], v[113:114], v[123:124], v[155:156]
	v_fma_f64 v[119:120], -v[119:120], v[123:124], v[157:158]
	v_fma_f64 v[117:118], v[117:118], v[123:124], v[121:122]
	v_lshlrev_b64_e32 v[103:104], 6, v[145:146]
	s_delay_alu instid0(VALU_DEP_1) | instskip(SKIP_1) | instid1(VALU_DEP_2)
	v_add_co_u32 v145, vcc_lo, s6, v103
	s_wait_alu 0xfffd
	v_add_co_ci_u32_e64 v146, null, s7, v104, vcc_lo
	global_load_b128 v[103:106], v[145:146], off
	s_wait_loadcnt 0x15
	v_fma_f64 v[107:108], v[125:126], v[141:142], v[107:108]
	v_fma_f64 v[121:122], v[127:128], v[141:142], v[147:148]
	v_fma_f64 v[111:112], v[129:130], v[141:142], v[111:112]
	v_fma_f64 v[109:110], v[131:132], v[141:142], v[109:110]
	v_fma_f64 v[115:116], v[133:134], v[141:142], v[115:116]
	v_fma_f64 v[113:114], v[135:136], v[141:142], v[113:114]
	v_fma_f64 v[119:120], v[137:138], v[141:142], v[119:120]
	v_fma_f64 v[117:118], v[139:140], v[141:142], v[117:118]
	v_fma_f64 v[127:128], -v[127:128], v[143:144], v[107:108]
	v_fma_f64 v[141:142], v[125:126], v[143:144], v[121:122]
	v_fma_f64 v[131:132], -v[131:132], v[143:144], v[111:112]
	v_fma_f64 v[129:130], v[129:130], v[143:144], v[109:110]
	v_fma_f64 v[135:136], -v[135:136], v[143:144], v[115:116]
	v_fma_f64 v[133:134], v[133:134], v[143:144], v[113:114]
	v_fma_f64 v[139:140], -v[139:140], v[143:144], v[119:120]
	v_fma_f64 v[137:138], v[137:138], v[143:144], v[117:118]
	s_clause 0x3
	global_load_b128 v[107:110], v[39:40], off offset:16400
	global_load_b128 v[111:114], v[39:40], off offset:16464
	global_load_b128 v[115:118], v[39:40], off offset:16528
	global_load_b128 v[119:122], v[39:40], off offset:16592
	global_load_b128 v[123:126], v[145:146], off offset:16
	s_wait_loadcnt 0x15
	v_fma_f64 v[127:128], v[17:18], v[43:44], v[127:128]
	v_fma_f64 v[141:142], v[19:20], v[43:44], v[141:142]
	v_fma_f64 v[131:132], v[23:24], v[43:44], v[131:132]
	v_fma_f64 v[129:130], v[25:26], v[43:44], v[129:130]
	v_fma_f64 v[135:136], v[27:28], v[43:44], v[135:136]
	v_fma_f64 v[133:134], v[29:30], v[43:44], v[133:134]
	v_fma_f64 v[139:140], v[31:32], v[43:44], v[139:140]
	v_fma_f64 v[43:44], v[33:34], v[43:44], v[137:138]
	v_fma_f64 v[127:128], -v[19:20], v[45:46], v[127:128]
	v_fma_f64 v[137:138], v[17:18], v[45:46], v[141:142]
	v_fma_f64 v[131:132], -v[25:26], v[45:46], v[131:132]
	v_fma_f64 v[129:130], v[23:24], v[45:46], v[129:130]
	v_fma_f64 v[135:136], -v[29:30], v[45:46], v[135:136]
	v_fma_f64 v[133:134], v[27:28], v[45:46], v[133:134]
	v_fma_f64 v[139:140], -v[33:34], v[45:46], v[139:140]
	v_fma_f64 v[141:142], v[31:32], v[45:46], v[43:44]
	s_clause 0x3
	global_load_b128 v[17:20], v[39:40], off offset:16416
	global_load_b128 v[23:26], v[39:40], off offset:16480
	global_load_b128 v[27:30], v[39:40], off offset:16544
	global_load_b128 v[31:34], v[39:40], off offset:16608
	global_load_b128 v[43:46], v[145:146], off offset:32
	;; [unrolled: 23-line block ×3, first 2 shown]
	s_wait_loadcnt 0x15
	v_fma_f64 v[143:144], v[67:68], v[83:84], v[127:128]
	v_fma_f64 v[145:146], v[69:70], v[83:84], v[137:138]
	;; [unrolled: 1-line block ×8, first 2 shown]
	s_clause 0x3
	global_load_b128 v[127:130], v[39:40], off offset:24576
	global_load_b128 v[131:134], v[39:40], off offset:24640
	;; [unrolled: 1-line block ×4, first 2 shown]
	s_wait_loadcnt 0x18
	v_sub_co_u32 v157, vcc_lo, v159, v9
	s_wait_alu 0xfffd
	v_sub_co_ci_u32_e64 v158, null, v160, v10, vcc_lo
	v_fma_f64 v[143:144], -v[69:70], v[85:86], v[143:144]
	v_fma_f64 v[145:146], v[67:68], v[85:86], v[145:146]
	v_fma_f64 v[73:74], -v[73:74], v[85:86], v[147:148]
	v_fma_f64 v[71:72], v[71:72], v[85:86], v[149:150]
	;; [unrolled: 2-line block ×4, first 2 shown]
	v_lshlrev_b64_e32 v[67:68], 6, v[157:158]
	s_delay_alu instid0(VALU_DEP_1) | instskip(SKIP_1) | instid1(VALU_DEP_2)
	v_add_co_u32 v147, vcc_lo, s6, v67
	s_wait_alu 0xfffd
	v_add_co_ci_u32_e64 v148, null, s7, v68, vcc_lo
	v_add_co_u32 v37, vcc_lo, 0x80, v37
	s_wait_alu 0xfffd
	v_add_co_ci_u32_e64 v38, null, 0, v38, vcc_lo
	global_load_b128 v[67:70], v[147:148], off
	v_cmp_ge_i64_e64 s4, v[37:38], v[13:14]
	s_wait_alu 0xfffe
	s_or_b32 s11, s4, s11
	s_wait_loadcnt 0x14
	v_fma_f64 v[83:84], v[87:88], v[103:104], v[143:144]
	v_fma_f64 v[85:86], v[89:90], v[103:104], v[145:146]
	v_fma_f64 v[73:74], v[91:92], v[103:104], v[73:74]
	v_fma_f64 v[71:72], v[93:94], v[103:104], v[71:72]
	v_fma_f64 v[77:78], v[95:96], v[103:104], v[77:78]
	v_fma_f64 v[75:76], v[97:98], v[103:104], v[75:76]
	v_fma_f64 v[81:82], v[99:100], v[103:104], v[81:82]
	v_fma_f64 v[79:80], v[101:102], v[103:104], v[79:80]
	v_fma_f64 v[103:104], -v[89:90], v[105:106], v[83:84]
	v_fma_f64 v[143:144], v[87:88], v[105:106], v[85:86]
	v_fma_f64 v[93:94], -v[93:94], v[105:106], v[73:74]
	v_fma_f64 v[91:92], v[91:92], v[105:106], v[71:72]
	v_fma_f64 v[97:98], -v[97:98], v[105:106], v[77:78]
	v_fma_f64 v[95:96], v[95:96], v[105:106], v[75:76]
	v_fma_f64 v[101:102], -v[101:102], v[105:106], v[81:82]
	v_fma_f64 v[99:100], v[99:100], v[105:106], v[79:80]
	s_clause 0x3
	global_load_b128 v[71:74], v[39:40], off offset:24592
	global_load_b128 v[75:78], v[39:40], off offset:24656
	global_load_b128 v[79:82], v[39:40], off offset:24720
	global_load_b128 v[83:86], v[39:40], off offset:24784
	global_load_b128 v[87:90], v[147:148], off offset:16
	s_wait_loadcnt 0x14
	v_fma_f64 v[103:104], v[107:108], v[123:124], v[103:104]
	v_fma_f64 v[105:106], v[109:110], v[123:124], v[143:144]
	v_fma_f64 v[93:94], v[111:112], v[123:124], v[93:94]
	v_fma_f64 v[91:92], v[113:114], v[123:124], v[91:92]
	v_fma_f64 v[97:98], v[115:116], v[123:124], v[97:98]
	v_fma_f64 v[95:96], v[117:118], v[123:124], v[95:96]
	v_fma_f64 v[101:102], v[119:120], v[123:124], v[101:102]
	v_fma_f64 v[99:100], v[121:122], v[123:124], v[99:100]
	v_fma_f64 v[123:124], -v[109:110], v[125:126], v[103:104]
	v_fma_f64 v[143:144], v[107:108], v[125:126], v[105:106]
	v_fma_f64 v[113:114], -v[113:114], v[125:126], v[93:94]
	v_fma_f64 v[111:112], v[111:112], v[125:126], v[91:92]
	v_fma_f64 v[117:118], -v[117:118], v[125:126], v[97:98]
	v_fma_f64 v[115:116], v[115:116], v[125:126], v[95:96]
	v_fma_f64 v[121:122], -v[121:122], v[125:126], v[101:102]
	v_fma_f64 v[119:120], v[119:120], v[125:126], v[99:100]
	s_clause 0x3
	global_load_b128 v[91:94], v[39:40], off offset:24608
	global_load_b128 v[95:98], v[39:40], off offset:24672
	global_load_b128 v[99:102], v[39:40], off offset:24736
	global_load_b128 v[103:106], v[39:40], off offset:24800
	global_load_b128 v[107:110], v[147:148], off offset:32
	;; [unrolled: 23-line block ×3, first 2 shown]
	v_add_co_u32 v39, vcc_lo, 0x8000, v39
	s_wait_alu 0xfffd
	v_add_co_ci_u32_e64 v40, null, 0, v40, vcc_lo
	s_wait_loadcnt 0x14
	v_fma_f64 v[119:120], v[47:48], v[63:64], v[119:120]
	v_fma_f64 v[121:122], v[49:50], v[63:64], v[123:124]
	v_fma_f64 v[25:26], v[51:52], v[63:64], v[25:26]
	v_fma_f64 v[23:24], v[53:54], v[63:64], v[23:24]
	v_fma_f64 v[123:124], v[55:56], v[63:64], v[125:126]
	v_fma_f64 v[125:126], v[57:58], v[63:64], v[143:144]
	v_fma_f64 v[33:34], v[59:60], v[63:64], v[33:34]
	v_fma_f64 v[31:32], v[61:62], v[63:64], v[31:32]
	v_fma_f64 v[49:50], -v[49:50], v[65:66], v[119:120]
	v_fma_f64 v[47:48], v[47:48], v[65:66], v[121:122]
	v_fma_f64 v[25:26], -v[53:54], v[65:66], v[25:26]
	v_fma_f64 v[23:24], v[51:52], v[65:66], v[23:24]
	v_fma_f64 v[51:52], -v[57:58], v[65:66], v[123:124]
	v_fma_f64 v[53:54], v[55:56], v[65:66], v[125:126]
	v_fma_f64 v[33:34], -v[61:62], v[65:66], v[33:34]
	v_fma_f64 v[31:32], v[59:60], v[65:66], v[31:32]
	s_wait_loadcnt 0xf
	v_fma_f64 v[49:50], v[127:128], v[67:68], v[49:50]
	v_fma_f64 v[47:48], v[129:130], v[67:68], v[47:48]
	v_fma_f64 v[25:26], v[131:132], v[67:68], v[25:26]
	v_fma_f64 v[23:24], v[133:134], v[67:68], v[23:24]
	v_fma_f64 v[51:52], v[135:136], v[67:68], v[51:52]
	v_fma_f64 v[53:54], v[137:138], v[67:68], v[53:54]
	v_fma_f64 v[33:34], v[139:140], v[67:68], v[33:34]
	v_fma_f64 v[31:32], v[141:142], v[67:68], v[31:32]
	v_fma_f64 v[49:50], -v[129:130], v[69:70], v[49:50]
	v_fma_f64 v[47:48], v[127:128], v[69:70], v[47:48]
	v_fma_f64 v[25:26], -v[133:134], v[69:70], v[25:26]
	v_fma_f64 v[23:24], v[131:132], v[69:70], v[23:24]
	v_fma_f64 v[51:52], -v[137:138], v[69:70], v[51:52]
	v_fma_f64 v[53:54], v[135:136], v[69:70], v[53:54]
	v_fma_f64 v[33:34], -v[141:142], v[69:70], v[33:34]
	v_fma_f64 v[31:32], v[139:140], v[69:70], v[31:32]
	;; [unrolled: 17-line block ×5, first 2 shown]
	s_wait_alu 0xfffe
	s_and_not1_b32 exec_lo, exec_lo, s11
	s_cbranch_execnz .LBB58_21
; %bb.22:
	s_or_b32 exec_lo, exec_lo, s11
.LBB58_23:
	s_wait_alu 0xfffe
	s_or_b32 exec_lo, exec_lo, s10
.LBB58_24:
	s_wait_alu 0xfffe
	s_or_b32 exec_lo, exec_lo, s5
	s_cbranch_execz .LBB58_26
	s_branch .LBB58_37
.LBB58_25:
                                        ; implicit-def: $vgpr17_vgpr18
                                        ; implicit-def: $vgpr25_vgpr26
                                        ; implicit-def: $vgpr23_vgpr24
                                        ; implicit-def: $vgpr27_vgpr28
                                        ; implicit-def: $vgpr31_vgpr32
                                        ; implicit-def: $vgpr29_vgpr30
                                        ; implicit-def: $vgpr33_vgpr34
                                        ; implicit-def: $vgpr19_vgpr20
.LBB58_26:
	v_mov_b32_e32 v17, 0
	v_mov_b32_e32 v23, 0
	;; [unrolled: 1-line block ×3, first 2 shown]
	v_dual_mov_b32 v33, 0 :: v_dual_mov_b32 v18, 0
	v_dual_mov_b32 v25, 0 :: v_dual_mov_b32 v24, 0
	;; [unrolled: 1-line block ×5, first 2 shown]
	v_mov_b32_e32 v28, 0
	v_mov_b32_e32 v30, 0
	;; [unrolled: 1-line block ×3, first 2 shown]
	s_and_saveexec_b32 s3, s2
	s_cbranch_execz .LBB58_36
; %bb.27:
	v_or_b32_e32 v17, 32, v0
	v_not_b32_e32 v19, v35
	v_sub_co_u32 v20, s2, v9, v0
	v_not_b32_e32 v23, v36
	s_delay_alu instid0(VALU_DEP_4)
	v_sub_co_u32 v17, vcc_lo, v17, v9
	s_wait_alu 0xfffd
	v_sub_co_ci_u32_e64 v18, null, 0, v10, vcc_lo
	s_wait_alu 0xf1ff
	v_subrev_co_ci_u32_e64 v24, null, 0, v10, s2
	v_add_co_u32 v17, vcc_lo, v17, v35
	s_wait_alu 0xfffd
	v_add_co_ci_u32_e64 v18, null, v18, v36, vcc_lo
	v_add_co_u32 v25, s2, v20, v19
	s_wait_alu 0xf1ff
	v_add_co_ci_u32_e64 v23, null, v24, v23, s2
	s_delay_alu instid0(VALU_DEP_3)
	v_cmp_gt_i64_e32 vcc_lo, v[17:18], v[13:14]
	v_dual_mov_b32 v38, 0 :: v_dual_mov_b32 v31, 0
	v_dual_mov_b32 v32, 0 :: v_dual_mov_b32 v27, 0
	s_wait_alu 0xfffd
	v_dual_mov_b32 v19, 0 :: v_dual_cndmask_b32 v18, v14, v18
	v_dual_cndmask_b32 v17, v13, v17 :: v_dual_mov_b32 v20, 0
	v_mov_b32_e32 v33, 0
	v_dual_mov_b32 v34, 0 :: v_dual_mov_b32 v29, 0
	s_delay_alu instid0(VALU_DEP_3)
	v_add_co_u32 v35, vcc_lo, v25, v17
	s_wait_alu 0xfffd
	v_add_co_ci_u32_e64 v36, null, v23, v18, vcc_lo
	v_mov_b32_e32 v23, 0
	v_dual_mov_b32 v24, 0 :: v_dual_mov_b32 v25, 0
	v_dual_mov_b32 v17, 0 :: v_dual_mov_b32 v30, 0
	v_dual_mov_b32 v28, 0 :: v_dual_and_b32 v37, 0x60, v35
	v_mov_b32_e32 v26, 0
	v_mov_b32_e32 v18, 0
	s_mov_b32 s4, exec_lo
	s_delay_alu instid0(VALU_DEP_3)
	v_cmpx_ne_u64_e32 0x60, v[37:38]
	s_cbranch_execz .LBB58_31
; %bb.28:
	v_lshrrev_b32_e32 v27, 5, v35
	v_mov_b32_e32 v23, 0
	v_mov_b32_e32 v24, 0
	v_lshlrev_b64_e32 v[19:20], 3, v[11:12]
	v_mov_b32_e32 v31, 0
	v_add_nc_u32_e32 v27, 1, v27
	v_mov_b32_e32 v17, 0
	v_dual_mov_b32 v18, 0 :: v_dual_mov_b32 v25, 0
	v_add_co_u32 v37, vcc_lo, s8, v19
	s_delay_alu instid0(VALU_DEP_4) | instskip(SKIP_3) | instid1(VALU_DEP_3)
	v_dual_mov_b32 v32, 0 :: v_dual_and_b32 v39, 3, v27
	s_wait_alu 0xfffd
	v_add_co_ci_u32_e64 v38, null, s9, v20, vcc_lo
	v_mov_b32_e32 v27, 0
	v_sub_co_u32 v39, s2, 0, v39
	v_mov_b32_e32 v29, 0
	v_mov_b32_e32 v33, 0
	v_dual_mov_b32 v19, 0 :: v_dual_mov_b32 v26, 0
	v_mov_b32_e32 v28, 0
	v_mov_b32_e32 v30, 0
	;; [unrolled: 1-line block ×4, first 2 shown]
	s_wait_alu 0xf1ff
	v_sub_co_ci_u32_e64 v40, null, 0, 0, s2
	s_mov_b32 s5, 0
.LBB58_29:                              ; =>This Inner Loop Header: Depth=1
	global_load_b64 v[57:58], v[37:38], off
	s_clause 0x3
	global_load_b128 v[41:44], v[15:16], off offset:48
	global_load_b128 v[45:48], v[15:16], off offset:32
	;; [unrolled: 1-line block ×3, first 2 shown]
	global_load_b128 v[53:56], v[15:16], off
	v_add_co_u32 v37, s2, 0x100, v37
	s_wait_alu 0xf1ff
	v_add_co_ci_u32_e64 v38, null, 0, v38, s2
	s_wait_loadcnt 0x4
	v_sub_co_u32 v57, vcc_lo, v57, v9
	s_wait_alu 0xfffd
	v_sub_co_ci_u32_e64 v58, null, v58, v10, vcc_lo
	s_delay_alu instid0(VALU_DEP_1) | instskip(SKIP_1) | instid1(VALU_DEP_1)
	v_lshlrev_b64_e32 v[57:58], 6, v[57:58]
	s_wait_kmcnt 0x0
	v_add_co_u32 v101, vcc_lo, s6, v57
	s_wait_alu 0xfffd
	s_delay_alu instid0(VALU_DEP_2)
	v_add_co_ci_u32_e64 v102, null, s7, v58, vcc_lo
	s_clause 0x1
	global_load_b128 v[57:60], v[101:102], off
	global_load_b128 v[61:64], v[101:102], off offset:16
	s_clause 0x7
	global_load_b128 v[65:68], v[15:16], off offset:64
	global_load_b128 v[69:72], v[15:16], off offset:80
	;; [unrolled: 1-line block ×8, first 2 shown]
	s_clause 0x1
	global_load_b128 v[97:100], v[101:102], off offset:32
	global_load_b128 v[101:104], v[101:102], off offset:48
	s_clause 0x3
	global_load_b128 v[105:108], v[15:16], off offset:192
	global_load_b128 v[109:112], v[15:16], off offset:208
	;; [unrolled: 1-line block ×4, first 2 shown]
	v_add_co_u32 v15, vcc_lo, 0x2000, v15
	s_wait_alu 0xfffd
	v_add_co_ci_u32_e64 v16, null, 0, v16, vcc_lo
	v_add_co_u32 v39, vcc_lo, v39, 1
	s_wait_alu 0xfffd
	v_add_co_ci_u32_e64 v40, null, 0, v40, vcc_lo
	v_add_co_u32 v11, vcc_lo, v11, 32
	s_wait_alu 0xfffd
	v_add_co_ci_u32_e64 v12, null, 0, v12, vcc_lo
	s_delay_alu instid0(VALU_DEP_3)
	v_cmp_eq_u64_e32 vcc_lo, 0, v[39:40]
	s_wait_alu 0xfffe
	s_or_b32 s5, vcc_lo, s5
	s_wait_loadcnt 0xf
	v_fma_f64 v[25:26], v[53:54], v[57:58], v[25:26]
	v_fma_f64 v[17:18], v[55:56], v[57:58], v[17:18]
	;; [unrolled: 1-line block ×8, first 2 shown]
	v_fma_f64 v[25:26], -v[55:56], v[59:60], v[25:26]
	v_fma_f64 v[17:18], v[53:54], v[59:60], v[17:18]
	v_fma_f64 v[33:34], -v[51:52], v[59:60], v[33:34]
	v_fma_f64 v[19:20], v[49:50], v[59:60], v[19:20]
	;; [unrolled: 2-line block ×4, first 2 shown]
	s_wait_loadcnt 0xd
	v_fma_f64 v[25:26], v[65:66], v[61:62], v[25:26]
	v_fma_f64 v[17:18], v[67:68], v[61:62], v[17:18]
	s_wait_loadcnt 0xc
	v_fma_f64 v[33:34], v[69:70], v[61:62], v[33:34]
	v_fma_f64 v[19:20], v[71:72], v[61:62], v[19:20]
	;; [unrolled: 3-line block ×4, first 2 shown]
	v_fma_f64 v[25:26], -v[67:68], v[63:64], v[25:26]
	v_fma_f64 v[17:18], v[65:66], v[63:64], v[17:18]
	v_fma_f64 v[33:34], -v[71:72], v[63:64], v[33:34]
	v_fma_f64 v[19:20], v[69:70], v[63:64], v[19:20]
	;; [unrolled: 2-line block ×4, first 2 shown]
	s_wait_loadcnt 0x5
	v_fma_f64 v[25:26], v[93:94], v[97:98], v[25:26]
	v_fma_f64 v[17:18], v[95:96], v[97:98], v[17:18]
	;; [unrolled: 1-line block ×8, first 2 shown]
	v_fma_f64 v[25:26], -v[95:96], v[99:100], v[25:26]
	v_fma_f64 v[17:18], v[93:94], v[99:100], v[17:18]
	v_fma_f64 v[33:34], -v[91:92], v[99:100], v[33:34]
	v_fma_f64 v[19:20], v[89:90], v[99:100], v[19:20]
	;; [unrolled: 2-line block ×4, first 2 shown]
	s_wait_loadcnt 0x3
	v_fma_f64 v[25:26], v[105:106], v[101:102], v[25:26]
	v_fma_f64 v[17:18], v[107:108], v[101:102], v[17:18]
	s_wait_loadcnt 0x2
	v_fma_f64 v[33:34], v[109:110], v[101:102], v[33:34]
	v_fma_f64 v[19:20], v[111:112], v[101:102], v[19:20]
	;; [unrolled: 3-line block ×4, first 2 shown]
	v_fma_f64 v[25:26], -v[107:108], v[103:104], v[25:26]
	v_fma_f64 v[17:18], v[105:106], v[103:104], v[17:18]
	v_fma_f64 v[33:34], -v[111:112], v[103:104], v[33:34]
	v_fma_f64 v[19:20], v[109:110], v[103:104], v[19:20]
	;; [unrolled: 2-line block ×4, first 2 shown]
	s_wait_alu 0xfffe
	s_and_not1_b32 exec_lo, exec_lo, s5
	s_cbranch_execnz .LBB58_29
; %bb.30:
	s_or_b32 exec_lo, exec_lo, s5
.LBB58_31:
	s_wait_alu 0xfffe
	s_or_b32 exec_lo, exec_lo, s4
	s_delay_alu instid0(SALU_CYCLE_1)
	s_mov_b32 s4, exec_lo
	v_cmpx_lt_u64_e32 0x5f, v[35:36]
	s_cbranch_execz .LBB58_35
; %bb.32:
	v_lshlrev_b64_e32 v[35:36], 3, v[11:12]
	s_mov_b32 s5, 0
	s_delay_alu instid0(VALU_DEP_1) | instskip(SKIP_1) | instid1(VALU_DEP_2)
	v_add_co_u32 v35, vcc_lo, s8, v35
	s_wait_alu 0xfffd
	v_add_co_ci_u32_e64 v36, null, s9, v36, vcc_lo
	s_delay_alu instid0(VALU_DEP_2) | instskip(SKIP_1) | instid1(VALU_DEP_2)
	v_add_co_u32 v35, vcc_lo, 0x200, v35
	s_wait_alu 0xfffd
	v_add_co_ci_u32_e64 v36, null, 0, v36, vcc_lo
.LBB58_33:                              ; =>This Inner Loop Header: Depth=1
	s_clause 0x1
	global_load_b64 v[37:38], v[35:36], off offset:-512
	global_load_b64 v[135:136], v[35:36], off offset:-256
	s_clause 0x3
	global_load_b128 v[39:42], v[15:16], off offset:48
	global_load_b128 v[43:46], v[15:16], off offset:32
	;; [unrolled: 1-line block ×3, first 2 shown]
	global_load_b128 v[51:54], v[15:16], off
	s_clause 0x1
	global_load_b64 v[139:140], v[35:36], off
	global_load_b64 v[141:142], v[35:36], off offset:256
	v_add_co_u32 v35, s2, 0x400, v35
	s_wait_alu 0xf1ff
	v_add_co_ci_u32_e64 v36, null, 0, v36, s2
	s_wait_loadcnt 0x7
	v_sub_co_u32 v37, vcc_lo, v37, v9
	s_wait_alu 0xfffd
	v_sub_co_ci_u32_e64 v38, null, v38, v10, vcc_lo
	s_delay_alu instid0(VALU_DEP_1) | instskip(SKIP_1) | instid1(VALU_DEP_1)
	v_lshlrev_b64_e32 v[37:38], 6, v[37:38]
	s_wait_kmcnt 0x0
	v_add_co_u32 v37, vcc_lo, s6, v37
	s_wait_alu 0xfffd
	s_delay_alu instid0(VALU_DEP_2)
	v_add_co_ci_u32_e64 v38, null, s7, v38, vcc_lo
	global_load_b128 v[55:58], v[37:38], off
	s_clause 0x3
	global_load_b128 v[59:62], v[15:16], off offset:64
	global_load_b128 v[63:66], v[15:16], off offset:80
	global_load_b128 v[67:70], v[15:16], off offset:96
	global_load_b128 v[71:74], v[15:16], off offset:112
	global_load_b128 v[75:78], v[37:38], off offset:16
	s_clause 0x3
	global_load_b128 v[79:82], v[15:16], off offset:176
	global_load_b128 v[83:86], v[15:16], off offset:160
	global_load_b128 v[87:90], v[15:16], off offset:144
	global_load_b128 v[91:94], v[15:16], off offset:128
	global_load_b128 v[95:98], v[37:38], off offset:32
	;; [unrolled: 6-line block ×3, first 2 shown]
	s_clause 0x3
	global_load_b128 v[119:122], v[15:16], off offset:8240
	global_load_b128 v[123:126], v[15:16], off offset:8224
	;; [unrolled: 1-line block ×4, first 2 shown]
	s_wait_loadcnt 0x1a
	v_sub_co_u32 v37, vcc_lo, v135, v9
	s_wait_alu 0xfffd
	v_sub_co_ci_u32_e64 v38, null, v136, v10, vcc_lo
	s_delay_alu instid0(VALU_DEP_1) | instskip(NEXT) | instid1(VALU_DEP_1)
	v_lshlrev_b64_e32 v[37:38], 6, v[37:38]
	v_add_co_u32 v143, vcc_lo, s6, v37
	s_wait_alu 0xfffd
	s_delay_alu instid0(VALU_DEP_2)
	v_add_co_ci_u32_e64 v144, null, s7, v38, vcc_lo
	s_wait_loadcnt 0x15
	v_sub_co_u32 v139, vcc_lo, v139, v9
	s_wait_alu 0xfffd
	v_sub_co_ci_u32_e64 v140, null, v140, v10, vcc_lo
	global_load_b128 v[135:138], v[143:144], off
	s_wait_loadcnt 0x14
	v_fma_f64 v[25:26], v[51:52], v[55:56], v[25:26]
	v_fma_f64 v[17:18], v[53:54], v[55:56], v[17:18]
	v_fma_f64 v[33:34], v[47:48], v[55:56], v[33:34]
	v_fma_f64 v[19:20], v[49:50], v[55:56], v[19:20]
	v_fma_f64 v[31:32], v[43:44], v[55:56], v[31:32]
	v_fma_f64 v[29:30], v[45:46], v[55:56], v[29:30]
	v_fma_f64 v[23:24], v[39:40], v[55:56], v[23:24]
	v_fma_f64 v[27:28], v[41:42], v[55:56], v[27:28]
	v_fma_f64 v[53:54], -v[53:54], v[57:58], v[25:26]
	v_fma_f64 v[51:52], v[51:52], v[57:58], v[17:18]
	v_fma_f64 v[49:50], -v[49:50], v[57:58], v[33:34]
	v_fma_f64 v[47:48], v[47:48], v[57:58], v[19:20]
	v_fma_f64 v[45:46], -v[45:46], v[57:58], v[31:32]
	v_fma_f64 v[43:44], v[43:44], v[57:58], v[29:30]
	v_fma_f64 v[41:42], -v[41:42], v[57:58], v[23:24]
	v_fma_f64 v[55:56], v[39:40], v[57:58], v[27:28]
	s_clause 0x3
	global_load_b128 v[17:20], v[15:16], off offset:8256
	global_load_b128 v[23:26], v[15:16], off offset:8272
	global_load_b128 v[27:30], v[15:16], off offset:8288
	global_load_b128 v[31:34], v[15:16], off offset:8304
	global_load_b128 v[37:40], v[143:144], off offset:16
	s_wait_loadcnt 0x14
	v_fma_f64 v[53:54], v[59:60], v[75:76], v[53:54]
	v_fma_f64 v[51:52], v[61:62], v[75:76], v[51:52]
	v_fma_f64 v[49:50], v[63:64], v[75:76], v[49:50]
	v_fma_f64 v[47:48], v[65:66], v[75:76], v[47:48]
	v_fma_f64 v[45:46], v[67:68], v[75:76], v[45:46]
	v_fma_f64 v[43:44], v[69:70], v[75:76], v[43:44]
	v_fma_f64 v[41:42], v[71:72], v[75:76], v[41:42]
	v_fma_f64 v[55:56], v[73:74], v[75:76], v[55:56]
	v_fma_f64 v[61:62], -v[61:62], v[77:78], v[53:54]
	v_fma_f64 v[75:76], v[59:60], v[77:78], v[51:52]
	v_fma_f64 v[65:66], -v[65:66], v[77:78], v[49:50]
	v_fma_f64 v[63:64], v[63:64], v[77:78], v[47:48]
	v_fma_f64 v[69:70], -v[69:70], v[77:78], v[45:46]
	v_fma_f64 v[67:68], v[67:68], v[77:78], v[43:44]
	v_fma_f64 v[73:74], -v[73:74], v[77:78], v[41:42]
	v_fma_f64 v[71:72], v[71:72], v[77:78], v[55:56]
	s_clause 0x3
	global_load_b128 v[41:44], v[15:16], off offset:8368
	global_load_b128 v[45:48], v[15:16], off offset:8352
	global_load_b128 v[49:52], v[15:16], off offset:8336
	global_load_b128 v[53:56], v[15:16], off offset:8320
	global_load_b128 v[57:60], v[143:144], off offset:32
	;; [unrolled: 23-line block ×3, first 2 shown]
	s_wait_loadcnt 0x14
	v_fma_f64 v[97:98], v[99:100], v[115:116], v[93:94]
	v_fma_f64 v[143:144], v[101:102], v[115:116], v[91:92]
	;; [unrolled: 1-line block ×8, first 2 shown]
	s_clause 0x3
	global_load_b128 v[81:84], v[15:16], off offset:16432
	global_load_b128 v[85:88], v[15:16], off offset:16416
	global_load_b128 v[89:92], v[15:16], off offset:16400
	global_load_b128 v[93:96], v[15:16], off offset:16384
	v_fma_f64 v[101:102], -v[101:102], v[117:118], v[97:98]
	v_fma_f64 v[143:144], v[99:100], v[117:118], v[143:144]
	v_fma_f64 v[105:106], -v[105:106], v[117:118], v[145:146]
	v_fma_f64 v[103:104], v[103:104], v[117:118], v[147:148]
	;; [unrolled: 2-line block ×4, first 2 shown]
	v_lshlrev_b64_e32 v[97:98], 6, v[139:140]
	s_delay_alu instid0(VALU_DEP_1) | instskip(SKIP_1) | instid1(VALU_DEP_2)
	v_add_co_u32 v139, vcc_lo, s6, v97
	s_wait_alu 0xfffd
	v_add_co_ci_u32_e64 v140, null, s7, v98, vcc_lo
	v_sub_co_u32 v141, vcc_lo, v141, v9
	s_wait_alu 0xfffd
	v_sub_co_ci_u32_e64 v142, null, v142, v10, vcc_lo
	global_load_b128 v[97:100], v[139:140], off
	s_wait_loadcnt 0x14
	v_fma_f64 v[101:102], v[131:132], v[135:136], v[101:102]
	v_fma_f64 v[115:116], v[133:134], v[135:136], v[143:144]
	v_fma_f64 v[105:106], v[127:128], v[135:136], v[105:106]
	v_fma_f64 v[103:104], v[129:130], v[135:136], v[103:104]
	v_fma_f64 v[109:110], v[123:124], v[135:136], v[109:110]
	v_fma_f64 v[107:108], v[125:126], v[135:136], v[107:108]
	v_fma_f64 v[113:114], v[119:120], v[135:136], v[113:114]
	v_fma_f64 v[111:112], v[121:122], v[135:136], v[111:112]
	v_fma_f64 v[133:134], -v[133:134], v[137:138], v[101:102]
	v_fma_f64 v[131:132], v[131:132], v[137:138], v[115:116]
	v_fma_f64 v[129:130], -v[129:130], v[137:138], v[105:106]
	v_fma_f64 v[127:128], v[127:128], v[137:138], v[103:104]
	v_fma_f64 v[125:126], -v[125:126], v[137:138], v[109:110]
	v_fma_f64 v[123:124], v[123:124], v[137:138], v[107:108]
	v_fma_f64 v[121:122], -v[121:122], v[137:138], v[113:114]
	v_fma_f64 v[135:136], v[119:120], v[137:138], v[111:112]
	s_clause 0x3
	global_load_b128 v[101:104], v[15:16], off offset:16448
	global_load_b128 v[105:108], v[15:16], off offset:16464
	global_load_b128 v[109:112], v[15:16], off offset:16480
	global_load_b128 v[113:116], v[15:16], off offset:16496
	global_load_b128 v[117:120], v[139:140], off offset:16
	s_wait_loadcnt 0x14
	v_fma_f64 v[133:134], v[17:18], v[37:38], v[133:134]
	v_fma_f64 v[131:132], v[19:20], v[37:38], v[131:132]
	v_fma_f64 v[129:130], v[23:24], v[37:38], v[129:130]
	v_fma_f64 v[127:128], v[25:26], v[37:38], v[127:128]
	v_fma_f64 v[125:126], v[27:28], v[37:38], v[125:126]
	v_fma_f64 v[123:124], v[29:30], v[37:38], v[123:124]
	v_fma_f64 v[121:122], v[31:32], v[37:38], v[121:122]
	v_fma_f64 v[37:38], v[33:34], v[37:38], v[135:136]
	v_fma_f64 v[133:134], -v[19:20], v[39:40], v[133:134]
	v_fma_f64 v[131:132], v[17:18], v[39:40], v[131:132]
	v_fma_f64 v[129:130], -v[25:26], v[39:40], v[129:130]
	v_fma_f64 v[127:128], v[23:24], v[39:40], v[127:128]
	v_fma_f64 v[125:126], -v[29:30], v[39:40], v[125:126]
	v_fma_f64 v[123:124], v[27:28], v[39:40], v[123:124]
	v_fma_f64 v[121:122], -v[33:34], v[39:40], v[121:122]
	v_fma_f64 v[135:136], v[31:32], v[39:40], v[37:38]
	s_clause 0x3
	global_load_b128 v[17:20], v[15:16], off offset:16560
	global_load_b128 v[23:26], v[15:16], off offset:16544
	global_load_b128 v[27:30], v[15:16], off offset:16528
	global_load_b128 v[31:34], v[15:16], off offset:16512
	global_load_b128 v[37:40], v[139:140], off offset:32
	;; [unrolled: 23-line block ×3, first 2 shown]
	s_wait_loadcnt 0x14
	v_fma_f64 v[137:138], v[61:62], v[77:78], v[133:134]
	v_fma_f64 v[139:140], v[63:64], v[77:78], v[131:132]
	;; [unrolled: 1-line block ×8, first 2 shown]
	s_clause 0x3
	global_load_b128 v[121:124], v[15:16], off offset:24624
	global_load_b128 v[125:128], v[15:16], off offset:24608
	;; [unrolled: 1-line block ×4, first 2 shown]
	v_fma_f64 v[137:138], -v[63:64], v[79:80], v[137:138]
	v_fma_f64 v[139:140], v[61:62], v[79:80], v[139:140]
	v_fma_f64 v[67:68], -v[67:68], v[79:80], v[143:144]
	v_fma_f64 v[65:66], v[65:66], v[79:80], v[145:146]
	;; [unrolled: 2-line block ×4, first 2 shown]
	v_lshlrev_b64_e32 v[61:62], 6, v[141:142]
	s_delay_alu instid0(VALU_DEP_1) | instskip(SKIP_1) | instid1(VALU_DEP_2)
	v_add_co_u32 v141, vcc_lo, s6, v61
	s_wait_alu 0xfffd
	v_add_co_ci_u32_e64 v142, null, s7, v62, vcc_lo
	v_add_co_u32 v11, vcc_lo, 0x80, v11
	s_wait_alu 0xfffd
	v_add_co_ci_u32_e64 v12, null, 0, v12, vcc_lo
	global_load_b128 v[61:64], v[141:142], off
	s_wait_loadcnt 0x14
	v_fma_f64 v[77:78], v[93:94], v[97:98], v[137:138]
	v_fma_f64 v[79:80], v[95:96], v[97:98], v[139:140]
	v_fma_f64 v[67:68], v[89:90], v[97:98], v[67:68]
	v_fma_f64 v[65:66], v[91:92], v[97:98], v[65:66]
	v_fma_f64 v[71:72], v[85:86], v[97:98], v[71:72]
	v_fma_f64 v[69:70], v[87:88], v[97:98], v[69:70]
	v_fma_f64 v[75:76], v[81:82], v[97:98], v[75:76]
	v_fma_f64 v[73:74], v[83:84], v[97:98], v[73:74]
	v_fma_f64 v[95:96], -v[95:96], v[99:100], v[77:78]
	v_fma_f64 v[93:94], v[93:94], v[99:100], v[79:80]
	v_fma_f64 v[91:92], -v[91:92], v[99:100], v[67:68]
	v_fma_f64 v[89:90], v[89:90], v[99:100], v[65:66]
	v_fma_f64 v[87:88], -v[87:88], v[99:100], v[71:72]
	v_fma_f64 v[85:86], v[85:86], v[99:100], v[69:70]
	v_fma_f64 v[97:98], -v[83:84], v[99:100], v[75:76]
	v_fma_f64 v[99:100], v[81:82], v[99:100], v[73:74]
	s_clause 0x3
	global_load_b128 v[65:68], v[15:16], off offset:24640
	global_load_b128 v[69:72], v[15:16], off offset:24656
	global_load_b128 v[73:76], v[15:16], off offset:24672
	global_load_b128 v[77:80], v[15:16], off offset:24688
	global_load_b128 v[81:84], v[141:142], off offset:16
	s_wait_loadcnt 0x14
	v_fma_f64 v[95:96], v[101:102], v[117:118], v[95:96]
	v_fma_f64 v[93:94], v[103:104], v[117:118], v[93:94]
	v_fma_f64 v[91:92], v[105:106], v[117:118], v[91:92]
	v_fma_f64 v[89:90], v[107:108], v[117:118], v[89:90]
	v_fma_f64 v[87:88], v[109:110], v[117:118], v[87:88]
	v_fma_f64 v[85:86], v[111:112], v[117:118], v[85:86]
	v_fma_f64 v[97:98], v[113:114], v[117:118], v[97:98]
	v_fma_f64 v[99:100], v[115:116], v[117:118], v[99:100]
	v_fma_f64 v[117:118], -v[103:104], v[119:120], v[95:96]
	v_fma_f64 v[137:138], v[101:102], v[119:120], v[93:94]
	v_fma_f64 v[107:108], -v[107:108], v[119:120], v[91:92]
	v_fma_f64 v[105:106], v[105:106], v[119:120], v[89:90]
	v_fma_f64 v[111:112], -v[111:112], v[119:120], v[87:88]
	v_fma_f64 v[109:110], v[109:110], v[119:120], v[85:86]
	v_fma_f64 v[115:116], -v[115:116], v[119:120], v[97:98]
	v_fma_f64 v[113:114], v[113:114], v[119:120], v[99:100]
	s_clause 0x3
	global_load_b128 v[85:88], v[15:16], off offset:24752
	global_load_b128 v[89:92], v[15:16], off offset:24736
	global_load_b128 v[93:96], v[15:16], off offset:24720
	global_load_b128 v[97:100], v[15:16], off offset:24704
	global_load_b128 v[101:104], v[141:142], off offset:32
	;; [unrolled: 23-line block ×3, first 2 shown]
	v_add_co_u32 v15, vcc_lo, 0x8000, v15
	s_wait_alu 0xfffd
	v_add_co_ci_u32_e64 v16, null, 0, v16, vcc_lo
	v_cmp_ge_i64_e32 vcc_lo, v[11:12], v[13:14]
	s_wait_alu 0xfffe
	s_or_b32 s5, vcc_lo, s5
	s_wait_loadcnt 0x14
	v_fma_f64 v[33:34], v[41:42], v[57:58], v[33:34]
	v_fma_f64 v[31:32], v[43:44], v[57:58], v[31:32]
	v_fma_f64 v[113:114], v[45:46], v[57:58], v[113:114]
	v_fma_f64 v[117:118], v[47:48], v[57:58], v[117:118]
	v_fma_f64 v[25:26], v[49:50], v[57:58], v[25:26]
	v_fma_f64 v[23:24], v[51:52], v[57:58], v[23:24]
	v_fma_f64 v[115:116], v[53:54], v[57:58], v[115:116]
	v_fma_f64 v[57:58], v[55:56], v[57:58], v[119:120]
	v_fma_f64 v[33:34], -v[43:44], v[59:60], v[33:34]
	v_fma_f64 v[31:32], v[41:42], v[59:60], v[31:32]
	v_fma_f64 v[41:42], -v[47:48], v[59:60], v[113:114]
	v_fma_f64 v[43:44], v[45:46], v[59:60], v[117:118]
	v_fma_f64 v[25:26], -v[51:52], v[59:60], v[25:26]
	v_fma_f64 v[23:24], v[49:50], v[59:60], v[23:24]
	v_fma_f64 v[45:46], -v[55:56], v[59:60], v[115:116]
	v_fma_f64 v[47:48], v[53:54], v[59:60], v[57:58]
	s_wait_loadcnt 0xf
	v_fma_f64 v[33:34], v[133:134], v[61:62], v[33:34]
	v_fma_f64 v[31:32], v[135:136], v[61:62], v[31:32]
	v_fma_f64 v[41:42], v[129:130], v[61:62], v[41:42]
	v_fma_f64 v[43:44], v[131:132], v[61:62], v[43:44]
	v_fma_f64 v[25:26], v[125:126], v[61:62], v[25:26]
	v_fma_f64 v[23:24], v[127:128], v[61:62], v[23:24]
	v_fma_f64 v[45:46], v[121:122], v[61:62], v[45:46]
	v_fma_f64 v[47:48], v[123:124], v[61:62], v[47:48]
	v_fma_f64 v[33:34], -v[135:136], v[63:64], v[33:34]
	v_fma_f64 v[31:32], v[133:134], v[63:64], v[31:32]
	v_fma_f64 v[41:42], -v[131:132], v[63:64], v[41:42]
	v_fma_f64 v[43:44], v[129:130], v[63:64], v[43:44]
	v_fma_f64 v[25:26], -v[127:128], v[63:64], v[25:26]
	v_fma_f64 v[23:24], v[125:126], v[63:64], v[23:24]
	v_fma_f64 v[45:46], -v[123:124], v[63:64], v[45:46]
	v_fma_f64 v[47:48], v[121:122], v[63:64], v[47:48]
	;; [unrolled: 17-line block ×5, first 2 shown]
	s_wait_alu 0xfffe
	s_and_not1_b32 exec_lo, exec_lo, s5
	s_cbranch_execnz .LBB58_33
; %bb.34:
	s_or_b32 exec_lo, exec_lo, s5
.LBB58_35:
	s_wait_alu 0xfffe
	s_or_b32 exec_lo, exec_lo, s4
.LBB58_36:
	s_wait_alu 0xfffe
	s_or_b32 exec_lo, exec_lo, s3
.LBB58_37:
	v_mbcnt_lo_u32_b32 v43, -1, 0
	s_delay_alu instid0(VALU_DEP_1) | instskip(NEXT) | instid1(VALU_DEP_1)
	v_xor_b32_e32 v9, 16, v43
	v_cmp_gt_i32_e32 vcc_lo, 32, v9
	s_wait_alu 0xfffd
	v_cndmask_b32_e32 v9, v43, v9, vcc_lo
	s_delay_alu instid0(VALU_DEP_1)
	v_lshlrev_b32_e32 v42, 2, v9
	ds_bpermute_b32 v9, v42, v25
	ds_bpermute_b32 v10, v42, v26
	;; [unrolled: 1-line block ×16, first 2 shown]
	s_wait_dscnt 0xe
	v_add_f64_e32 v[9:10], v[25:26], v[9:10]
	s_wait_dscnt 0xc
	v_add_f64_e32 v[11:12], v[17:18], v[11:12]
	;; [unrolled: 2-line block ×8, first 2 shown]
	v_xor_b32_e32 v27, 8, v43
	s_delay_alu instid0(VALU_DEP_1) | instskip(SKIP_2) | instid1(VALU_DEP_1)
	v_cmp_gt_i32_e32 vcc_lo, 32, v27
	s_wait_alu 0xfffd
	v_cndmask_b32_e32 v27, v43, v27, vcc_lo
	v_lshlrev_b32_e32 v42, 2, v27
	ds_bpermute_b32 v27, v42, v9
	ds_bpermute_b32 v28, v42, v10
	;; [unrolled: 1-line block ×16, first 2 shown]
	s_wait_dscnt 0xe
	v_add_f64_e32 v[9:10], v[9:10], v[27:28]
	v_xor_b32_e32 v27, 4, v43
	s_wait_dscnt 0xc
	v_add_f64_e32 v[11:12], v[11:12], v[29:30]
	s_wait_dscnt 0xa
	v_add_f64_e32 v[13:14], v[13:14], v[31:32]
	;; [unrolled: 2-line block ×3, first 2 shown]
	v_cmp_gt_i32_e32 vcc_lo, 32, v27
	s_wait_dscnt 0x6
	v_add_f64_e32 v[17:18], v[17:18], v[35:36]
	s_wait_dscnt 0x4
	v_add_f64_e32 v[19:20], v[19:20], v[37:38]
	;; [unrolled: 2-line block ×3, first 2 shown]
	s_wait_alu 0xfffd
	v_cndmask_b32_e32 v27, v43, v27, vcc_lo
	s_wait_dscnt 0x0
	v_add_f64_e32 v[25:26], v[25:26], v[41:42]
	s_delay_alu instid0(VALU_DEP_2)
	v_lshlrev_b32_e32 v42, 2, v27
	ds_bpermute_b32 v27, v42, v9
	ds_bpermute_b32 v28, v42, v10
	;; [unrolled: 1-line block ×16, first 2 shown]
	s_wait_dscnt 0xe
	v_add_f64_e32 v[9:10], v[9:10], v[27:28]
	s_wait_dscnt 0xc
	v_add_f64_e32 v[11:12], v[11:12], v[29:30]
	;; [unrolled: 2-line block ×8, first 2 shown]
	v_xor_b32_e32 v25, 2, v43
	s_delay_alu instid0(VALU_DEP_1) | instskip(SKIP_2) | instid1(VALU_DEP_1)
	v_cmp_gt_i32_e32 vcc_lo, 32, v25
	s_wait_alu 0xfffd
	v_cndmask_b32_e32 v25, v43, v25, vcc_lo
	v_lshlrev_b32_e32 v42, 2, v25
	ds_bpermute_b32 v25, v42, v9
	ds_bpermute_b32 v26, v42, v10
	;; [unrolled: 1-line block ×16, first 2 shown]
	s_wait_dscnt 0xe
	v_add_f64_e32 v[9:10], v[9:10], v[25:26]
	s_wait_dscnt 0xc
	v_add_f64_e32 v[29:30], v[11:12], v[29:30]
	;; [unrolled: 2-line block ×7, first 2 shown]
	v_xor_b32_e32 v23, 1, v43
	s_wait_dscnt 0x0
	v_add_f64_e32 v[17:18], v[27:28], v[41:42]
	s_delay_alu instid0(VALU_DEP_2) | instskip(SKIP_3) | instid1(VALU_DEP_2)
	v_cmp_gt_i32_e32 vcc_lo, 32, v23
	s_wait_alu 0xfffd
	v_cndmask_b32_e32 v23, v43, v23, vcc_lo
	v_cmp_eq_u32_e32 vcc_lo, 31, v0
	v_lshlrev_b32_e32 v36, 2, v23
	ds_bpermute_b32 v23, v36, v9
	ds_bpermute_b32 v24, v36, v10
	;; [unrolled: 1-line block ×16, first 2 shown]
	s_and_b32 exec_lo, exec_lo, vcc_lo
	s_cbranch_execz .LBB58_8
; %bb.38:
	s_wait_dscnt 0xc
	v_add_f64_e32 v[29:30], v[29:30], v[41:42]
	s_wait_dscnt 0x8
	v_add_f64_e32 v[25:26], v[25:26], v[39:40]
	;; [unrolled: 2-line block ×4, first 2 shown]
	v_add_f64_e32 v[9:10], v[9:10], v[23:24]
	v_add_f64_e32 v[11:12], v[11:12], v[27:28]
	;; [unrolled: 1-line block ×4, first 2 shown]
	v_cmp_eq_f64_e32 vcc_lo, 0, v[1:2]
	v_cmp_eq_f64_e64 s2, 0, v[3:4]
	s_load_b64 s[0:1], s[0:1], 0x68
	v_lshlrev_b64_e32 v[21:22], 6, v[21:22]
	v_mul_f64_e64 v[13:14], v[29:30], -v[7:8]
	v_mul_f64_e32 v[15:16], v[5:6], v[29:30]
	v_mul_f64_e64 v[29:30], v[25:26], -v[7:8]
	v_mul_f64_e32 v[25:26], v[5:6], v[25:26]
	;; [unrolled: 2-line block ×4, first 2 shown]
	s_and_b32 s2, vcc_lo, s2
	v_fma_f64 v[17:18], v[5:6], v[9:10], v[13:14]
	v_fma_f64 v[19:20], v[7:8], v[9:10], v[15:16]
	v_fma_f64 v[13:14], v[5:6], v[11:12], v[29:30]
	v_fma_f64 v[15:16], v[7:8], v[11:12], v[25:26]
	v_fma_f64 v[9:10], v[5:6], v[23:24], v[31:32]
	v_fma_f64 v[11:12], v[7:8], v[23:24], v[33:34]
	v_fma_f64 v[5:6], v[5:6], v[27:28], v[35:36]
	v_fma_f64 v[7:8], v[7:8], v[27:28], v[37:38]
	s_wait_alu 0xfffe
	s_and_saveexec_b32 s3, s2
	s_wait_alu 0xfffe
	s_xor_b32 s2, exec_lo, s3
	s_cbranch_execz .LBB58_40
; %bb.39:
	s_wait_kmcnt 0x0
	v_add_co_u32 v0, vcc_lo, s0, v21
	s_wait_alu 0xfffd
	v_add_co_ci_u32_e64 v1, null, s1, v22, vcc_lo
                                        ; implicit-def: $vgpr21_vgpr22
	s_clause 0x3
	global_store_b128 v[0:1], v[17:20], off
	global_store_b128 v[0:1], v[13:16], off offset:16
	global_store_b128 v[0:1], v[9:12], off offset:32
	;; [unrolled: 1-line block ×3, first 2 shown]
                                        ; implicit-def: $vgpr3_vgpr4
                                        ; implicit-def: $vgpr17_vgpr18
                                        ; implicit-def: $vgpr13_vgpr14
                                        ; implicit-def: $vgpr9_vgpr10
                                        ; implicit-def: $vgpr5_vgpr6
.LBB58_40:
	s_wait_alu 0xfffe
	s_and_not1_saveexec_b32 s2, s2
	s_cbranch_execz .LBB58_8
; %bb.41:
	s_wait_kmcnt 0x0
	v_add_co_u32 v37, vcc_lo, s0, v21
	s_wait_alu 0xfffd
	v_add_co_ci_u32_e64 v38, null, s1, v22, vcc_lo
	s_clause 0x3
	global_load_b128 v[21:24], v[37:38], off
	global_load_b128 v[25:28], v[37:38], off offset:16
	global_load_b128 v[29:32], v[37:38], off offset:32
	;; [unrolled: 1-line block ×3, first 2 shown]
	s_wait_loadcnt 0x3
	v_fma_f64 v[17:18], v[1:2], v[21:22], v[17:18]
	v_fma_f64 v[19:20], v[3:4], v[21:22], v[19:20]
	s_wait_loadcnt 0x2
	v_fma_f64 v[13:14], v[1:2], v[25:26], v[13:14]
	v_fma_f64 v[15:16], v[3:4], v[25:26], v[15:16]
	;; [unrolled: 3-line block ×4, first 2 shown]
	v_fma_f64 v[5:6], -v[3:4], v[23:24], v[17:18]
	v_fma_f64 v[7:8], v[1:2], v[23:24], v[19:20]
	v_fma_f64 v[9:10], -v[3:4], v[27:28], v[13:14]
	v_fma_f64 v[11:12], v[1:2], v[27:28], v[15:16]
	;; [unrolled: 2-line block ×4, first 2 shown]
	s_clause 0x3
	global_store_b128 v[37:38], v[5:8], off
	global_store_b128 v[37:38], v[9:12], off offset:16
	global_store_b128 v[37:38], v[13:16], off offset:32
	;; [unrolled: 1-line block ×3, first 2 shown]
	s_nop 0
	s_sendmsg sendmsg(MSG_DEALLOC_VGPRS)
	s_endpgm
	.section	.rodata,"a",@progbits
	.p2align	6, 0x0
	.amdhsa_kernel _ZN9rocsparseL18bsrxmvn_4x4_kernelILj128ELj32E21rocsparse_complex_numIdEllS2_S2_S2_EEvT3_20rocsparse_direction_NS_24const_host_device_scalarIT1_EES3_PKS3_PKT2_SC_S9_PKT4_PKT5_S7_PT6_21rocsparse_index_base_b
		.amdhsa_group_segment_fixed_size 0
		.amdhsa_private_segment_fixed_size 0
		.amdhsa_kernarg_size 120
		.amdhsa_user_sgpr_count 2
		.amdhsa_user_sgpr_dispatch_ptr 0
		.amdhsa_user_sgpr_queue_ptr 0
		.amdhsa_user_sgpr_kernarg_segment_ptr 1
		.amdhsa_user_sgpr_dispatch_id 0
		.amdhsa_user_sgpr_private_segment_size 0
		.amdhsa_wavefront_size32 1
		.amdhsa_uses_dynamic_stack 0
		.amdhsa_enable_private_segment 0
		.amdhsa_system_sgpr_workgroup_id_x 1
		.amdhsa_system_sgpr_workgroup_id_y 0
		.amdhsa_system_sgpr_workgroup_id_z 0
		.amdhsa_system_sgpr_workgroup_info 0
		.amdhsa_system_vgpr_workitem_id 0
		.amdhsa_next_free_vgpr 161
		.amdhsa_next_free_sgpr 12
		.amdhsa_reserve_vcc 1
		.amdhsa_float_round_mode_32 0
		.amdhsa_float_round_mode_16_64 0
		.amdhsa_float_denorm_mode_32 3
		.amdhsa_float_denorm_mode_16_64 3
		.amdhsa_fp16_overflow 0
		.amdhsa_workgroup_processor_mode 1
		.amdhsa_memory_ordered 1
		.amdhsa_forward_progress 1
		.amdhsa_inst_pref_size 98
		.amdhsa_round_robin_scheduling 0
		.amdhsa_exception_fp_ieee_invalid_op 0
		.amdhsa_exception_fp_denorm_src 0
		.amdhsa_exception_fp_ieee_div_zero 0
		.amdhsa_exception_fp_ieee_overflow 0
		.amdhsa_exception_fp_ieee_underflow 0
		.amdhsa_exception_fp_ieee_inexact 0
		.amdhsa_exception_int_div_zero 0
	.end_amdhsa_kernel
	.section	.text._ZN9rocsparseL18bsrxmvn_4x4_kernelILj128ELj32E21rocsparse_complex_numIdEllS2_S2_S2_EEvT3_20rocsparse_direction_NS_24const_host_device_scalarIT1_EES3_PKS3_PKT2_SC_S9_PKT4_PKT5_S7_PT6_21rocsparse_index_base_b,"axG",@progbits,_ZN9rocsparseL18bsrxmvn_4x4_kernelILj128ELj32E21rocsparse_complex_numIdEllS2_S2_S2_EEvT3_20rocsparse_direction_NS_24const_host_device_scalarIT1_EES3_PKS3_PKT2_SC_S9_PKT4_PKT5_S7_PT6_21rocsparse_index_base_b,comdat
.Lfunc_end58:
	.size	_ZN9rocsparseL18bsrxmvn_4x4_kernelILj128ELj32E21rocsparse_complex_numIdEllS2_S2_S2_EEvT3_20rocsparse_direction_NS_24const_host_device_scalarIT1_EES3_PKS3_PKT2_SC_S9_PKT4_PKT5_S7_PT6_21rocsparse_index_base_b, .Lfunc_end58-_ZN9rocsparseL18bsrxmvn_4x4_kernelILj128ELj32E21rocsparse_complex_numIdEllS2_S2_S2_EEvT3_20rocsparse_direction_NS_24const_host_device_scalarIT1_EES3_PKS3_PKT2_SC_S9_PKT4_PKT5_S7_PT6_21rocsparse_index_base_b
                                        ; -- End function
	.set _ZN9rocsparseL18bsrxmvn_4x4_kernelILj128ELj32E21rocsparse_complex_numIdEllS2_S2_S2_EEvT3_20rocsparse_direction_NS_24const_host_device_scalarIT1_EES3_PKS3_PKT2_SC_S9_PKT4_PKT5_S7_PT6_21rocsparse_index_base_b.num_vgpr, 161
	.set _ZN9rocsparseL18bsrxmvn_4x4_kernelILj128ELj32E21rocsparse_complex_numIdEllS2_S2_S2_EEvT3_20rocsparse_direction_NS_24const_host_device_scalarIT1_EES3_PKS3_PKT2_SC_S9_PKT4_PKT5_S7_PT6_21rocsparse_index_base_b.num_agpr, 0
	.set _ZN9rocsparseL18bsrxmvn_4x4_kernelILj128ELj32E21rocsparse_complex_numIdEllS2_S2_S2_EEvT3_20rocsparse_direction_NS_24const_host_device_scalarIT1_EES3_PKS3_PKT2_SC_S9_PKT4_PKT5_S7_PT6_21rocsparse_index_base_b.numbered_sgpr, 12
	.set _ZN9rocsparseL18bsrxmvn_4x4_kernelILj128ELj32E21rocsparse_complex_numIdEllS2_S2_S2_EEvT3_20rocsparse_direction_NS_24const_host_device_scalarIT1_EES3_PKS3_PKT2_SC_S9_PKT4_PKT5_S7_PT6_21rocsparse_index_base_b.num_named_barrier, 0
	.set _ZN9rocsparseL18bsrxmvn_4x4_kernelILj128ELj32E21rocsparse_complex_numIdEllS2_S2_S2_EEvT3_20rocsparse_direction_NS_24const_host_device_scalarIT1_EES3_PKS3_PKT2_SC_S9_PKT4_PKT5_S7_PT6_21rocsparse_index_base_b.private_seg_size, 0
	.set _ZN9rocsparseL18bsrxmvn_4x4_kernelILj128ELj32E21rocsparse_complex_numIdEllS2_S2_S2_EEvT3_20rocsparse_direction_NS_24const_host_device_scalarIT1_EES3_PKS3_PKT2_SC_S9_PKT4_PKT5_S7_PT6_21rocsparse_index_base_b.uses_vcc, 1
	.set _ZN9rocsparseL18bsrxmvn_4x4_kernelILj128ELj32E21rocsparse_complex_numIdEllS2_S2_S2_EEvT3_20rocsparse_direction_NS_24const_host_device_scalarIT1_EES3_PKS3_PKT2_SC_S9_PKT4_PKT5_S7_PT6_21rocsparse_index_base_b.uses_flat_scratch, 0
	.set _ZN9rocsparseL18bsrxmvn_4x4_kernelILj128ELj32E21rocsparse_complex_numIdEllS2_S2_S2_EEvT3_20rocsparse_direction_NS_24const_host_device_scalarIT1_EES3_PKS3_PKT2_SC_S9_PKT4_PKT5_S7_PT6_21rocsparse_index_base_b.has_dyn_sized_stack, 0
	.set _ZN9rocsparseL18bsrxmvn_4x4_kernelILj128ELj32E21rocsparse_complex_numIdEllS2_S2_S2_EEvT3_20rocsparse_direction_NS_24const_host_device_scalarIT1_EES3_PKS3_PKT2_SC_S9_PKT4_PKT5_S7_PT6_21rocsparse_index_base_b.has_recursion, 0
	.set _ZN9rocsparseL18bsrxmvn_4x4_kernelILj128ELj32E21rocsparse_complex_numIdEllS2_S2_S2_EEvT3_20rocsparse_direction_NS_24const_host_device_scalarIT1_EES3_PKS3_PKT2_SC_S9_PKT4_PKT5_S7_PT6_21rocsparse_index_base_b.has_indirect_call, 0
	.section	.AMDGPU.csdata,"",@progbits
; Kernel info:
; codeLenInByte = 12448
; TotalNumSgprs: 14
; NumVgprs: 161
; ScratchSize: 0
; MemoryBound: 1
; FloatMode: 240
; IeeeMode: 1
; LDSByteSize: 0 bytes/workgroup (compile time only)
; SGPRBlocks: 0
; VGPRBlocks: 20
; NumSGPRsForWavesPerEU: 14
; NumVGPRsForWavesPerEU: 161
; Occupancy: 9
; WaveLimiterHint : 1
; COMPUTE_PGM_RSRC2:SCRATCH_EN: 0
; COMPUTE_PGM_RSRC2:USER_SGPR: 2
; COMPUTE_PGM_RSRC2:TRAP_HANDLER: 0
; COMPUTE_PGM_RSRC2:TGID_X_EN: 1
; COMPUTE_PGM_RSRC2:TGID_Y_EN: 0
; COMPUTE_PGM_RSRC2:TGID_Z_EN: 0
; COMPUTE_PGM_RSRC2:TIDIG_COMP_CNT: 0
	.section	.text._ZN9rocsparseL18bsrxmvn_4x4_kernelILj128ELj64E21rocsparse_complex_numIdEllS2_S2_S2_EEvT3_20rocsparse_direction_NS_24const_host_device_scalarIT1_EES3_PKS3_PKT2_SC_S9_PKT4_PKT5_S7_PT6_21rocsparse_index_base_b,"axG",@progbits,_ZN9rocsparseL18bsrxmvn_4x4_kernelILj128ELj64E21rocsparse_complex_numIdEllS2_S2_S2_EEvT3_20rocsparse_direction_NS_24const_host_device_scalarIT1_EES3_PKS3_PKT2_SC_S9_PKT4_PKT5_S7_PT6_21rocsparse_index_base_b,comdat
	.globl	_ZN9rocsparseL18bsrxmvn_4x4_kernelILj128ELj64E21rocsparse_complex_numIdEllS2_S2_S2_EEvT3_20rocsparse_direction_NS_24const_host_device_scalarIT1_EES3_PKS3_PKT2_SC_S9_PKT4_PKT5_S7_PT6_21rocsparse_index_base_b ; -- Begin function _ZN9rocsparseL18bsrxmvn_4x4_kernelILj128ELj64E21rocsparse_complex_numIdEllS2_S2_S2_EEvT3_20rocsparse_direction_NS_24const_host_device_scalarIT1_EES3_PKS3_PKT2_SC_S9_PKT4_PKT5_S7_PT6_21rocsparse_index_base_b
	.p2align	8
	.type	_ZN9rocsparseL18bsrxmvn_4x4_kernelILj128ELj64E21rocsparse_complex_numIdEllS2_S2_S2_EEvT3_20rocsparse_direction_NS_24const_host_device_scalarIT1_EES3_PKS3_PKT2_SC_S9_PKT4_PKT5_S7_PT6_21rocsparse_index_base_b,@function
_ZN9rocsparseL18bsrxmvn_4x4_kernelILj128ELj64E21rocsparse_complex_numIdEllS2_S2_S2_EEvT3_20rocsparse_direction_NS_24const_host_device_scalarIT1_EES3_PKS3_PKT2_SC_S9_PKT4_PKT5_S7_PT6_21rocsparse_index_base_b: ; @_ZN9rocsparseL18bsrxmvn_4x4_kernelILj128ELj64E21rocsparse_complex_numIdEllS2_S2_S2_EEvT3_20rocsparse_direction_NS_24const_host_device_scalarIT1_EES3_PKS3_PKT2_SC_S9_PKT4_PKT5_S7_PT6_21rocsparse_index_base_b
; %bb.0:
	s_clause 0x1
	s_load_b64 s[4:5], s[0:1], 0x70
	s_load_b64 s[2:3], s[0:1], 0x10
	s_add_nc_u64 s[6:7], s[0:1], 16
	s_load_b64 s[8:9], s[0:1], 0x58
	s_wait_kmcnt 0x0
	s_bitcmp1_b32 s5, 0
	s_cselect_b32 s2, s6, s2
	s_cselect_b32 s3, s7, s3
	s_delay_alu instid0(SALU_CYCLE_1)
	v_dual_mov_b32 v1, s2 :: v_dual_mov_b32 v2, s3
	s_add_nc_u64 s[2:3], s[0:1], 0x58
	s_wait_alu 0xfffe
	s_cselect_b32 s2, s2, s8
	s_cselect_b32 s3, s3, s9
	flat_load_b128 v[5:8], v[1:2]
	s_wait_alu 0xfffe
	v_dual_mov_b32 v1, s2 :: v_dual_mov_b32 v2, s3
	flat_load_b128 v[1:4], v[1:2]
	s_wait_loadcnt_dscnt 0x101
	v_cmp_eq_f64_e32 vcc_lo, 0, v[5:6]
	v_cmp_eq_f64_e64 s2, 0, v[7:8]
	s_and_b32 s5, vcc_lo, s2
	s_mov_b32 s2, -1
	s_and_saveexec_b32 s3, s5
	s_cbranch_execz .LBB59_2
; %bb.1:
	s_wait_loadcnt_dscnt 0x0
	v_cmp_neq_f64_e32 vcc_lo, 1.0, v[1:2]
	v_cmp_neq_f64_e64 s2, 0, v[3:4]
	s_wait_alu 0xfffe
	s_or_b32 s2, vcc_lo, s2
	s_wait_alu 0xfffe
	s_or_not1_b32 s2, s2, exec_lo
.LBB59_2:
	s_wait_alu 0xfffe
	s_or_b32 exec_lo, exec_lo, s3
	s_and_saveexec_b32 s3, s2
	s_cbranch_execz .LBB59_8
; %bb.3:
	s_load_b64 s[2:3], s[0:1], 0x28
	v_lshrrev_b32_e32 v9, 6, v0
	v_mov_b32_e32 v12, 0
	s_delay_alu instid0(VALU_DEP_2)
	v_lshl_or_b32 v11, ttmp9, 1, v9
	s_wait_kmcnt 0x0
	s_cmp_lg_u64 s[2:3], 0
	s_cbranch_scc0 .LBB59_9
; %bb.4:
	s_load_b64 s[6:7], s[0:1], 0x20
                                        ; implicit-def: $vgpr21_vgpr22
                                        ; implicit-def: $vgpr9_vgpr10
	s_wait_kmcnt 0x0
	v_cmp_gt_i64_e32 vcc_lo, s[6:7], v[11:12]
	s_mov_b32 s7, 0
	s_mov_b32 s6, 0
	s_and_saveexec_b32 s5, vcc_lo
	s_delay_alu instid0(SALU_CYCLE_1)
	s_xor_b32 s8, exec_lo, s5
	s_cbranch_execz .LBB59_6
; %bb.5:
	v_lshlrev_b64_e32 v[9:10], 3, v[11:12]
	s_mov_b32 s5, 0
	s_mov_b32 s6, exec_lo
	s_delay_alu instid0(VALU_DEP_1) | instskip(NEXT) | instid1(VALU_DEP_1)
	v_add_co_u32 v9, vcc_lo, s2, v9
	v_add_co_ci_u32_e64 v10, null, s3, v10, vcc_lo
	global_load_b64 v[9:10], v[9:10], off
	s_wait_loadcnt 0x0
	v_sub_co_u32 v21, vcc_lo, v9, s4
	s_wait_alu 0xfffd
	v_subrev_co_ci_u32_e64 v22, null, 0, v10, vcc_lo
	v_dual_mov_b32 v10, s5 :: v_dual_mov_b32 v9, s4
.LBB59_6:
	s_or_b32 exec_lo, exec_lo, s8
	s_wait_alu 0xfffe
	s_and_b32 vcc_lo, exec_lo, s7
	s_wait_alu 0xfffe
	s_cbranch_vccnz .LBB59_10
.LBB59_7:
	s_and_b32 exec_lo, exec_lo, s6
	s_cbranch_execnz .LBB59_13
.LBB59_8:
	s_nop 0
	s_sendmsg sendmsg(MSG_DEALLOC_VGPRS)
	s_endpgm
.LBB59_9:
	s_mov_b32 s6, 0
                                        ; implicit-def: $vgpr21_vgpr22
                                        ; implicit-def: $vgpr9_vgpr10
	s_cbranch_execz .LBB59_7
.LBB59_10:
	s_load_b64 s[2:3], s[0:1], 0x0
	s_wait_kmcnt 0x0
	v_cmp_gt_i64_e32 vcc_lo, s[2:3], v[11:12]
	s_and_saveexec_b32 s2, vcc_lo
; %bb.11:
	s_mov_b32 s5, 0
	s_or_b32 s6, s6, exec_lo
; %bb.12:
	s_wait_alu 0xfffe
	s_or_b32 exec_lo, exec_lo, s2
	v_dual_mov_b32 v10, s5 :: v_dual_mov_b32 v9, s4
	v_dual_mov_b32 v22, v12 :: v_dual_mov_b32 v21, v11
	s_and_b32 exec_lo, exec_lo, s6
	s_cbranch_execz .LBB59_8
.LBB59_13:
	s_load_b256 s[4:11], s[0:1], 0x30
	s_delay_alu instid0(VALU_DEP_1) | instskip(SKIP_3) | instid1(VALU_DEP_2)
	v_lshlrev_b64_e32 v[11:12], 3, v[21:22]
	v_and_b32_e32 v0, 63, v0
	s_load_b32 s3, s[0:1], 0x8
	s_wait_kmcnt 0x0
	v_add_co_u32 v13, vcc_lo, s4, v11
	s_wait_alu 0xfffd
	v_add_co_ci_u32_e64 v14, null, s5, v12, vcc_lo
	v_add_co_u32 v11, vcc_lo, s6, v11
	s_wait_alu 0xfffd
	v_add_co_ci_u32_e64 v12, null, s7, v12, vcc_lo
	v_add_co_u32 v15, vcc_lo, v13, 8
	global_load_b64 v[35:36], v[13:14], off
	s_wait_alu 0xfffd
	v_add_co_ci_u32_e64 v16, null, 0, v14, vcc_lo
	s_cmp_eq_u64 s[6:7], 0
	s_load_b64 s[6:7], s[0:1], 0x50
	s_cselect_b32 vcc_lo, -1, 0
	s_cmp_eq_u32 s3, 1
	s_wait_alu 0xfffe
	v_dual_cndmask_b32 v12, v12, v16 :: v_dual_cndmask_b32 v11, v11, v15
	global_load_b64 v[13:14], v[11:12], off
	s_wait_loadcnt 0x1
	v_sub_co_u32 v11, vcc_lo, v35, v9
	s_wait_alu 0xfffd
	v_sub_co_ci_u32_e64 v12, null, v36, v10, vcc_lo
	s_delay_alu instid0(VALU_DEP_2) | instskip(SKIP_1) | instid1(VALU_DEP_2)
	v_add_co_u32 v11, vcc_lo, v11, v0
	s_wait_alu 0xfffd
	v_add_co_ci_u32_e64 v12, null, 0, v12, vcc_lo
	s_delay_alu instid0(VALU_DEP_1) | instskip(SKIP_4) | instid1(VALU_DEP_3)
	v_lshlrev_b64_e32 v[15:16], 8, v[11:12]
	s_wait_loadcnt 0x0
	v_sub_co_u32 v13, vcc_lo, v13, v9
	s_wait_alu 0xfffd
	v_sub_co_ci_u32_e64 v14, null, v14, v10, vcc_lo
	v_add_co_u32 v15, vcc_lo, s10, v15
	s_delay_alu instid0(VALU_DEP_2)
	v_cmp_lt_i64_e64 s2, v[11:12], v[13:14]
	s_wait_alu 0xfffd
	v_add_co_ci_u32_e64 v16, null, s11, v16, vcc_lo
	s_cbranch_scc1 .LBB59_25
; %bb.14:
	v_mov_b32_e32 v17, 0
	v_mov_b32_e32 v23, 0
	;; [unrolled: 1-line block ×3, first 2 shown]
	v_dual_mov_b32 v33, 0 :: v_dual_mov_b32 v18, 0
	v_dual_mov_b32 v25, 0 :: v_dual_mov_b32 v24, 0
	;; [unrolled: 1-line block ×5, first 2 shown]
	v_mov_b32_e32 v28, 0
	v_mov_b32_e32 v30, 0
	;; [unrolled: 1-line block ×3, first 2 shown]
	s_and_saveexec_b32 s5, s2
	s_cbranch_execz .LBB59_24
; %bb.15:
	v_or_b32_e32 v17, 64, v0
	v_not_b32_e32 v24, v35
	v_dual_mov_b32 v38, 0 :: v_dual_mov_b32 v19, 0
	v_not_b32_e32 v23, v36
	s_delay_alu instid0(VALU_DEP_4) | instskip(SKIP_3) | instid1(VALU_DEP_3)
	v_sub_co_u32 v17, vcc_lo, v17, v9
	s_wait_alu 0xfffd
	v_sub_co_ci_u32_e64 v18, null, 0, v10, vcc_lo
	v_mov_b32_e32 v27, 0
	v_add_co_u32 v17, vcc_lo, v17, v35
	s_wait_alu 0xfffd
	s_delay_alu instid0(VALU_DEP_3) | instskip(SKIP_3) | instid1(VALU_DEP_3)
	v_add_co_ci_u32_e64 v18, null, v18, v36, vcc_lo
	v_sub_co_u32 v25, vcc_lo, v9, v0
	s_wait_alu 0xfffd
	v_subrev_co_ci_u32_e64 v26, null, 0, v10, vcc_lo
	v_cmp_gt_i64_e32 vcc_lo, v[17:18], v[13:14]
	v_mov_b32_e32 v20, 0
	v_add_co_u32 v24, s3, v25, v24
	s_wait_alu 0xf1ff
	v_add_co_ci_u32_e64 v23, null, v26, v23, s3
	s_wait_alu 0xfffd
	v_dual_cndmask_b32 v17, v13, v17 :: v_dual_cndmask_b32 v18, v14, v18
	v_mov_b32_e32 v33, 0
	v_dual_mov_b32 v34, 0 :: v_dual_mov_b32 v29, 0
	s_delay_alu instid0(VALU_DEP_3) | instskip(SKIP_1) | instid1(VALU_DEP_2)
	v_add_co_u32 v41, vcc_lo, v24, v17
	v_dual_mov_b32 v30, 0 :: v_dual_mov_b32 v31, 0
	v_dual_mov_b32 v32, 0 :: v_dual_and_b32 v37, 0xc0, v41
	v_mov_b32_e32 v25, 0
	s_wait_alu 0xfffd
	v_add_co_ci_u32_e64 v42, null, v23, v18, vcc_lo
	v_dual_mov_b32 v28, 0 :: v_dual_mov_b32 v23, 0
	v_dual_mov_b32 v26, 0 :: v_dual_mov_b32 v17, 0
	v_cmp_ne_u64_e32 vcc_lo, 0xc0, v[37:38]
	v_mov_b32_e32 v24, 0
	v_mov_b32_e32 v18, 0
	v_dual_mov_b32 v40, v16 :: v_dual_mov_b32 v39, v15
	v_dual_mov_b32 v38, v12 :: v_dual_mov_b32 v37, v11
	s_and_saveexec_b32 s4, vcc_lo
	s_cbranch_execz .LBB59_19
; %bb.16:
	v_lshrrev_b32_e32 v17, 6, v41
	v_lshlrev_b64_e32 v[19:20], 3, v[11:12]
	v_mov_b32_e32 v31, 0
	v_mov_b32_e32 v25, 0
	v_mov_b32_e32 v23, 0
	v_add_nc_u32_e32 v27, 1, v17
	v_dual_mov_b32 v17, 0 :: v_dual_mov_b32 v38, v12
	v_mov_b32_e32 v18, 0
	v_add_co_u32 v43, vcc_lo, s8, v19
	s_delay_alu instid0(VALU_DEP_4) | instskip(SKIP_3) | instid1(VALU_DEP_3)
	v_dual_mov_b32 v32, 0 :: v_dual_and_b32 v27, 3, v27
	s_wait_alu 0xfffd
	v_add_co_ci_u32_e64 v44, null, s9, v20, vcc_lo
	v_mov_b32_e32 v29, 0
	v_sub_co_u32 v45, s3, 0, v27
	v_dual_mov_b32 v27, 0 :: v_dual_mov_b32 v30, 0
	v_dual_mov_b32 v33, 0 :: v_dual_mov_b32 v40, v16
	v_mov_b32_e32 v19, 0
	v_dual_mov_b32 v37, v11 :: v_dual_mov_b32 v26, 0
	v_mov_b32_e32 v24, 0
	s_wait_alu 0xf1ff
	v_sub_co_ci_u32_e64 v46, null, 0, 0, s3
	v_mov_b32_e32 v28, 0
	v_mov_b32_e32 v34, 0
	v_dual_mov_b32 v20, 0 :: v_dual_mov_b32 v39, v15
	s_mov_b32 s10, 0
.LBB59_17:                              ; =>This Inner Loop Header: Depth=1
	global_load_b64 v[79:80], v[43:44], off
	s_clause 0x7
	global_load_b128 v[47:50], v[39:40], off offset:16
	global_load_b128 v[51:54], v[39:40], off
	global_load_b128 v[55:58], v[39:40], off offset:80
	global_load_b128 v[59:62], v[39:40], off offset:64
	;; [unrolled: 1-line block ×6, first 2 shown]
	v_add_co_u32 v43, s3, 0x200, v43
	s_wait_alu 0xf1ff
	v_add_co_ci_u32_e64 v44, null, 0, v44, s3
	s_wait_loadcnt 0x8
	v_sub_co_u32 v79, vcc_lo, v79, v9
	s_wait_alu 0xfffd
	v_sub_co_ci_u32_e64 v80, null, v80, v10, vcc_lo
	s_delay_alu instid0(VALU_DEP_1) | instskip(SKIP_1) | instid1(VALU_DEP_1)
	v_lshlrev_b64_e32 v[79:80], 6, v[79:80]
	s_wait_kmcnt 0x0
	v_add_co_u32 v123, vcc_lo, s6, v79
	s_wait_alu 0xfffd
	s_delay_alu instid0(VALU_DEP_2)
	v_add_co_ci_u32_e64 v124, null, s7, v80, vcc_lo
	s_clause 0x1
	global_load_b128 v[79:82], v[123:124], off
	global_load_b128 v[83:86], v[123:124], off offset:16
	s_clause 0x7
	global_load_b128 v[87:90], v[39:40], off offset:48
	global_load_b128 v[91:94], v[39:40], off offset:32
	;; [unrolled: 1-line block ×8, first 2 shown]
	s_clause 0x1
	global_load_b128 v[119:122], v[123:124], off offset:32
	global_load_b128 v[123:126], v[123:124], off offset:48
	v_add_co_u32 v39, vcc_lo, 0x4000, v39
	s_wait_alu 0xfffd
	v_add_co_ci_u32_e64 v40, null, 0, v40, vcc_lo
	v_add_co_u32 v45, vcc_lo, v45, 1
	s_wait_alu 0xfffd
	v_add_co_ci_u32_e64 v46, null, 0, v46, vcc_lo
	;; [unrolled: 3-line block ×3, first 2 shown]
	s_delay_alu instid0(VALU_DEP_3)
	v_cmp_eq_u64_e32 vcc_lo, 0, v[45:46]
	s_wait_alu 0xfffe
	s_or_b32 s10, vcc_lo, s10
	s_wait_loadcnt 0xb
	v_fma_f64 v[25:26], v[51:52], v[79:80], v[25:26]
	v_fma_f64 v[17:18], v[53:54], v[79:80], v[17:18]
	v_fma_f64 v[33:34], v[59:60], v[79:80], v[33:34]
	v_fma_f64 v[19:20], v[61:62], v[79:80], v[19:20]
	v_fma_f64 v[31:32], v[67:68], v[79:80], v[31:32]
	v_fma_f64 v[29:30], v[69:70], v[79:80], v[29:30]
	v_fma_f64 v[23:24], v[75:76], v[79:80], v[23:24]
	v_fma_f64 v[27:28], v[77:78], v[79:80], v[27:28]
	v_fma_f64 v[25:26], -v[53:54], v[81:82], v[25:26]
	v_fma_f64 v[17:18], v[51:52], v[81:82], v[17:18]
	v_fma_f64 v[33:34], -v[61:62], v[81:82], v[33:34]
	v_fma_f64 v[19:20], v[59:60], v[81:82], v[19:20]
	v_fma_f64 v[31:32], -v[69:70], v[81:82], v[31:32]
	v_fma_f64 v[29:30], v[67:68], v[81:82], v[29:30]
	v_fma_f64 v[23:24], -v[77:78], v[81:82], v[23:24]
	v_fma_f64 v[27:28], v[75:76], v[81:82], v[27:28]
	s_wait_loadcnt 0xa
	v_fma_f64 v[25:26], v[47:48], v[83:84], v[25:26]
	v_fma_f64 v[17:18], v[49:50], v[83:84], v[17:18]
	v_fma_f64 v[33:34], v[55:56], v[83:84], v[33:34]
	v_fma_f64 v[19:20], v[57:58], v[83:84], v[19:20]
	v_fma_f64 v[31:32], v[63:64], v[83:84], v[31:32]
	v_fma_f64 v[29:30], v[65:66], v[83:84], v[29:30]
	v_fma_f64 v[23:24], v[71:72], v[83:84], v[23:24]
	v_fma_f64 v[27:28], v[73:74], v[83:84], v[27:28]
	v_fma_f64 v[25:26], -v[49:50], v[85:86], v[25:26]
	v_fma_f64 v[17:18], v[47:48], v[85:86], v[17:18]
	v_fma_f64 v[33:34], -v[57:58], v[85:86], v[33:34]
	v_fma_f64 v[19:20], v[55:56], v[85:86], v[19:20]
	v_fma_f64 v[31:32], -v[65:66], v[85:86], v[31:32]
	v_fma_f64 v[29:30], v[63:64], v[85:86], v[29:30]
	v_fma_f64 v[23:24], -v[73:74], v[85:86], v[23:24]
	v_fma_f64 v[27:28], v[71:72], v[85:86], v[27:28]
	s_wait_loadcnt 0x1
	v_fma_f64 v[25:26], v[91:92], v[119:120], v[25:26]
	v_fma_f64 v[17:18], v[93:94], v[119:120], v[17:18]
	v_fma_f64 v[33:34], v[99:100], v[119:120], v[33:34]
	v_fma_f64 v[19:20], v[101:102], v[119:120], v[19:20]
	v_fma_f64 v[31:32], v[107:108], v[119:120], v[31:32]
	v_fma_f64 v[29:30], v[109:110], v[119:120], v[29:30]
	v_fma_f64 v[23:24], v[115:116], v[119:120], v[23:24]
	v_fma_f64 v[27:28], v[117:118], v[119:120], v[27:28]
	v_fma_f64 v[25:26], -v[93:94], v[121:122], v[25:26]
	v_fma_f64 v[17:18], v[91:92], v[121:122], v[17:18]
	v_fma_f64 v[33:34], -v[101:102], v[121:122], v[33:34]
	v_fma_f64 v[19:20], v[99:100], v[121:122], v[19:20]
	v_fma_f64 v[31:32], -v[109:110], v[121:122], v[31:32]
	v_fma_f64 v[29:30], v[107:108], v[121:122], v[29:30]
	v_fma_f64 v[23:24], -v[117:118], v[121:122], v[23:24]
	v_fma_f64 v[27:28], v[115:116], v[121:122], v[27:28]
	s_wait_loadcnt 0x0
	v_fma_f64 v[25:26], v[87:88], v[123:124], v[25:26]
	v_fma_f64 v[17:18], v[89:90], v[123:124], v[17:18]
	v_fma_f64 v[33:34], v[95:96], v[123:124], v[33:34]
	v_fma_f64 v[19:20], v[97:98], v[123:124], v[19:20]
	v_fma_f64 v[31:32], v[103:104], v[123:124], v[31:32]
	v_fma_f64 v[29:30], v[105:106], v[123:124], v[29:30]
	v_fma_f64 v[23:24], v[111:112], v[123:124], v[23:24]
	v_fma_f64 v[27:28], v[113:114], v[123:124], v[27:28]
	v_fma_f64 v[25:26], -v[89:90], v[125:126], v[25:26]
	v_fma_f64 v[17:18], v[87:88], v[125:126], v[17:18]
	v_fma_f64 v[33:34], -v[97:98], v[125:126], v[33:34]
	v_fma_f64 v[19:20], v[95:96], v[125:126], v[19:20]
	v_fma_f64 v[31:32], -v[105:106], v[125:126], v[31:32]
	v_fma_f64 v[29:30], v[103:104], v[125:126], v[29:30]
	v_fma_f64 v[23:24], -v[113:114], v[125:126], v[23:24]
	v_fma_f64 v[27:28], v[111:112], v[125:126], v[27:28]
	s_wait_alu 0xfffe
	s_and_not1_b32 exec_lo, exec_lo, s10
	s_cbranch_execnz .LBB59_17
; %bb.18:
	s_or_b32 exec_lo, exec_lo, s10
.LBB59_19:
	s_wait_alu 0xfffe
	s_or_b32 exec_lo, exec_lo, s4
	s_delay_alu instid0(SALU_CYCLE_1)
	s_mov_b32 s10, exec_lo
	v_cmpx_lt_u64_e32 0xbf, v[41:42]
	s_cbranch_execz .LBB59_23
; %bb.20:
	v_lshlrev_b64_e32 v[41:42], 3, v[37:38]
	s_mov_b32 s11, 0
	s_delay_alu instid0(VALU_DEP_1) | instskip(SKIP_1) | instid1(VALU_DEP_2)
	v_add_co_u32 v41, vcc_lo, s8, v41
	s_wait_alu 0xfffd
	v_add_co_ci_u32_e64 v42, null, s9, v42, vcc_lo
	s_delay_alu instid0(VALU_DEP_2) | instskip(SKIP_1) | instid1(VALU_DEP_2)
	v_add_co_u32 v41, vcc_lo, 0x400, v41
	s_wait_alu 0xfffd
	v_add_co_ci_u32_e64 v42, null, 0, v42, vcc_lo
.LBB59_21:                              ; =>This Inner Loop Header: Depth=1
	s_clause 0x1
	global_load_b64 v[43:44], v[41:42], off offset:-1024
	global_load_b64 v[141:142], v[41:42], off offset:-512
	s_clause 0x3
	global_load_b128 v[45:48], v[39:40], off
	global_load_b128 v[49:52], v[39:40], off offset:64
	global_load_b128 v[53:56], v[39:40], off offset:128
	;; [unrolled: 1-line block ×3, first 2 shown]
	s_wait_loadcnt 0x5
	v_sub_co_u32 v43, vcc_lo, v43, v9
	s_wait_alu 0xfffd
	v_sub_co_ci_u32_e64 v44, null, v44, v10, vcc_lo
	s_delay_alu instid0(VALU_DEP_1) | instskip(SKIP_1) | instid1(VALU_DEP_1)
	v_lshlrev_b64_e32 v[43:44], 6, v[43:44]
	s_wait_kmcnt 0x0
	v_add_co_u32 v43, vcc_lo, s6, v43
	s_wait_alu 0xfffd
	s_delay_alu instid0(VALU_DEP_2)
	v_add_co_ci_u32_e64 v44, null, s7, v44, vcc_lo
	global_load_b128 v[61:64], v[43:44], off
	s_clause 0x3
	global_load_b128 v[65:68], v[39:40], off offset:16
	global_load_b128 v[69:72], v[39:40], off offset:80
	global_load_b128 v[73:76], v[39:40], off offset:144
	global_load_b128 v[77:80], v[39:40], off offset:208
	global_load_b128 v[81:84], v[43:44], off offset:16
	s_clause 0x3
	global_load_b128 v[85:88], v[39:40], off offset:32
	global_load_b128 v[89:92], v[39:40], off offset:96
	global_load_b128 v[93:96], v[39:40], off offset:160
	global_load_b128 v[97:100], v[39:40], off offset:224
	global_load_b128 v[101:104], v[43:44], off offset:32
	;; [unrolled: 6-line block ×3, first 2 shown]
	global_load_b64 v[145:146], v[41:42], off
	s_clause 0x3
	global_load_b128 v[125:128], v[39:40], off offset:16384
	global_load_b128 v[129:132], v[39:40], off offset:16448
	;; [unrolled: 1-line block ×4, first 2 shown]
	s_wait_loadcnt 0x19
	v_sub_co_u32 v43, vcc_lo, v141, v9
	s_wait_alu 0xfffd
	v_sub_co_ci_u32_e64 v44, null, v142, v10, vcc_lo
	s_delay_alu instid0(VALU_DEP_1) | instskip(NEXT) | instid1(VALU_DEP_1)
	v_lshlrev_b64_e32 v[43:44], 6, v[43:44]
	v_add_co_u32 v147, vcc_lo, s6, v43
	s_wait_alu 0xfffd
	s_delay_alu instid0(VALU_DEP_2)
	v_add_co_ci_u32_e64 v148, null, s7, v44, vcc_lo
	global_load_b128 v[141:144], v[147:148], off
	s_wait_loadcnt 0x15
	v_fma_f64 v[25:26], v[45:46], v[61:62], v[25:26]
	v_fma_f64 v[17:18], v[47:48], v[61:62], v[17:18]
	;; [unrolled: 1-line block ×8, first 2 shown]
	s_wait_loadcnt 0x5
	v_sub_co_u32 v145, vcc_lo, v145, v9
	s_wait_alu 0xfffd
	v_sub_co_ci_u32_e64 v146, null, v146, v10, vcc_lo
	v_fma_f64 v[47:48], -v[47:48], v[63:64], v[25:26]
	v_fma_f64 v[61:62], v[45:46], v[63:64], v[17:18]
	v_fma_f64 v[51:52], -v[51:52], v[63:64], v[33:34]
	v_fma_f64 v[49:50], v[49:50], v[63:64], v[19:20]
	v_fma_f64 v[55:56], -v[55:56], v[63:64], v[31:32]
	v_fma_f64 v[53:54], v[53:54], v[63:64], v[29:30]
	v_fma_f64 v[59:60], -v[59:60], v[63:64], v[23:24]
	v_fma_f64 v[57:58], v[57:58], v[63:64], v[27:28]
	s_clause 0x3
	global_load_b128 v[17:20], v[39:40], off offset:16400
	global_load_b128 v[23:26], v[39:40], off offset:16464
	global_load_b128 v[27:30], v[39:40], off offset:16528
	global_load_b128 v[31:34], v[39:40], off offset:16592
	global_load_b128 v[43:46], v[147:148], off offset:16
	v_fma_f64 v[47:48], v[65:66], v[81:82], v[47:48]
	v_fma_f64 v[61:62], v[67:68], v[81:82], v[61:62]
	v_fma_f64 v[51:52], v[69:70], v[81:82], v[51:52]
	v_fma_f64 v[49:50], v[71:72], v[81:82], v[49:50]
	v_fma_f64 v[55:56], v[73:74], v[81:82], v[55:56]
	v_fma_f64 v[53:54], v[75:76], v[81:82], v[53:54]
	v_fma_f64 v[59:60], v[77:78], v[81:82], v[59:60]
	v_fma_f64 v[57:58], v[79:80], v[81:82], v[57:58]
	v_fma_f64 v[67:68], -v[67:68], v[83:84], v[47:48]
	v_fma_f64 v[81:82], v[65:66], v[83:84], v[61:62]
	v_fma_f64 v[71:72], -v[71:72], v[83:84], v[51:52]
	v_fma_f64 v[69:70], v[69:70], v[83:84], v[49:50]
	v_fma_f64 v[75:76], -v[75:76], v[83:84], v[55:56]
	v_fma_f64 v[73:74], v[73:74], v[83:84], v[53:54]
	v_fma_f64 v[79:80], -v[79:80], v[83:84], v[59:60]
	v_fma_f64 v[77:78], v[77:78], v[83:84], v[57:58]
	s_clause 0x3
	global_load_b128 v[47:50], v[39:40], off offset:16416
	global_load_b128 v[51:54], v[39:40], off offset:16480
	global_load_b128 v[55:58], v[39:40], off offset:16544
	global_load_b128 v[59:62], v[39:40], off offset:16608
	global_load_b128 v[63:66], v[147:148], off offset:32
	v_fma_f64 v[67:68], v[85:86], v[101:102], v[67:68]
	v_fma_f64 v[81:82], v[87:88], v[101:102], v[81:82]
	v_fma_f64 v[71:72], v[89:90], v[101:102], v[71:72]
	v_fma_f64 v[69:70], v[91:92], v[101:102], v[69:70]
	v_fma_f64 v[75:76], v[93:94], v[101:102], v[75:76]
	v_fma_f64 v[73:74], v[95:96], v[101:102], v[73:74]
	v_fma_f64 v[79:80], v[97:98], v[101:102], v[79:80]
	v_fma_f64 v[77:78], v[99:100], v[101:102], v[77:78]
	v_fma_f64 v[87:88], -v[87:88], v[103:104], v[67:68]
	v_fma_f64 v[101:102], v[85:86], v[103:104], v[81:82]
	v_fma_f64 v[91:92], -v[91:92], v[103:104], v[71:72]
	v_fma_f64 v[89:90], v[89:90], v[103:104], v[69:70]
	v_fma_f64 v[95:96], -v[95:96], v[103:104], v[75:76]
	v_fma_f64 v[93:94], v[93:94], v[103:104], v[73:74]
	v_fma_f64 v[99:100], -v[99:100], v[103:104], v[79:80]
	v_fma_f64 v[97:98], v[97:98], v[103:104], v[77:78]
	s_clause 0x3
	global_load_b128 v[67:70], v[39:40], off offset:16432
	global_load_b128 v[71:74], v[39:40], off offset:16496
	global_load_b128 v[75:78], v[39:40], off offset:16560
	global_load_b128 v[79:82], v[39:40], off offset:16624
	global_load_b128 v[83:86], v[147:148], off offset:48
	v_fma_f64 v[103:104], v[105:106], v[121:122], v[87:88]
	v_fma_f64 v[147:148], v[107:108], v[121:122], v[101:102]
	v_fma_f64 v[149:150], v[109:110], v[121:122], v[91:92]
	v_fma_f64 v[151:152], v[111:112], v[121:122], v[89:90]
	v_fma_f64 v[153:154], v[113:114], v[121:122], v[95:96]
	v_fma_f64 v[155:156], v[115:116], v[121:122], v[93:94]
	v_fma_f64 v[157:158], v[117:118], v[121:122], v[99:100]
	v_fma_f64 v[121:122], v[119:120], v[121:122], v[97:98]
	global_load_b64 v[159:160], v[41:42], off offset:512
	s_clause 0x3
	global_load_b128 v[87:90], v[39:40], off offset:32768
	global_load_b128 v[91:94], v[39:40], off offset:32832
	;; [unrolled: 1-line block ×4, first 2 shown]
	v_add_co_u32 v41, s3, 0x800, v41
	s_wait_alu 0xf1ff
	v_add_co_ci_u32_e64 v42, null, 0, v42, s3
	v_fma_f64 v[107:108], -v[107:108], v[123:124], v[103:104]
	v_fma_f64 v[147:148], v[105:106], v[123:124], v[147:148]
	v_fma_f64 v[111:112], -v[111:112], v[123:124], v[149:150]
	v_fma_f64 v[109:110], v[109:110], v[123:124], v[151:152]
	;; [unrolled: 2-line block ×4, first 2 shown]
	v_lshlrev_b64_e32 v[103:104], 6, v[145:146]
	s_delay_alu instid0(VALU_DEP_1) | instskip(SKIP_1) | instid1(VALU_DEP_2)
	v_add_co_u32 v145, vcc_lo, s6, v103
	s_wait_alu 0xfffd
	v_add_co_ci_u32_e64 v146, null, s7, v104, vcc_lo
	global_load_b128 v[103:106], v[145:146], off
	s_wait_loadcnt 0x15
	v_fma_f64 v[107:108], v[125:126], v[141:142], v[107:108]
	v_fma_f64 v[121:122], v[127:128], v[141:142], v[147:148]
	v_fma_f64 v[111:112], v[129:130], v[141:142], v[111:112]
	v_fma_f64 v[109:110], v[131:132], v[141:142], v[109:110]
	v_fma_f64 v[115:116], v[133:134], v[141:142], v[115:116]
	v_fma_f64 v[113:114], v[135:136], v[141:142], v[113:114]
	v_fma_f64 v[119:120], v[137:138], v[141:142], v[119:120]
	v_fma_f64 v[117:118], v[139:140], v[141:142], v[117:118]
	v_fma_f64 v[127:128], -v[127:128], v[143:144], v[107:108]
	v_fma_f64 v[141:142], v[125:126], v[143:144], v[121:122]
	v_fma_f64 v[131:132], -v[131:132], v[143:144], v[111:112]
	v_fma_f64 v[129:130], v[129:130], v[143:144], v[109:110]
	v_fma_f64 v[135:136], -v[135:136], v[143:144], v[115:116]
	v_fma_f64 v[133:134], v[133:134], v[143:144], v[113:114]
	v_fma_f64 v[139:140], -v[139:140], v[143:144], v[119:120]
	v_fma_f64 v[137:138], v[137:138], v[143:144], v[117:118]
	s_clause 0x3
	global_load_b128 v[107:110], v[39:40], off offset:32784
	global_load_b128 v[111:114], v[39:40], off offset:32848
	global_load_b128 v[115:118], v[39:40], off offset:32912
	global_load_b128 v[119:122], v[39:40], off offset:32976
	global_load_b128 v[123:126], v[145:146], off offset:16
	s_wait_loadcnt 0x15
	v_fma_f64 v[127:128], v[17:18], v[43:44], v[127:128]
	v_fma_f64 v[141:142], v[19:20], v[43:44], v[141:142]
	v_fma_f64 v[131:132], v[23:24], v[43:44], v[131:132]
	v_fma_f64 v[129:130], v[25:26], v[43:44], v[129:130]
	v_fma_f64 v[135:136], v[27:28], v[43:44], v[135:136]
	v_fma_f64 v[133:134], v[29:30], v[43:44], v[133:134]
	v_fma_f64 v[139:140], v[31:32], v[43:44], v[139:140]
	v_fma_f64 v[43:44], v[33:34], v[43:44], v[137:138]
	v_fma_f64 v[127:128], -v[19:20], v[45:46], v[127:128]
	v_fma_f64 v[137:138], v[17:18], v[45:46], v[141:142]
	v_fma_f64 v[131:132], -v[25:26], v[45:46], v[131:132]
	v_fma_f64 v[129:130], v[23:24], v[45:46], v[129:130]
	v_fma_f64 v[135:136], -v[29:30], v[45:46], v[135:136]
	v_fma_f64 v[133:134], v[27:28], v[45:46], v[133:134]
	v_fma_f64 v[139:140], -v[33:34], v[45:46], v[139:140]
	v_fma_f64 v[141:142], v[31:32], v[45:46], v[43:44]
	s_clause 0x3
	global_load_b128 v[17:20], v[39:40], off offset:32800
	global_load_b128 v[23:26], v[39:40], off offset:32864
	global_load_b128 v[27:30], v[39:40], off offset:32928
	global_load_b128 v[31:34], v[39:40], off offset:32992
	global_load_b128 v[43:46], v[145:146], off offset:32
	;; [unrolled: 23-line block ×3, first 2 shown]
	s_wait_loadcnt 0x15
	v_fma_f64 v[143:144], v[67:68], v[83:84], v[127:128]
	v_fma_f64 v[145:146], v[69:70], v[83:84], v[137:138]
	;; [unrolled: 1-line block ×8, first 2 shown]
	s_clause 0x3
	global_load_b128 v[127:130], v[39:40], off offset:49152
	global_load_b128 v[131:134], v[39:40], off offset:49216
	;; [unrolled: 1-line block ×4, first 2 shown]
	s_wait_loadcnt 0x18
	v_sub_co_u32 v157, vcc_lo, v159, v9
	s_wait_alu 0xfffd
	v_sub_co_ci_u32_e64 v158, null, v160, v10, vcc_lo
	v_fma_f64 v[143:144], -v[69:70], v[85:86], v[143:144]
	v_fma_f64 v[145:146], v[67:68], v[85:86], v[145:146]
	v_fma_f64 v[73:74], -v[73:74], v[85:86], v[147:148]
	v_fma_f64 v[71:72], v[71:72], v[85:86], v[149:150]
	;; [unrolled: 2-line block ×4, first 2 shown]
	v_lshlrev_b64_e32 v[67:68], 6, v[157:158]
	s_delay_alu instid0(VALU_DEP_1) | instskip(SKIP_1) | instid1(VALU_DEP_2)
	v_add_co_u32 v147, vcc_lo, s6, v67
	s_wait_alu 0xfffd
	v_add_co_ci_u32_e64 v148, null, s7, v68, vcc_lo
	v_add_co_u32 v37, vcc_lo, 0x100, v37
	s_wait_alu 0xfffd
	v_add_co_ci_u32_e64 v38, null, 0, v38, vcc_lo
	global_load_b128 v[67:70], v[147:148], off
	v_cmp_ge_i64_e64 s4, v[37:38], v[13:14]
	s_wait_alu 0xfffe
	s_or_b32 s11, s4, s11
	s_wait_loadcnt 0x14
	v_fma_f64 v[83:84], v[87:88], v[103:104], v[143:144]
	v_fma_f64 v[85:86], v[89:90], v[103:104], v[145:146]
	v_fma_f64 v[73:74], v[91:92], v[103:104], v[73:74]
	v_fma_f64 v[71:72], v[93:94], v[103:104], v[71:72]
	v_fma_f64 v[77:78], v[95:96], v[103:104], v[77:78]
	v_fma_f64 v[75:76], v[97:98], v[103:104], v[75:76]
	v_fma_f64 v[81:82], v[99:100], v[103:104], v[81:82]
	v_fma_f64 v[79:80], v[101:102], v[103:104], v[79:80]
	v_fma_f64 v[103:104], -v[89:90], v[105:106], v[83:84]
	v_fma_f64 v[143:144], v[87:88], v[105:106], v[85:86]
	v_fma_f64 v[93:94], -v[93:94], v[105:106], v[73:74]
	v_fma_f64 v[91:92], v[91:92], v[105:106], v[71:72]
	v_fma_f64 v[97:98], -v[97:98], v[105:106], v[77:78]
	v_fma_f64 v[95:96], v[95:96], v[105:106], v[75:76]
	v_fma_f64 v[101:102], -v[101:102], v[105:106], v[81:82]
	v_fma_f64 v[99:100], v[99:100], v[105:106], v[79:80]
	s_clause 0x3
	global_load_b128 v[71:74], v[39:40], off offset:49168
	global_load_b128 v[75:78], v[39:40], off offset:49232
	global_load_b128 v[79:82], v[39:40], off offset:49296
	global_load_b128 v[83:86], v[39:40], off offset:49360
	global_load_b128 v[87:90], v[147:148], off offset:16
	s_wait_loadcnt 0x14
	v_fma_f64 v[103:104], v[107:108], v[123:124], v[103:104]
	v_fma_f64 v[105:106], v[109:110], v[123:124], v[143:144]
	v_fma_f64 v[93:94], v[111:112], v[123:124], v[93:94]
	v_fma_f64 v[91:92], v[113:114], v[123:124], v[91:92]
	v_fma_f64 v[97:98], v[115:116], v[123:124], v[97:98]
	v_fma_f64 v[95:96], v[117:118], v[123:124], v[95:96]
	v_fma_f64 v[101:102], v[119:120], v[123:124], v[101:102]
	v_fma_f64 v[99:100], v[121:122], v[123:124], v[99:100]
	v_fma_f64 v[123:124], -v[109:110], v[125:126], v[103:104]
	v_fma_f64 v[143:144], v[107:108], v[125:126], v[105:106]
	v_fma_f64 v[113:114], -v[113:114], v[125:126], v[93:94]
	v_fma_f64 v[111:112], v[111:112], v[125:126], v[91:92]
	v_fma_f64 v[117:118], -v[117:118], v[125:126], v[97:98]
	v_fma_f64 v[115:116], v[115:116], v[125:126], v[95:96]
	v_fma_f64 v[121:122], -v[121:122], v[125:126], v[101:102]
	v_fma_f64 v[119:120], v[119:120], v[125:126], v[99:100]
	s_clause 0x3
	global_load_b128 v[91:94], v[39:40], off offset:49184
	global_load_b128 v[95:98], v[39:40], off offset:49248
	global_load_b128 v[99:102], v[39:40], off offset:49312
	global_load_b128 v[103:106], v[39:40], off offset:49376
	global_load_b128 v[107:110], v[147:148], off offset:32
	;; [unrolled: 23-line block ×3, first 2 shown]
	v_add_co_u32 v39, vcc_lo, 0x10000, v39
	s_wait_alu 0xfffd
	v_add_co_ci_u32_e64 v40, null, 0, v40, vcc_lo
	s_wait_loadcnt 0x14
	v_fma_f64 v[119:120], v[47:48], v[63:64], v[119:120]
	v_fma_f64 v[121:122], v[49:50], v[63:64], v[123:124]
	v_fma_f64 v[25:26], v[51:52], v[63:64], v[25:26]
	v_fma_f64 v[23:24], v[53:54], v[63:64], v[23:24]
	v_fma_f64 v[123:124], v[55:56], v[63:64], v[125:126]
	v_fma_f64 v[125:126], v[57:58], v[63:64], v[143:144]
	v_fma_f64 v[33:34], v[59:60], v[63:64], v[33:34]
	v_fma_f64 v[31:32], v[61:62], v[63:64], v[31:32]
	v_fma_f64 v[49:50], -v[49:50], v[65:66], v[119:120]
	v_fma_f64 v[47:48], v[47:48], v[65:66], v[121:122]
	v_fma_f64 v[25:26], -v[53:54], v[65:66], v[25:26]
	v_fma_f64 v[23:24], v[51:52], v[65:66], v[23:24]
	v_fma_f64 v[51:52], -v[57:58], v[65:66], v[123:124]
	v_fma_f64 v[53:54], v[55:56], v[65:66], v[125:126]
	v_fma_f64 v[33:34], -v[61:62], v[65:66], v[33:34]
	v_fma_f64 v[31:32], v[59:60], v[65:66], v[31:32]
	s_wait_loadcnt 0xf
	v_fma_f64 v[49:50], v[127:128], v[67:68], v[49:50]
	v_fma_f64 v[47:48], v[129:130], v[67:68], v[47:48]
	v_fma_f64 v[25:26], v[131:132], v[67:68], v[25:26]
	v_fma_f64 v[23:24], v[133:134], v[67:68], v[23:24]
	v_fma_f64 v[51:52], v[135:136], v[67:68], v[51:52]
	v_fma_f64 v[53:54], v[137:138], v[67:68], v[53:54]
	v_fma_f64 v[33:34], v[139:140], v[67:68], v[33:34]
	v_fma_f64 v[31:32], v[141:142], v[67:68], v[31:32]
	v_fma_f64 v[49:50], -v[129:130], v[69:70], v[49:50]
	v_fma_f64 v[47:48], v[127:128], v[69:70], v[47:48]
	v_fma_f64 v[25:26], -v[133:134], v[69:70], v[25:26]
	v_fma_f64 v[23:24], v[131:132], v[69:70], v[23:24]
	v_fma_f64 v[51:52], -v[137:138], v[69:70], v[51:52]
	v_fma_f64 v[53:54], v[135:136], v[69:70], v[53:54]
	v_fma_f64 v[33:34], -v[141:142], v[69:70], v[33:34]
	v_fma_f64 v[31:32], v[139:140], v[69:70], v[31:32]
	;; [unrolled: 17-line block ×5, first 2 shown]
	s_wait_alu 0xfffe
	s_and_not1_b32 exec_lo, exec_lo, s11
	s_cbranch_execnz .LBB59_21
; %bb.22:
	s_or_b32 exec_lo, exec_lo, s11
.LBB59_23:
	s_wait_alu 0xfffe
	s_or_b32 exec_lo, exec_lo, s10
.LBB59_24:
	s_wait_alu 0xfffe
	s_or_b32 exec_lo, exec_lo, s5
	s_cbranch_execz .LBB59_26
	s_branch .LBB59_37
.LBB59_25:
                                        ; implicit-def: $vgpr17_vgpr18
                                        ; implicit-def: $vgpr25_vgpr26
                                        ; implicit-def: $vgpr23_vgpr24
                                        ; implicit-def: $vgpr27_vgpr28
                                        ; implicit-def: $vgpr31_vgpr32
                                        ; implicit-def: $vgpr29_vgpr30
                                        ; implicit-def: $vgpr33_vgpr34
                                        ; implicit-def: $vgpr19_vgpr20
.LBB59_26:
	v_mov_b32_e32 v17, 0
	v_mov_b32_e32 v23, 0
	;; [unrolled: 1-line block ×3, first 2 shown]
	v_dual_mov_b32 v33, 0 :: v_dual_mov_b32 v18, 0
	v_dual_mov_b32 v25, 0 :: v_dual_mov_b32 v24, 0
	;; [unrolled: 1-line block ×5, first 2 shown]
	v_mov_b32_e32 v28, 0
	v_mov_b32_e32 v30, 0
	;; [unrolled: 1-line block ×3, first 2 shown]
	s_and_saveexec_b32 s3, s2
	s_cbranch_execz .LBB59_36
; %bb.27:
	v_or_b32_e32 v17, 64, v0
	v_not_b32_e32 v19, v35
	v_sub_co_u32 v20, s2, v9, v0
	v_not_b32_e32 v23, v36
	s_delay_alu instid0(VALU_DEP_4)
	v_sub_co_u32 v17, vcc_lo, v17, v9
	s_wait_alu 0xfffd
	v_sub_co_ci_u32_e64 v18, null, 0, v10, vcc_lo
	s_wait_alu 0xf1ff
	v_subrev_co_ci_u32_e64 v24, null, 0, v10, s2
	v_add_co_u32 v17, vcc_lo, v17, v35
	s_wait_alu 0xfffd
	v_add_co_ci_u32_e64 v18, null, v18, v36, vcc_lo
	v_add_co_u32 v25, s2, v20, v19
	s_wait_alu 0xf1ff
	v_add_co_ci_u32_e64 v23, null, v24, v23, s2
	s_delay_alu instid0(VALU_DEP_3)
	v_cmp_gt_i64_e32 vcc_lo, v[17:18], v[13:14]
	v_dual_mov_b32 v38, 0 :: v_dual_mov_b32 v31, 0
	v_dual_mov_b32 v32, 0 :: v_dual_mov_b32 v27, 0
	s_wait_alu 0xfffd
	v_dual_mov_b32 v19, 0 :: v_dual_cndmask_b32 v18, v14, v18
	v_dual_cndmask_b32 v17, v13, v17 :: v_dual_mov_b32 v20, 0
	v_mov_b32_e32 v33, 0
	v_dual_mov_b32 v34, 0 :: v_dual_mov_b32 v29, 0
	s_delay_alu instid0(VALU_DEP_3)
	v_add_co_u32 v35, vcc_lo, v25, v17
	s_wait_alu 0xfffd
	v_add_co_ci_u32_e64 v36, null, v23, v18, vcc_lo
	v_mov_b32_e32 v23, 0
	v_dual_mov_b32 v24, 0 :: v_dual_mov_b32 v25, 0
	v_dual_mov_b32 v17, 0 :: v_dual_mov_b32 v30, 0
	v_dual_mov_b32 v28, 0 :: v_dual_and_b32 v37, 0xc0, v35
	v_mov_b32_e32 v26, 0
	v_mov_b32_e32 v18, 0
	s_mov_b32 s4, exec_lo
	s_delay_alu instid0(VALU_DEP_3)
	v_cmpx_ne_u64_e32 0xc0, v[37:38]
	s_cbranch_execz .LBB59_31
; %bb.28:
	v_lshrrev_b32_e32 v27, 6, v35
	v_mov_b32_e32 v23, 0
	v_mov_b32_e32 v24, 0
	v_lshlrev_b64_e32 v[19:20], 3, v[11:12]
	v_mov_b32_e32 v31, 0
	v_add_nc_u32_e32 v27, 1, v27
	v_mov_b32_e32 v17, 0
	v_dual_mov_b32 v18, 0 :: v_dual_mov_b32 v25, 0
	v_add_co_u32 v37, vcc_lo, s8, v19
	s_delay_alu instid0(VALU_DEP_4) | instskip(SKIP_3) | instid1(VALU_DEP_3)
	v_dual_mov_b32 v32, 0 :: v_dual_and_b32 v39, 3, v27
	s_wait_alu 0xfffd
	v_add_co_ci_u32_e64 v38, null, s9, v20, vcc_lo
	v_mov_b32_e32 v27, 0
	v_sub_co_u32 v39, s2, 0, v39
	v_mov_b32_e32 v29, 0
	v_mov_b32_e32 v33, 0
	v_dual_mov_b32 v19, 0 :: v_dual_mov_b32 v26, 0
	v_mov_b32_e32 v28, 0
	v_mov_b32_e32 v30, 0
	;; [unrolled: 1-line block ×4, first 2 shown]
	s_wait_alu 0xf1ff
	v_sub_co_ci_u32_e64 v40, null, 0, 0, s2
	s_mov_b32 s5, 0
.LBB59_29:                              ; =>This Inner Loop Header: Depth=1
	global_load_b64 v[57:58], v[37:38], off
	s_clause 0x3
	global_load_b128 v[41:44], v[15:16], off offset:48
	global_load_b128 v[45:48], v[15:16], off offset:32
	global_load_b128 v[49:52], v[15:16], off offset:16
	global_load_b128 v[53:56], v[15:16], off
	v_add_co_u32 v37, s2, 0x200, v37
	s_wait_alu 0xf1ff
	v_add_co_ci_u32_e64 v38, null, 0, v38, s2
	s_wait_loadcnt 0x4
	v_sub_co_u32 v57, vcc_lo, v57, v9
	s_wait_alu 0xfffd
	v_sub_co_ci_u32_e64 v58, null, v58, v10, vcc_lo
	s_delay_alu instid0(VALU_DEP_1) | instskip(SKIP_1) | instid1(VALU_DEP_1)
	v_lshlrev_b64_e32 v[57:58], 6, v[57:58]
	s_wait_kmcnt 0x0
	v_add_co_u32 v101, vcc_lo, s6, v57
	s_wait_alu 0xfffd
	s_delay_alu instid0(VALU_DEP_2)
	v_add_co_ci_u32_e64 v102, null, s7, v58, vcc_lo
	s_clause 0x1
	global_load_b128 v[57:60], v[101:102], off
	global_load_b128 v[61:64], v[101:102], off offset:16
	s_clause 0x7
	global_load_b128 v[65:68], v[15:16], off offset:64
	global_load_b128 v[69:72], v[15:16], off offset:80
	;; [unrolled: 1-line block ×8, first 2 shown]
	s_clause 0x1
	global_load_b128 v[97:100], v[101:102], off offset:32
	global_load_b128 v[101:104], v[101:102], off offset:48
	s_clause 0x3
	global_load_b128 v[105:108], v[15:16], off offset:192
	global_load_b128 v[109:112], v[15:16], off offset:208
	;; [unrolled: 1-line block ×4, first 2 shown]
	v_add_co_u32 v15, vcc_lo, 0x4000, v15
	s_wait_alu 0xfffd
	v_add_co_ci_u32_e64 v16, null, 0, v16, vcc_lo
	v_add_co_u32 v39, vcc_lo, v39, 1
	s_wait_alu 0xfffd
	v_add_co_ci_u32_e64 v40, null, 0, v40, vcc_lo
	v_add_co_u32 v11, vcc_lo, v11, 64
	s_wait_alu 0xfffd
	v_add_co_ci_u32_e64 v12, null, 0, v12, vcc_lo
	s_delay_alu instid0(VALU_DEP_3)
	v_cmp_eq_u64_e32 vcc_lo, 0, v[39:40]
	s_wait_alu 0xfffe
	s_or_b32 s5, vcc_lo, s5
	s_wait_loadcnt 0xf
	v_fma_f64 v[25:26], v[53:54], v[57:58], v[25:26]
	v_fma_f64 v[17:18], v[55:56], v[57:58], v[17:18]
	;; [unrolled: 1-line block ×8, first 2 shown]
	v_fma_f64 v[25:26], -v[55:56], v[59:60], v[25:26]
	v_fma_f64 v[17:18], v[53:54], v[59:60], v[17:18]
	v_fma_f64 v[33:34], -v[51:52], v[59:60], v[33:34]
	v_fma_f64 v[19:20], v[49:50], v[59:60], v[19:20]
	;; [unrolled: 2-line block ×4, first 2 shown]
	s_wait_loadcnt 0xd
	v_fma_f64 v[25:26], v[65:66], v[61:62], v[25:26]
	v_fma_f64 v[17:18], v[67:68], v[61:62], v[17:18]
	s_wait_loadcnt 0xc
	v_fma_f64 v[33:34], v[69:70], v[61:62], v[33:34]
	v_fma_f64 v[19:20], v[71:72], v[61:62], v[19:20]
	;; [unrolled: 3-line block ×4, first 2 shown]
	v_fma_f64 v[25:26], -v[67:68], v[63:64], v[25:26]
	v_fma_f64 v[17:18], v[65:66], v[63:64], v[17:18]
	v_fma_f64 v[33:34], -v[71:72], v[63:64], v[33:34]
	v_fma_f64 v[19:20], v[69:70], v[63:64], v[19:20]
	;; [unrolled: 2-line block ×4, first 2 shown]
	s_wait_loadcnt 0x5
	v_fma_f64 v[25:26], v[93:94], v[97:98], v[25:26]
	v_fma_f64 v[17:18], v[95:96], v[97:98], v[17:18]
	;; [unrolled: 1-line block ×8, first 2 shown]
	v_fma_f64 v[25:26], -v[95:96], v[99:100], v[25:26]
	v_fma_f64 v[17:18], v[93:94], v[99:100], v[17:18]
	v_fma_f64 v[33:34], -v[91:92], v[99:100], v[33:34]
	v_fma_f64 v[19:20], v[89:90], v[99:100], v[19:20]
	;; [unrolled: 2-line block ×4, first 2 shown]
	s_wait_loadcnt 0x3
	v_fma_f64 v[25:26], v[105:106], v[101:102], v[25:26]
	v_fma_f64 v[17:18], v[107:108], v[101:102], v[17:18]
	s_wait_loadcnt 0x2
	v_fma_f64 v[33:34], v[109:110], v[101:102], v[33:34]
	v_fma_f64 v[19:20], v[111:112], v[101:102], v[19:20]
	;; [unrolled: 3-line block ×4, first 2 shown]
	v_fma_f64 v[25:26], -v[107:108], v[103:104], v[25:26]
	v_fma_f64 v[17:18], v[105:106], v[103:104], v[17:18]
	v_fma_f64 v[33:34], -v[111:112], v[103:104], v[33:34]
	v_fma_f64 v[19:20], v[109:110], v[103:104], v[19:20]
	;; [unrolled: 2-line block ×4, first 2 shown]
	s_wait_alu 0xfffe
	s_and_not1_b32 exec_lo, exec_lo, s5
	s_cbranch_execnz .LBB59_29
; %bb.30:
	s_or_b32 exec_lo, exec_lo, s5
.LBB59_31:
	s_wait_alu 0xfffe
	s_or_b32 exec_lo, exec_lo, s4
	s_delay_alu instid0(SALU_CYCLE_1)
	s_mov_b32 s4, exec_lo
	v_cmpx_lt_u64_e32 0xbf, v[35:36]
	s_cbranch_execz .LBB59_35
; %bb.32:
	v_lshlrev_b64_e32 v[35:36], 3, v[11:12]
	s_mov_b32 s5, 0
	s_delay_alu instid0(VALU_DEP_1) | instskip(SKIP_1) | instid1(VALU_DEP_2)
	v_add_co_u32 v35, vcc_lo, s8, v35
	s_wait_alu 0xfffd
	v_add_co_ci_u32_e64 v36, null, s9, v36, vcc_lo
	s_delay_alu instid0(VALU_DEP_2) | instskip(SKIP_1) | instid1(VALU_DEP_2)
	v_add_co_u32 v35, vcc_lo, 0x400, v35
	s_wait_alu 0xfffd
	v_add_co_ci_u32_e64 v36, null, 0, v36, vcc_lo
.LBB59_33:                              ; =>This Inner Loop Header: Depth=1
	s_clause 0x1
	global_load_b64 v[37:38], v[35:36], off offset:-1024
	global_load_b64 v[135:136], v[35:36], off offset:-512
	s_clause 0x3
	global_load_b128 v[39:42], v[15:16], off offset:48
	global_load_b128 v[43:46], v[15:16], off offset:32
	;; [unrolled: 1-line block ×3, first 2 shown]
	global_load_b128 v[51:54], v[15:16], off
	s_clause 0x1
	global_load_b64 v[139:140], v[35:36], off
	global_load_b64 v[141:142], v[35:36], off offset:512
	v_add_co_u32 v35, s2, 0x800, v35
	s_wait_alu 0xf1ff
	v_add_co_ci_u32_e64 v36, null, 0, v36, s2
	s_wait_loadcnt 0x7
	v_sub_co_u32 v37, vcc_lo, v37, v9
	s_wait_alu 0xfffd
	v_sub_co_ci_u32_e64 v38, null, v38, v10, vcc_lo
	s_delay_alu instid0(VALU_DEP_1) | instskip(SKIP_1) | instid1(VALU_DEP_1)
	v_lshlrev_b64_e32 v[37:38], 6, v[37:38]
	s_wait_kmcnt 0x0
	v_add_co_u32 v37, vcc_lo, s6, v37
	s_wait_alu 0xfffd
	s_delay_alu instid0(VALU_DEP_2)
	v_add_co_ci_u32_e64 v38, null, s7, v38, vcc_lo
	global_load_b128 v[55:58], v[37:38], off
	s_clause 0x3
	global_load_b128 v[59:62], v[15:16], off offset:64
	global_load_b128 v[63:66], v[15:16], off offset:80
	global_load_b128 v[67:70], v[15:16], off offset:96
	global_load_b128 v[71:74], v[15:16], off offset:112
	global_load_b128 v[75:78], v[37:38], off offset:16
	s_clause 0x3
	global_load_b128 v[79:82], v[15:16], off offset:176
	global_load_b128 v[83:86], v[15:16], off offset:160
	global_load_b128 v[87:90], v[15:16], off offset:144
	global_load_b128 v[91:94], v[15:16], off offset:128
	global_load_b128 v[95:98], v[37:38], off offset:32
	;; [unrolled: 6-line block ×3, first 2 shown]
	s_clause 0x3
	global_load_b128 v[119:122], v[15:16], off offset:16432
	global_load_b128 v[123:126], v[15:16], off offset:16416
	;; [unrolled: 1-line block ×4, first 2 shown]
	s_wait_loadcnt 0x1a
	v_sub_co_u32 v37, vcc_lo, v135, v9
	s_wait_alu 0xfffd
	v_sub_co_ci_u32_e64 v38, null, v136, v10, vcc_lo
	s_delay_alu instid0(VALU_DEP_1) | instskip(NEXT) | instid1(VALU_DEP_1)
	v_lshlrev_b64_e32 v[37:38], 6, v[37:38]
	v_add_co_u32 v143, vcc_lo, s6, v37
	s_wait_alu 0xfffd
	s_delay_alu instid0(VALU_DEP_2)
	v_add_co_ci_u32_e64 v144, null, s7, v38, vcc_lo
	s_wait_loadcnt 0x15
	v_sub_co_u32 v139, vcc_lo, v139, v9
	s_wait_alu 0xfffd
	v_sub_co_ci_u32_e64 v140, null, v140, v10, vcc_lo
	global_load_b128 v[135:138], v[143:144], off
	s_wait_loadcnt 0x14
	v_fma_f64 v[25:26], v[51:52], v[55:56], v[25:26]
	v_fma_f64 v[17:18], v[53:54], v[55:56], v[17:18]
	v_fma_f64 v[33:34], v[47:48], v[55:56], v[33:34]
	v_fma_f64 v[19:20], v[49:50], v[55:56], v[19:20]
	v_fma_f64 v[31:32], v[43:44], v[55:56], v[31:32]
	v_fma_f64 v[29:30], v[45:46], v[55:56], v[29:30]
	v_fma_f64 v[23:24], v[39:40], v[55:56], v[23:24]
	v_fma_f64 v[27:28], v[41:42], v[55:56], v[27:28]
	v_fma_f64 v[53:54], -v[53:54], v[57:58], v[25:26]
	v_fma_f64 v[51:52], v[51:52], v[57:58], v[17:18]
	v_fma_f64 v[49:50], -v[49:50], v[57:58], v[33:34]
	v_fma_f64 v[47:48], v[47:48], v[57:58], v[19:20]
	v_fma_f64 v[45:46], -v[45:46], v[57:58], v[31:32]
	v_fma_f64 v[43:44], v[43:44], v[57:58], v[29:30]
	v_fma_f64 v[41:42], -v[41:42], v[57:58], v[23:24]
	v_fma_f64 v[55:56], v[39:40], v[57:58], v[27:28]
	s_clause 0x3
	global_load_b128 v[17:20], v[15:16], off offset:16448
	global_load_b128 v[23:26], v[15:16], off offset:16464
	global_load_b128 v[27:30], v[15:16], off offset:16480
	global_load_b128 v[31:34], v[15:16], off offset:16496
	global_load_b128 v[37:40], v[143:144], off offset:16
	s_wait_loadcnt 0x14
	v_fma_f64 v[53:54], v[59:60], v[75:76], v[53:54]
	v_fma_f64 v[51:52], v[61:62], v[75:76], v[51:52]
	v_fma_f64 v[49:50], v[63:64], v[75:76], v[49:50]
	v_fma_f64 v[47:48], v[65:66], v[75:76], v[47:48]
	v_fma_f64 v[45:46], v[67:68], v[75:76], v[45:46]
	v_fma_f64 v[43:44], v[69:70], v[75:76], v[43:44]
	v_fma_f64 v[41:42], v[71:72], v[75:76], v[41:42]
	v_fma_f64 v[55:56], v[73:74], v[75:76], v[55:56]
	v_fma_f64 v[61:62], -v[61:62], v[77:78], v[53:54]
	v_fma_f64 v[75:76], v[59:60], v[77:78], v[51:52]
	v_fma_f64 v[65:66], -v[65:66], v[77:78], v[49:50]
	v_fma_f64 v[63:64], v[63:64], v[77:78], v[47:48]
	v_fma_f64 v[69:70], -v[69:70], v[77:78], v[45:46]
	v_fma_f64 v[67:68], v[67:68], v[77:78], v[43:44]
	v_fma_f64 v[73:74], -v[73:74], v[77:78], v[41:42]
	v_fma_f64 v[71:72], v[71:72], v[77:78], v[55:56]
	s_clause 0x3
	global_load_b128 v[41:44], v[15:16], off offset:16560
	global_load_b128 v[45:48], v[15:16], off offset:16544
	global_load_b128 v[49:52], v[15:16], off offset:16528
	global_load_b128 v[53:56], v[15:16], off offset:16512
	global_load_b128 v[57:60], v[143:144], off offset:32
	;; [unrolled: 23-line block ×3, first 2 shown]
	s_wait_loadcnt 0x14
	v_fma_f64 v[97:98], v[99:100], v[115:116], v[93:94]
	v_fma_f64 v[143:144], v[101:102], v[115:116], v[91:92]
	;; [unrolled: 1-line block ×8, first 2 shown]
	s_clause 0x3
	global_load_b128 v[81:84], v[15:16], off offset:32816
	global_load_b128 v[85:88], v[15:16], off offset:32800
	;; [unrolled: 1-line block ×4, first 2 shown]
	v_fma_f64 v[101:102], -v[101:102], v[117:118], v[97:98]
	v_fma_f64 v[143:144], v[99:100], v[117:118], v[143:144]
	v_fma_f64 v[105:106], -v[105:106], v[117:118], v[145:146]
	v_fma_f64 v[103:104], v[103:104], v[117:118], v[147:148]
	;; [unrolled: 2-line block ×4, first 2 shown]
	v_lshlrev_b64_e32 v[97:98], 6, v[139:140]
	s_delay_alu instid0(VALU_DEP_1) | instskip(SKIP_1) | instid1(VALU_DEP_2)
	v_add_co_u32 v139, vcc_lo, s6, v97
	s_wait_alu 0xfffd
	v_add_co_ci_u32_e64 v140, null, s7, v98, vcc_lo
	v_sub_co_u32 v141, vcc_lo, v141, v9
	s_wait_alu 0xfffd
	v_sub_co_ci_u32_e64 v142, null, v142, v10, vcc_lo
	global_load_b128 v[97:100], v[139:140], off
	s_wait_loadcnt 0x14
	v_fma_f64 v[101:102], v[131:132], v[135:136], v[101:102]
	v_fma_f64 v[115:116], v[133:134], v[135:136], v[143:144]
	v_fma_f64 v[105:106], v[127:128], v[135:136], v[105:106]
	v_fma_f64 v[103:104], v[129:130], v[135:136], v[103:104]
	v_fma_f64 v[109:110], v[123:124], v[135:136], v[109:110]
	v_fma_f64 v[107:108], v[125:126], v[135:136], v[107:108]
	v_fma_f64 v[113:114], v[119:120], v[135:136], v[113:114]
	v_fma_f64 v[111:112], v[121:122], v[135:136], v[111:112]
	v_fma_f64 v[133:134], -v[133:134], v[137:138], v[101:102]
	v_fma_f64 v[131:132], v[131:132], v[137:138], v[115:116]
	v_fma_f64 v[129:130], -v[129:130], v[137:138], v[105:106]
	v_fma_f64 v[127:128], v[127:128], v[137:138], v[103:104]
	v_fma_f64 v[125:126], -v[125:126], v[137:138], v[109:110]
	v_fma_f64 v[123:124], v[123:124], v[137:138], v[107:108]
	v_fma_f64 v[121:122], -v[121:122], v[137:138], v[113:114]
	v_fma_f64 v[135:136], v[119:120], v[137:138], v[111:112]
	s_clause 0x3
	global_load_b128 v[101:104], v[15:16], off offset:32832
	global_load_b128 v[105:108], v[15:16], off offset:32848
	global_load_b128 v[109:112], v[15:16], off offset:32864
	global_load_b128 v[113:116], v[15:16], off offset:32880
	global_load_b128 v[117:120], v[139:140], off offset:16
	s_wait_loadcnt 0x14
	v_fma_f64 v[133:134], v[17:18], v[37:38], v[133:134]
	v_fma_f64 v[131:132], v[19:20], v[37:38], v[131:132]
	v_fma_f64 v[129:130], v[23:24], v[37:38], v[129:130]
	v_fma_f64 v[127:128], v[25:26], v[37:38], v[127:128]
	v_fma_f64 v[125:126], v[27:28], v[37:38], v[125:126]
	v_fma_f64 v[123:124], v[29:30], v[37:38], v[123:124]
	v_fma_f64 v[121:122], v[31:32], v[37:38], v[121:122]
	v_fma_f64 v[37:38], v[33:34], v[37:38], v[135:136]
	v_fma_f64 v[133:134], -v[19:20], v[39:40], v[133:134]
	v_fma_f64 v[131:132], v[17:18], v[39:40], v[131:132]
	v_fma_f64 v[129:130], -v[25:26], v[39:40], v[129:130]
	v_fma_f64 v[127:128], v[23:24], v[39:40], v[127:128]
	v_fma_f64 v[125:126], -v[29:30], v[39:40], v[125:126]
	v_fma_f64 v[123:124], v[27:28], v[39:40], v[123:124]
	v_fma_f64 v[121:122], -v[33:34], v[39:40], v[121:122]
	v_fma_f64 v[135:136], v[31:32], v[39:40], v[37:38]
	s_clause 0x3
	global_load_b128 v[17:20], v[15:16], off offset:32944
	global_load_b128 v[23:26], v[15:16], off offset:32928
	global_load_b128 v[27:30], v[15:16], off offset:32912
	global_load_b128 v[31:34], v[15:16], off offset:32896
	global_load_b128 v[37:40], v[139:140], off offset:32
	s_wait_loadcnt 0x14
	v_fma_f64 v[133:134], v[53:54], v[57:58], v[133:134]
	v_fma_f64 v[131:132], v[55:56], v[57:58], v[131:132]
	v_fma_f64 v[129:130], v[49:50], v[57:58], v[129:130]
	v_fma_f64 v[127:128], v[51:52], v[57:58], v[127:128]
	v_fma_f64 v[125:126], v[45:46], v[57:58], v[125:126]
	v_fma_f64 v[123:124], v[47:48], v[57:58], v[123:124]
	v_fma_f64 v[121:122], v[41:42], v[57:58], v[121:122]
	v_fma_f64 v[57:58], v[43:44], v[57:58], v[135:136]
	v_fma_f64 v[133:134], -v[55:56], v[59:60], v[133:134]
	v_fma_f64 v[131:132], v[53:54], v[59:60], v[131:132]
	v_fma_f64 v[129:130], -v[51:52], v[59:60], v[129:130]
	v_fma_f64 v[127:128], v[49:50], v[59:60], v[127:128]
	v_fma_f64 v[125:126], -v[47:48], v[59:60], v[125:126]
	v_fma_f64 v[123:124], v[45:46], v[59:60], v[123:124]
	v_fma_f64 v[121:122], -v[43:44], v[59:60], v[121:122]
	v_fma_f64 v[135:136], v[41:42], v[59:60], v[57:58]
	s_clause 0x3
	global_load_b128 v[41:44], v[15:16], off offset:32960
	global_load_b128 v[45:48], v[15:16], off offset:32976
	global_load_b128 v[49:52], v[15:16], off offset:32992
	global_load_b128 v[53:56], v[15:16], off offset:33008
	global_load_b128 v[57:60], v[139:140], off offset:48
	s_wait_loadcnt 0x14
	v_fma_f64 v[137:138], v[61:62], v[77:78], v[133:134]
	v_fma_f64 v[139:140], v[63:64], v[77:78], v[131:132]
	;; [unrolled: 1-line block ×8, first 2 shown]
	s_clause 0x3
	global_load_b128 v[121:124], v[15:16], off offset:49200
	global_load_b128 v[125:128], v[15:16], off offset:49184
	;; [unrolled: 1-line block ×4, first 2 shown]
	v_fma_f64 v[137:138], -v[63:64], v[79:80], v[137:138]
	v_fma_f64 v[139:140], v[61:62], v[79:80], v[139:140]
	v_fma_f64 v[67:68], -v[67:68], v[79:80], v[143:144]
	v_fma_f64 v[65:66], v[65:66], v[79:80], v[145:146]
	;; [unrolled: 2-line block ×4, first 2 shown]
	v_lshlrev_b64_e32 v[61:62], 6, v[141:142]
	s_delay_alu instid0(VALU_DEP_1) | instskip(SKIP_1) | instid1(VALU_DEP_2)
	v_add_co_u32 v141, vcc_lo, s6, v61
	s_wait_alu 0xfffd
	v_add_co_ci_u32_e64 v142, null, s7, v62, vcc_lo
	v_add_co_u32 v11, vcc_lo, 0x100, v11
	s_wait_alu 0xfffd
	v_add_co_ci_u32_e64 v12, null, 0, v12, vcc_lo
	global_load_b128 v[61:64], v[141:142], off
	s_wait_loadcnt 0x14
	v_fma_f64 v[77:78], v[93:94], v[97:98], v[137:138]
	v_fma_f64 v[79:80], v[95:96], v[97:98], v[139:140]
	v_fma_f64 v[67:68], v[89:90], v[97:98], v[67:68]
	v_fma_f64 v[65:66], v[91:92], v[97:98], v[65:66]
	v_fma_f64 v[71:72], v[85:86], v[97:98], v[71:72]
	v_fma_f64 v[69:70], v[87:88], v[97:98], v[69:70]
	v_fma_f64 v[75:76], v[81:82], v[97:98], v[75:76]
	v_fma_f64 v[73:74], v[83:84], v[97:98], v[73:74]
	v_fma_f64 v[95:96], -v[95:96], v[99:100], v[77:78]
	v_fma_f64 v[93:94], v[93:94], v[99:100], v[79:80]
	v_fma_f64 v[91:92], -v[91:92], v[99:100], v[67:68]
	v_fma_f64 v[89:90], v[89:90], v[99:100], v[65:66]
	v_fma_f64 v[87:88], -v[87:88], v[99:100], v[71:72]
	v_fma_f64 v[85:86], v[85:86], v[99:100], v[69:70]
	v_fma_f64 v[97:98], -v[83:84], v[99:100], v[75:76]
	v_fma_f64 v[99:100], v[81:82], v[99:100], v[73:74]
	s_clause 0x3
	global_load_b128 v[65:68], v[15:16], off offset:49216
	global_load_b128 v[69:72], v[15:16], off offset:49232
	global_load_b128 v[73:76], v[15:16], off offset:49248
	global_load_b128 v[77:80], v[15:16], off offset:49264
	global_load_b128 v[81:84], v[141:142], off offset:16
	s_wait_loadcnt 0x14
	v_fma_f64 v[95:96], v[101:102], v[117:118], v[95:96]
	v_fma_f64 v[93:94], v[103:104], v[117:118], v[93:94]
	v_fma_f64 v[91:92], v[105:106], v[117:118], v[91:92]
	v_fma_f64 v[89:90], v[107:108], v[117:118], v[89:90]
	v_fma_f64 v[87:88], v[109:110], v[117:118], v[87:88]
	v_fma_f64 v[85:86], v[111:112], v[117:118], v[85:86]
	v_fma_f64 v[97:98], v[113:114], v[117:118], v[97:98]
	v_fma_f64 v[99:100], v[115:116], v[117:118], v[99:100]
	v_fma_f64 v[117:118], -v[103:104], v[119:120], v[95:96]
	v_fma_f64 v[137:138], v[101:102], v[119:120], v[93:94]
	v_fma_f64 v[107:108], -v[107:108], v[119:120], v[91:92]
	v_fma_f64 v[105:106], v[105:106], v[119:120], v[89:90]
	v_fma_f64 v[111:112], -v[111:112], v[119:120], v[87:88]
	v_fma_f64 v[109:110], v[109:110], v[119:120], v[85:86]
	v_fma_f64 v[115:116], -v[115:116], v[119:120], v[97:98]
	v_fma_f64 v[113:114], v[113:114], v[119:120], v[99:100]
	s_clause 0x3
	global_load_b128 v[85:88], v[15:16], off offset:49328
	global_load_b128 v[89:92], v[15:16], off offset:49312
	global_load_b128 v[93:96], v[15:16], off offset:49296
	global_load_b128 v[97:100], v[15:16], off offset:49280
	global_load_b128 v[101:104], v[141:142], off offset:32
	;; [unrolled: 23-line block ×3, first 2 shown]
	v_add_co_u32 v15, vcc_lo, 0x10000, v15
	s_wait_alu 0xfffd
	v_add_co_ci_u32_e64 v16, null, 0, v16, vcc_lo
	v_cmp_ge_i64_e32 vcc_lo, v[11:12], v[13:14]
	s_wait_alu 0xfffe
	s_or_b32 s5, vcc_lo, s5
	s_wait_loadcnt 0x14
	v_fma_f64 v[33:34], v[41:42], v[57:58], v[33:34]
	v_fma_f64 v[31:32], v[43:44], v[57:58], v[31:32]
	v_fma_f64 v[113:114], v[45:46], v[57:58], v[113:114]
	v_fma_f64 v[117:118], v[47:48], v[57:58], v[117:118]
	v_fma_f64 v[25:26], v[49:50], v[57:58], v[25:26]
	v_fma_f64 v[23:24], v[51:52], v[57:58], v[23:24]
	v_fma_f64 v[115:116], v[53:54], v[57:58], v[115:116]
	v_fma_f64 v[57:58], v[55:56], v[57:58], v[119:120]
	v_fma_f64 v[33:34], -v[43:44], v[59:60], v[33:34]
	v_fma_f64 v[31:32], v[41:42], v[59:60], v[31:32]
	v_fma_f64 v[41:42], -v[47:48], v[59:60], v[113:114]
	v_fma_f64 v[43:44], v[45:46], v[59:60], v[117:118]
	v_fma_f64 v[25:26], -v[51:52], v[59:60], v[25:26]
	v_fma_f64 v[23:24], v[49:50], v[59:60], v[23:24]
	v_fma_f64 v[45:46], -v[55:56], v[59:60], v[115:116]
	v_fma_f64 v[47:48], v[53:54], v[59:60], v[57:58]
	s_wait_loadcnt 0xf
	v_fma_f64 v[33:34], v[133:134], v[61:62], v[33:34]
	v_fma_f64 v[31:32], v[135:136], v[61:62], v[31:32]
	v_fma_f64 v[41:42], v[129:130], v[61:62], v[41:42]
	v_fma_f64 v[43:44], v[131:132], v[61:62], v[43:44]
	v_fma_f64 v[25:26], v[125:126], v[61:62], v[25:26]
	v_fma_f64 v[23:24], v[127:128], v[61:62], v[23:24]
	v_fma_f64 v[45:46], v[121:122], v[61:62], v[45:46]
	v_fma_f64 v[47:48], v[123:124], v[61:62], v[47:48]
	v_fma_f64 v[33:34], -v[135:136], v[63:64], v[33:34]
	v_fma_f64 v[31:32], v[133:134], v[63:64], v[31:32]
	v_fma_f64 v[41:42], -v[131:132], v[63:64], v[41:42]
	v_fma_f64 v[43:44], v[129:130], v[63:64], v[43:44]
	v_fma_f64 v[25:26], -v[127:128], v[63:64], v[25:26]
	v_fma_f64 v[23:24], v[125:126], v[63:64], v[23:24]
	v_fma_f64 v[45:46], -v[123:124], v[63:64], v[45:46]
	v_fma_f64 v[47:48], v[121:122], v[63:64], v[47:48]
	;; [unrolled: 17-line block ×5, first 2 shown]
	s_wait_alu 0xfffe
	s_and_not1_b32 exec_lo, exec_lo, s5
	s_cbranch_execnz .LBB59_33
; %bb.34:
	s_or_b32 exec_lo, exec_lo, s5
.LBB59_35:
	s_wait_alu 0xfffe
	s_or_b32 exec_lo, exec_lo, s4
.LBB59_36:
	s_wait_alu 0xfffe
	s_or_b32 exec_lo, exec_lo, s3
.LBB59_37:
	v_mbcnt_lo_u32_b32 v43, -1, 0
	s_delay_alu instid0(VALU_DEP_1) | instskip(NEXT) | instid1(VALU_DEP_1)
	v_or_b32_e32 v9, 32, v43
	v_cmp_gt_i32_e32 vcc_lo, 32, v9
	s_wait_alu 0xfffd
	v_cndmask_b32_e32 v9, v43, v9, vcc_lo
	s_delay_alu instid0(VALU_DEP_1)
	v_lshlrev_b32_e32 v42, 2, v9
	ds_bpermute_b32 v9, v42, v25
	ds_bpermute_b32 v10, v42, v26
	;; [unrolled: 1-line block ×16, first 2 shown]
	s_wait_dscnt 0xe
	v_add_f64_e32 v[9:10], v[25:26], v[9:10]
	s_wait_dscnt 0xc
	v_add_f64_e32 v[11:12], v[17:18], v[11:12]
	;; [unrolled: 2-line block ×8, first 2 shown]
	v_xor_b32_e32 v27, 16, v43
	s_delay_alu instid0(VALU_DEP_1) | instskip(SKIP_2) | instid1(VALU_DEP_1)
	v_cmp_gt_i32_e32 vcc_lo, 32, v27
	s_wait_alu 0xfffd
	v_cndmask_b32_e32 v27, v43, v27, vcc_lo
	v_lshlrev_b32_e32 v42, 2, v27
	ds_bpermute_b32 v27, v42, v9
	ds_bpermute_b32 v28, v42, v10
	;; [unrolled: 1-line block ×16, first 2 shown]
	s_wait_dscnt 0xe
	v_add_f64_e32 v[9:10], v[9:10], v[27:28]
	v_xor_b32_e32 v27, 8, v43
	s_wait_dscnt 0xc
	v_add_f64_e32 v[11:12], v[11:12], v[29:30]
	s_wait_dscnt 0xa
	v_add_f64_e32 v[13:14], v[13:14], v[31:32]
	;; [unrolled: 2-line block ×3, first 2 shown]
	v_cmp_gt_i32_e32 vcc_lo, 32, v27
	s_wait_dscnt 0x6
	v_add_f64_e32 v[17:18], v[17:18], v[35:36]
	s_wait_dscnt 0x4
	v_add_f64_e32 v[19:20], v[19:20], v[37:38]
	;; [unrolled: 2-line block ×3, first 2 shown]
	s_wait_alu 0xfffd
	v_cndmask_b32_e32 v27, v43, v27, vcc_lo
	s_wait_dscnt 0x0
	v_add_f64_e32 v[25:26], v[25:26], v[41:42]
	s_delay_alu instid0(VALU_DEP_2)
	v_lshlrev_b32_e32 v42, 2, v27
	ds_bpermute_b32 v27, v42, v9
	ds_bpermute_b32 v28, v42, v10
	;; [unrolled: 1-line block ×16, first 2 shown]
	s_wait_dscnt 0xe
	v_add_f64_e32 v[9:10], v[9:10], v[27:28]
	v_xor_b32_e32 v27, 4, v43
	s_wait_dscnt 0xc
	v_add_f64_e32 v[11:12], v[11:12], v[29:30]
	s_wait_dscnt 0xa
	v_add_f64_e32 v[13:14], v[13:14], v[31:32]
	;; [unrolled: 2-line block ×3, first 2 shown]
	v_cmp_gt_i32_e32 vcc_lo, 32, v27
	s_wait_dscnt 0x6
	v_add_f64_e32 v[17:18], v[17:18], v[35:36]
	s_wait_dscnt 0x4
	v_add_f64_e32 v[19:20], v[19:20], v[37:38]
	;; [unrolled: 2-line block ×3, first 2 shown]
	s_wait_alu 0xfffd
	v_cndmask_b32_e32 v27, v43, v27, vcc_lo
	s_wait_dscnt 0x0
	v_add_f64_e32 v[25:26], v[25:26], v[41:42]
	s_delay_alu instid0(VALU_DEP_2)
	v_lshlrev_b32_e32 v42, 2, v27
	ds_bpermute_b32 v27, v42, v9
	ds_bpermute_b32 v28, v42, v10
	;; [unrolled: 1-line block ×16, first 2 shown]
	s_wait_dscnt 0xe
	v_add_f64_e32 v[9:10], v[9:10], v[27:28]
	s_wait_dscnt 0xc
	v_add_f64_e32 v[11:12], v[11:12], v[29:30]
	;; [unrolled: 2-line block ×8, first 2 shown]
	v_xor_b32_e32 v25, 2, v43
	s_delay_alu instid0(VALU_DEP_1) | instskip(SKIP_2) | instid1(VALU_DEP_1)
	v_cmp_gt_i32_e32 vcc_lo, 32, v25
	s_wait_alu 0xfffd
	v_cndmask_b32_e32 v25, v43, v25, vcc_lo
	v_lshlrev_b32_e32 v42, 2, v25
	ds_bpermute_b32 v25, v42, v9
	ds_bpermute_b32 v26, v42, v10
	;; [unrolled: 1-line block ×16, first 2 shown]
	s_wait_dscnt 0xe
	v_add_f64_e32 v[9:10], v[9:10], v[25:26]
	s_wait_dscnt 0xc
	v_add_f64_e32 v[29:30], v[11:12], v[29:30]
	;; [unrolled: 2-line block ×7, first 2 shown]
	v_xor_b32_e32 v23, 1, v43
	s_wait_dscnt 0x0
	v_add_f64_e32 v[17:18], v[27:28], v[41:42]
	s_delay_alu instid0(VALU_DEP_2) | instskip(SKIP_3) | instid1(VALU_DEP_2)
	v_cmp_gt_i32_e32 vcc_lo, 32, v23
	s_wait_alu 0xfffd
	v_cndmask_b32_e32 v23, v43, v23, vcc_lo
	v_cmp_eq_u32_e32 vcc_lo, 63, v0
	v_lshlrev_b32_e32 v36, 2, v23
	ds_bpermute_b32 v23, v36, v9
	ds_bpermute_b32 v24, v36, v10
	;; [unrolled: 1-line block ×16, first 2 shown]
	s_and_b32 exec_lo, exec_lo, vcc_lo
	s_cbranch_execz .LBB59_8
; %bb.38:
	s_wait_dscnt 0xc
	v_add_f64_e32 v[29:30], v[29:30], v[41:42]
	s_wait_dscnt 0x8
	v_add_f64_e32 v[25:26], v[25:26], v[39:40]
	;; [unrolled: 2-line block ×4, first 2 shown]
	v_add_f64_e32 v[9:10], v[9:10], v[23:24]
	v_add_f64_e32 v[11:12], v[11:12], v[27:28]
	;; [unrolled: 1-line block ×4, first 2 shown]
	v_cmp_eq_f64_e32 vcc_lo, 0, v[1:2]
	v_cmp_eq_f64_e64 s2, 0, v[3:4]
	s_load_b64 s[0:1], s[0:1], 0x68
	v_lshlrev_b64_e32 v[21:22], 6, v[21:22]
	v_mul_f64_e64 v[13:14], v[29:30], -v[7:8]
	v_mul_f64_e32 v[15:16], v[5:6], v[29:30]
	v_mul_f64_e64 v[29:30], v[25:26], -v[7:8]
	v_mul_f64_e32 v[25:26], v[5:6], v[25:26]
	;; [unrolled: 2-line block ×4, first 2 shown]
	s_and_b32 s2, vcc_lo, s2
	v_fma_f64 v[17:18], v[5:6], v[9:10], v[13:14]
	v_fma_f64 v[19:20], v[7:8], v[9:10], v[15:16]
	;; [unrolled: 1-line block ×8, first 2 shown]
	s_wait_alu 0xfffe
	s_and_saveexec_b32 s3, s2
	s_wait_alu 0xfffe
	s_xor_b32 s2, exec_lo, s3
	s_cbranch_execz .LBB59_40
; %bb.39:
	s_wait_kmcnt 0x0
	v_add_co_u32 v0, vcc_lo, s0, v21
	s_wait_alu 0xfffd
	v_add_co_ci_u32_e64 v1, null, s1, v22, vcc_lo
                                        ; implicit-def: $vgpr21_vgpr22
	s_clause 0x3
	global_store_b128 v[0:1], v[17:20], off
	global_store_b128 v[0:1], v[13:16], off offset:16
	global_store_b128 v[0:1], v[9:12], off offset:32
	;; [unrolled: 1-line block ×3, first 2 shown]
                                        ; implicit-def: $vgpr3_vgpr4
                                        ; implicit-def: $vgpr17_vgpr18
                                        ; implicit-def: $vgpr13_vgpr14
                                        ; implicit-def: $vgpr9_vgpr10
                                        ; implicit-def: $vgpr5_vgpr6
.LBB59_40:
	s_wait_alu 0xfffe
	s_and_not1_saveexec_b32 s2, s2
	s_cbranch_execz .LBB59_8
; %bb.41:
	s_wait_kmcnt 0x0
	v_add_co_u32 v37, vcc_lo, s0, v21
	s_wait_alu 0xfffd
	v_add_co_ci_u32_e64 v38, null, s1, v22, vcc_lo
	s_clause 0x3
	global_load_b128 v[21:24], v[37:38], off
	global_load_b128 v[25:28], v[37:38], off offset:16
	global_load_b128 v[29:32], v[37:38], off offset:32
	;; [unrolled: 1-line block ×3, first 2 shown]
	s_wait_loadcnt 0x3
	v_fma_f64 v[17:18], v[1:2], v[21:22], v[17:18]
	v_fma_f64 v[19:20], v[3:4], v[21:22], v[19:20]
	s_wait_loadcnt 0x2
	v_fma_f64 v[13:14], v[1:2], v[25:26], v[13:14]
	v_fma_f64 v[15:16], v[3:4], v[25:26], v[15:16]
	;; [unrolled: 3-line block ×4, first 2 shown]
	v_fma_f64 v[5:6], -v[3:4], v[23:24], v[17:18]
	v_fma_f64 v[7:8], v[1:2], v[23:24], v[19:20]
	v_fma_f64 v[9:10], -v[3:4], v[27:28], v[13:14]
	v_fma_f64 v[11:12], v[1:2], v[27:28], v[15:16]
	;; [unrolled: 2-line block ×4, first 2 shown]
	s_clause 0x3
	global_store_b128 v[37:38], v[5:8], off
	global_store_b128 v[37:38], v[9:12], off offset:16
	global_store_b128 v[37:38], v[13:16], off offset:32
	;; [unrolled: 1-line block ×3, first 2 shown]
	s_nop 0
	s_sendmsg sendmsg(MSG_DEALLOC_VGPRS)
	s_endpgm
	.section	.rodata,"a",@progbits
	.p2align	6, 0x0
	.amdhsa_kernel _ZN9rocsparseL18bsrxmvn_4x4_kernelILj128ELj64E21rocsparse_complex_numIdEllS2_S2_S2_EEvT3_20rocsparse_direction_NS_24const_host_device_scalarIT1_EES3_PKS3_PKT2_SC_S9_PKT4_PKT5_S7_PT6_21rocsparse_index_base_b
		.amdhsa_group_segment_fixed_size 0
		.amdhsa_private_segment_fixed_size 0
		.amdhsa_kernarg_size 120
		.amdhsa_user_sgpr_count 2
		.amdhsa_user_sgpr_dispatch_ptr 0
		.amdhsa_user_sgpr_queue_ptr 0
		.amdhsa_user_sgpr_kernarg_segment_ptr 1
		.amdhsa_user_sgpr_dispatch_id 0
		.amdhsa_user_sgpr_private_segment_size 0
		.amdhsa_wavefront_size32 1
		.amdhsa_uses_dynamic_stack 0
		.amdhsa_enable_private_segment 0
		.amdhsa_system_sgpr_workgroup_id_x 1
		.amdhsa_system_sgpr_workgroup_id_y 0
		.amdhsa_system_sgpr_workgroup_id_z 0
		.amdhsa_system_sgpr_workgroup_info 0
		.amdhsa_system_vgpr_workitem_id 0
		.amdhsa_next_free_vgpr 161
		.amdhsa_next_free_sgpr 12
		.amdhsa_reserve_vcc 1
		.amdhsa_float_round_mode_32 0
		.amdhsa_float_round_mode_16_64 0
		.amdhsa_float_denorm_mode_32 3
		.amdhsa_float_denorm_mode_16_64 3
		.amdhsa_fp16_overflow 0
		.amdhsa_workgroup_processor_mode 1
		.amdhsa_memory_ordered 1
		.amdhsa_forward_progress 1
		.amdhsa_inst_pref_size 99
		.amdhsa_round_robin_scheduling 0
		.amdhsa_exception_fp_ieee_invalid_op 0
		.amdhsa_exception_fp_denorm_src 0
		.amdhsa_exception_fp_ieee_div_zero 0
		.amdhsa_exception_fp_ieee_overflow 0
		.amdhsa_exception_fp_ieee_underflow 0
		.amdhsa_exception_fp_ieee_inexact 0
		.amdhsa_exception_int_div_zero 0
	.end_amdhsa_kernel
	.section	.text._ZN9rocsparseL18bsrxmvn_4x4_kernelILj128ELj64E21rocsparse_complex_numIdEllS2_S2_S2_EEvT3_20rocsparse_direction_NS_24const_host_device_scalarIT1_EES3_PKS3_PKT2_SC_S9_PKT4_PKT5_S7_PT6_21rocsparse_index_base_b,"axG",@progbits,_ZN9rocsparseL18bsrxmvn_4x4_kernelILj128ELj64E21rocsparse_complex_numIdEllS2_S2_S2_EEvT3_20rocsparse_direction_NS_24const_host_device_scalarIT1_EES3_PKS3_PKT2_SC_S9_PKT4_PKT5_S7_PT6_21rocsparse_index_base_b,comdat
.Lfunc_end59:
	.size	_ZN9rocsparseL18bsrxmvn_4x4_kernelILj128ELj64E21rocsparse_complex_numIdEllS2_S2_S2_EEvT3_20rocsparse_direction_NS_24const_host_device_scalarIT1_EES3_PKS3_PKT2_SC_S9_PKT4_PKT5_S7_PT6_21rocsparse_index_base_b, .Lfunc_end59-_ZN9rocsparseL18bsrxmvn_4x4_kernelILj128ELj64E21rocsparse_complex_numIdEllS2_S2_S2_EEvT3_20rocsparse_direction_NS_24const_host_device_scalarIT1_EES3_PKS3_PKT2_SC_S9_PKT4_PKT5_S7_PT6_21rocsparse_index_base_b
                                        ; -- End function
	.set _ZN9rocsparseL18bsrxmvn_4x4_kernelILj128ELj64E21rocsparse_complex_numIdEllS2_S2_S2_EEvT3_20rocsparse_direction_NS_24const_host_device_scalarIT1_EES3_PKS3_PKT2_SC_S9_PKT4_PKT5_S7_PT6_21rocsparse_index_base_b.num_vgpr, 161
	.set _ZN9rocsparseL18bsrxmvn_4x4_kernelILj128ELj64E21rocsparse_complex_numIdEllS2_S2_S2_EEvT3_20rocsparse_direction_NS_24const_host_device_scalarIT1_EES3_PKS3_PKT2_SC_S9_PKT4_PKT5_S7_PT6_21rocsparse_index_base_b.num_agpr, 0
	.set _ZN9rocsparseL18bsrxmvn_4x4_kernelILj128ELj64E21rocsparse_complex_numIdEllS2_S2_S2_EEvT3_20rocsparse_direction_NS_24const_host_device_scalarIT1_EES3_PKS3_PKT2_SC_S9_PKT4_PKT5_S7_PT6_21rocsparse_index_base_b.numbered_sgpr, 12
	.set _ZN9rocsparseL18bsrxmvn_4x4_kernelILj128ELj64E21rocsparse_complex_numIdEllS2_S2_S2_EEvT3_20rocsparse_direction_NS_24const_host_device_scalarIT1_EES3_PKS3_PKT2_SC_S9_PKT4_PKT5_S7_PT6_21rocsparse_index_base_b.num_named_barrier, 0
	.set _ZN9rocsparseL18bsrxmvn_4x4_kernelILj128ELj64E21rocsparse_complex_numIdEllS2_S2_S2_EEvT3_20rocsparse_direction_NS_24const_host_device_scalarIT1_EES3_PKS3_PKT2_SC_S9_PKT4_PKT5_S7_PT6_21rocsparse_index_base_b.private_seg_size, 0
	.set _ZN9rocsparseL18bsrxmvn_4x4_kernelILj128ELj64E21rocsparse_complex_numIdEllS2_S2_S2_EEvT3_20rocsparse_direction_NS_24const_host_device_scalarIT1_EES3_PKS3_PKT2_SC_S9_PKT4_PKT5_S7_PT6_21rocsparse_index_base_b.uses_vcc, 1
	.set _ZN9rocsparseL18bsrxmvn_4x4_kernelILj128ELj64E21rocsparse_complex_numIdEllS2_S2_S2_EEvT3_20rocsparse_direction_NS_24const_host_device_scalarIT1_EES3_PKS3_PKT2_SC_S9_PKT4_PKT5_S7_PT6_21rocsparse_index_base_b.uses_flat_scratch, 0
	.set _ZN9rocsparseL18bsrxmvn_4x4_kernelILj128ELj64E21rocsparse_complex_numIdEllS2_S2_S2_EEvT3_20rocsparse_direction_NS_24const_host_device_scalarIT1_EES3_PKS3_PKT2_SC_S9_PKT4_PKT5_S7_PT6_21rocsparse_index_base_b.has_dyn_sized_stack, 0
	.set _ZN9rocsparseL18bsrxmvn_4x4_kernelILj128ELj64E21rocsparse_complex_numIdEllS2_S2_S2_EEvT3_20rocsparse_direction_NS_24const_host_device_scalarIT1_EES3_PKS3_PKT2_SC_S9_PKT4_PKT5_S7_PT6_21rocsparse_index_base_b.has_recursion, 0
	.set _ZN9rocsparseL18bsrxmvn_4x4_kernelILj128ELj64E21rocsparse_complex_numIdEllS2_S2_S2_EEvT3_20rocsparse_direction_NS_24const_host_device_scalarIT1_EES3_PKS3_PKT2_SC_S9_PKT4_PKT5_S7_PT6_21rocsparse_index_base_b.has_indirect_call, 0
	.section	.AMDGPU.csdata,"",@progbits
; Kernel info:
; codeLenInByte = 12664
; TotalNumSgprs: 14
; NumVgprs: 161
; ScratchSize: 0
; MemoryBound: 1
; FloatMode: 240
; IeeeMode: 1
; LDSByteSize: 0 bytes/workgroup (compile time only)
; SGPRBlocks: 0
; VGPRBlocks: 20
; NumSGPRsForWavesPerEU: 14
; NumVGPRsForWavesPerEU: 161
; Occupancy: 9
; WaveLimiterHint : 1
; COMPUTE_PGM_RSRC2:SCRATCH_EN: 0
; COMPUTE_PGM_RSRC2:USER_SGPR: 2
; COMPUTE_PGM_RSRC2:TRAP_HANDLER: 0
; COMPUTE_PGM_RSRC2:TGID_X_EN: 1
; COMPUTE_PGM_RSRC2:TGID_Y_EN: 0
; COMPUTE_PGM_RSRC2:TGID_Z_EN: 0
; COMPUTE_PGM_RSRC2:TIDIG_COMP_CNT: 0
	.section	.text._ZN9rocsparseL18bsrxmvn_4x4_kernelILj128ELj4EiiiaaiEEvT3_20rocsparse_direction_NS_24const_host_device_scalarIT1_EES1_PKS1_PKT2_SA_S7_PKT4_PKT5_S5_PT6_21rocsparse_index_base_b,"axG",@progbits,_ZN9rocsparseL18bsrxmvn_4x4_kernelILj128ELj4EiiiaaiEEvT3_20rocsparse_direction_NS_24const_host_device_scalarIT1_EES1_PKS1_PKT2_SA_S7_PKT4_PKT5_S5_PT6_21rocsparse_index_base_b,comdat
	.globl	_ZN9rocsparseL18bsrxmvn_4x4_kernelILj128ELj4EiiiaaiEEvT3_20rocsparse_direction_NS_24const_host_device_scalarIT1_EES1_PKS1_PKT2_SA_S7_PKT4_PKT5_S5_PT6_21rocsparse_index_base_b ; -- Begin function _ZN9rocsparseL18bsrxmvn_4x4_kernelILj128ELj4EiiiaaiEEvT3_20rocsparse_direction_NS_24const_host_device_scalarIT1_EES1_PKS1_PKT2_SA_S7_PKT4_PKT5_S5_PT6_21rocsparse_index_base_b
	.p2align	8
	.type	_ZN9rocsparseL18bsrxmvn_4x4_kernelILj128ELj4EiiiaaiEEvT3_20rocsparse_direction_NS_24const_host_device_scalarIT1_EES1_PKS1_PKT2_SA_S7_PKT4_PKT5_S5_PT6_21rocsparse_index_base_b,@function
_ZN9rocsparseL18bsrxmvn_4x4_kernelILj128ELj4EiiiaaiEEvT3_20rocsparse_direction_NS_24const_host_device_scalarIT1_EES1_PKS1_PKT2_SA_S7_PKT4_PKT5_S5_PT6_21rocsparse_index_base_b: ; @_ZN9rocsparseL18bsrxmvn_4x4_kernelILj128ELj4EiiiaaiEEvT3_20rocsparse_direction_NS_24const_host_device_scalarIT1_EES1_PKS1_PKT2_SA_S7_PKT4_PKT5_S5_PT6_21rocsparse_index_base_b
; %bb.0:
	s_clause 0x1
	s_load_b64 s[12:13], s[0:1], 0x58
	s_load_b64 s[4:5], s[0:1], 0x8
	s_mov_b32 s7, -1
	s_wait_kmcnt 0x0
	s_bitcmp1_b32 s13, 0
                                        ; implicit-def: $sgpr13
	s_cselect_b32 s2, -1, 0
	s_delay_alu instid0(SALU_CYCLE_1) | instskip(NEXT) | instid1(SALU_CYCLE_1)
	s_xor_b32 s6, s2, -1
	s_and_b32 vcc_lo, exec_lo, s6
	s_cbranch_vccnz .LBB60_4
; %bb.1:
	s_load_b64 s[2:3], s[0:1], 0x48
	s_and_not1_b32 vcc_lo, exec_lo, s7
	s_cbranch_vccz .LBB60_5
.LBB60_2:
	s_and_b32 vcc_lo, exec_lo, s6
	s_cbranch_vccz .LBB60_6
.LBB60_3:
	s_wait_kmcnt 0x0
	s_load_b32 s14, s[2:3], 0x0
	s_cbranch_execz .LBB60_7
	s_branch .LBB60_8
.LBB60_4:
	s_load_b32 s13, s[4:5], 0x0
	s_load_b64 s[2:3], s[0:1], 0x48
	s_cbranch_execnz .LBB60_2
.LBB60_5:
	s_wait_kmcnt 0x0
	s_mov_b32 s13, s4
	s_and_b32 vcc_lo, exec_lo, s6
	s_cbranch_vccnz .LBB60_3
.LBB60_6:
	s_wait_kmcnt 0x0
                                        ; implicit-def: $sgpr14
.LBB60_7:
	s_wait_kmcnt 0x0
	s_mov_b32 s14, s2
.LBB60_8:
	s_cmp_lg_u32 s13, 0
	s_mov_b32 s6, 0
	s_cselect_b32 s2, -1, 0
	s_wait_kmcnt 0x0
	s_cmp_lg_u32 s14, 1
	s_cselect_b32 s3, -1, 0
	s_delay_alu instid0(SALU_CYCLE_1) | instskip(NEXT) | instid1(SALU_CYCLE_1)
	s_or_b32 s2, s2, s3
	s_and_not1_b32 vcc_lo, exec_lo, s2
	s_cbranch_vccnz .LBB60_14
; %bb.9:
	s_clause 0x1
	s_load_b64 s[4:5], s[0:1], 0x18
	s_load_b64 s[2:3], s[0:1], 0x0
	v_lshrrev_b32_e32 v1, 2, v0
	s_delay_alu instid0(VALU_DEP_1)
	v_lshl_or_b32 v3, ttmp9, 5, v1
	s_wait_kmcnt 0x0
	s_cmp_lg_u64 s[4:5], 0
	s_cbranch_scc0 .LBB60_15
; %bb.10:
	s_load_b32 s6, s[0:1], 0x10
	s_mov_b32 s7, 0
                                        ; implicit-def: $vgpr1
	s_wait_kmcnt 0x0
	v_cmp_gt_i32_e32 vcc_lo, s6, v3
	s_mov_b32 s6, 0
	s_and_saveexec_b32 s8, vcc_lo
	s_delay_alu instid0(SALU_CYCLE_1)
	s_xor_b32 s8, exec_lo, s8
	s_cbranch_execz .LBB60_12
; %bb.11:
	v_ashrrev_i32_e32 v4, 31, v3
	s_mov_b32 s6, exec_lo
	s_delay_alu instid0(VALU_DEP_1) | instskip(NEXT) | instid1(VALU_DEP_1)
	v_lshlrev_b64_e32 v[1:2], 2, v[3:4]
	v_add_co_u32 v1, vcc_lo, s4, v1
	s_delay_alu instid0(VALU_DEP_1)
	v_add_co_ci_u32_e64 v2, null, s5, v2, vcc_lo
	global_load_b32 v1, v[1:2], off
	s_wait_loadcnt 0x0
	v_subrev_nc_u32_e32 v1, s12, v1
.LBB60_12:
	s_or_b32 exec_lo, exec_lo, s8
	s_delay_alu instid0(SALU_CYCLE_1)
	s_and_b32 vcc_lo, exec_lo, s7
	s_wait_alu 0xfffe
	s_cbranch_vccz .LBB60_16
.LBB60_13:
	v_cmp_gt_i32_e32 vcc_lo, s2, v3
	s_and_not1_b32 s2, s6, exec_lo
	s_and_b32 s4, vcc_lo, exec_lo
	s_wait_alu 0xfffe
	s_or_b32 s6, s2, s4
	s_wait_alu 0xfffe
	s_and_saveexec_b32 s2, s6
	s_cbranch_execnz .LBB60_17
.LBB60_14:
	s_endpgm
.LBB60_15:
                                        ; implicit-def: $vgpr1
	s_cbranch_execnz .LBB60_13
.LBB60_16:
	v_mov_b32_e32 v3, v1
	s_and_saveexec_b32 s2, s6
	s_cbranch_execz .LBB60_14
.LBB60_17:
	s_load_b256 s[4:11], s[0:1], 0x20
	s_delay_alu instid0(VALU_DEP_1) | instskip(SKIP_1) | instid1(VALU_DEP_2)
	v_ashrrev_i32_e32 v4, 31, v3
	v_and_b32_e32 v8, 3, v0
	v_lshlrev_b64_e32 v[1:2], 2, v[3:4]
	s_wait_kmcnt 0x0
	s_delay_alu instid0(VALU_DEP_1) | instskip(SKIP_1) | instid1(VALU_DEP_2)
	v_add_co_u32 v4, vcc_lo, s4, v1
	s_wait_alu 0xfffd
	v_add_co_ci_u32_e64 v5, null, s5, v2, vcc_lo
	v_add_co_u32 v1, vcc_lo, s6, v1
	s_wait_alu 0xfffd
	v_add_co_ci_u32_e64 v2, null, s7, v2, vcc_lo
	global_load_b32 v14, v[4:5], off
	v_add_co_u32 v4, vcc_lo, v4, 4
	s_wait_alu 0xfffd
	v_add_co_ci_u32_e64 v5, null, 0, v5, vcc_lo
	s_cmp_eq_u64 s[6:7], 0
	s_load_b64 s[6:7], s[0:1], 0x40
	s_cselect_b32 vcc_lo, -1, 0
	s_cmp_eq_u32 s3, 1
	s_wait_alu 0xfffe
	v_dual_cndmask_b32 v2, v2, v5 :: v_dual_cndmask_b32 v1, v1, v4
	global_load_b32 v4, v[1:2], off
	s_wait_loadcnt 0x1
	v_subrev_nc_u32_e32 v0, s12, v14
	s_delay_alu instid0(VALU_DEP_1) | instskip(NEXT) | instid1(VALU_DEP_1)
	v_add_nc_u32_e32 v0, v0, v8
	v_ashrrev_i32_e32 v1, 31, v0
	s_wait_loadcnt 0x0
	v_subrev_nc_u32_e32 v9, s12, v4
	s_delay_alu instid0(VALU_DEP_2) | instskip(NEXT) | instid1(VALU_DEP_2)
	v_lshlrev_b64_e32 v[1:2], 4, v[0:1]
	v_cmp_lt_i32_e64 s2, v0, v9
	s_delay_alu instid0(VALU_DEP_2) | instskip(SKIP_1) | instid1(VALU_DEP_3)
	v_add_co_u32 v4, vcc_lo, s10, v1
	s_wait_alu 0xfffd
	v_add_co_ci_u32_e64 v5, null, s11, v2, vcc_lo
	s_cbranch_scc1 .LBB60_29
; %bb.18:
	v_dual_mov_b32 v12, 0 :: v_dual_mov_b32 v13, 0
	v_dual_mov_b32 v11, 0 :: v_dual_mov_b32 v10, 0
	s_and_saveexec_b32 s10, s2
	s_cbranch_execz .LBB60_28
; %bb.19:
	v_dual_mov_b32 v10, 0 :: v_dual_add_nc_u32 v1, v14, v8
	v_not_b32_e32 v2, v14
	v_mov_b32_e32 v7, v5
	s_mov_b32 s4, 0
	s_delay_alu instid0(VALU_DEP_3) | instskip(SKIP_3) | instid1(VALU_DEP_3)
	v_subrev_nc_u32_e32 v1, s12, v1
	v_dual_mov_b32 v11, v10 :: v_dual_mov_b32 v6, v4
	v_mov_b32_e32 v13, v10
	s_mov_b32 s3, exec_lo
	v_dual_mov_b32 v12, v10 :: v_dual_add_nc_u32 v1, 4, v1
	s_delay_alu instid0(VALU_DEP_1) | instskip(NEXT) | instid1(VALU_DEP_1)
	v_max_i32_e32 v1, v1, v9
	v_add3_u32 v1, s12, v1, v2
	s_delay_alu instid0(VALU_DEP_1) | instskip(NEXT) | instid1(VALU_DEP_1)
	v_sub_nc_u32_e32 v15, v1, v8
	v_dual_mov_b32 v1, v0 :: v_dual_and_b32 v2, 12, v15
	s_delay_alu instid0(VALU_DEP_1)
	v_cmpx_ne_u32_e32 12, v2
	s_cbranch_execz .LBB60_23
; %bb.20:
	v_lshrrev_b32_e32 v1, 2, v15
	v_mov_b32_e32 v7, v5
	v_mov_b32_e32 v11, 0
	v_dual_mov_b32 v13, 0 :: v_dual_mov_b32 v12, 0
	s_delay_alu instid0(VALU_DEP_4) | instskip(NEXT) | instid1(VALU_DEP_1)
	v_dual_mov_b32 v6, v4 :: v_dual_add_nc_u32 v1, 1, v1
	v_and_b32_e32 v1, 3, v1
	s_delay_alu instid0(VALU_DEP_1)
	v_sub_nc_u32_e32 v16, 0, v1
	v_mov_b32_e32 v1, v0
.LBB60_21:                              ; =>This Inner Loop Header: Depth=1
	s_delay_alu instid0(VALU_DEP_1) | instskip(NEXT) | instid1(VALU_DEP_3)
	v_ashrrev_i32_e32 v2, 31, v1
	v_add_co_u32 v16, s5, v16, 1
	s_wait_alu 0xfffe
	s_or_b32 s4, s5, s4
	s_delay_alu instid0(VALU_DEP_2) | instskip(SKIP_1) | instid1(VALU_DEP_2)
	v_lshlrev_b64_e32 v[17:18], 2, v[1:2]
	v_add_nc_u32_e32 v1, 4, v1
	v_add_co_u32 v17, vcc_lo, s8, v17
	s_wait_alu 0xfffd
	s_delay_alu instid0(VALU_DEP_3) | instskip(SKIP_3) | instid1(VALU_DEP_1)
	v_add_co_ci_u32_e64 v18, null, s9, v18, vcc_lo
	global_load_b32 v2, v[17:18], off
	s_wait_loadcnt 0x0
	v_subrev_nc_u32_e32 v2, s12, v2
	v_lshlrev_b32_e32 v2, 2, v2
	s_delay_alu instid0(VALU_DEP_1) | instskip(SKIP_3) | instid1(VALU_DEP_2)
	v_ashrrev_i32_e32 v17, 31, v2
	s_wait_kmcnt 0x0
	v_add_co_u32 v21, vcc_lo, s6, v2
	s_wait_alu 0xfffd
	v_add_co_ci_u32_e64 v22, null, s7, v17, vcc_lo
	global_load_b128 v[17:20], v[6:7], off
	global_load_b32 v2, v[21:22], off
	v_add_co_u32 v6, vcc_lo, v6, 64
	s_wait_alu 0xfffd
	v_add_co_ci_u32_e64 v7, null, 0, v7, vcc_lo
	s_wait_loadcnt 0x0
	v_dot4_i32_iu8 v12, v2, v20, v12 neg_lo:[1,1,0]
	v_dot4_i32_iu8 v13, v2, v19, v13 neg_lo:[1,1,0]
	;; [unrolled: 1-line block ×4, first 2 shown]
	s_wait_alu 0xfffe
	s_and_not1_b32 exec_lo, exec_lo, s4
	s_cbranch_execnz .LBB60_21
; %bb.22:
	s_or_b32 exec_lo, exec_lo, s4
.LBB60_23:
	s_wait_alu 0xfffe
	s_or_b32 exec_lo, exec_lo, s3
	s_delay_alu instid0(SALU_CYCLE_1)
	s_mov_b32 s11, exec_lo
	v_cmpx_lt_u32_e32 11, v15
	s_cbranch_execz .LBB60_27
; %bb.24:
	s_mov_b32 s15, 0
.LBB60_25:                              ; =>This Inner Loop Header: Depth=1
	v_ashrrev_i32_e32 v2, 31, v1
	s_delay_alu instid0(VALU_DEP_1) | instskip(SKIP_1) | instid1(VALU_DEP_2)
	v_lshlrev_b64_e32 v[15:16], 2, v[1:2]
	v_add_nc_u32_e32 v1, 16, v1
	v_add_co_u32 v15, vcc_lo, s8, v15
	s_wait_alu 0xfffd
	s_delay_alu instid0(VALU_DEP_3)
	v_add_co_ci_u32_e64 v16, null, s9, v16, vcc_lo
	s_clause 0x3
	global_load_b32 v2, v[15:16], off
	global_load_b32 v27, v[15:16], off offset:16
	global_load_b32 v28, v[15:16], off offset:32
	;; [unrolled: 1-line block ×3, first 2 shown]
	s_clause 0x2
	global_load_b128 v[15:18], v[6:7], off
	global_load_b128 v[19:22], v[6:7], off offset:64
	global_load_b128 v[23:26], v[6:7], off offset:128
	s_wait_loadcnt 0x6
	v_subrev_nc_u32_e32 v2, s12, v2
	s_wait_loadcnt 0x5
	v_subrev_nc_u32_e32 v27, s12, v27
	;; [unrolled: 2-line block ×4, first 2 shown]
	v_lshlrev_b32_e32 v2, 2, v2
	v_lshlrev_b32_e32 v27, 2, v27
	;; [unrolled: 1-line block ×3, first 2 shown]
	s_delay_alu instid0(VALU_DEP_4) | instskip(NEXT) | instid1(VALU_DEP_4)
	v_lshlrev_b32_e32 v30, 2, v29
	v_ashrrev_i32_e32 v33, 31, v2
	s_wait_kmcnt 0x0
	v_add_co_u32 v32, s5, s6, v2
	v_ashrrev_i32_e32 v34, 31, v27
	v_add_co_u32 v27, vcc_lo, s6, v27
	s_wait_alu 0xf1ff
	v_add_co_ci_u32_e64 v33, null, s7, v33, s5
	v_ashrrev_i32_e32 v35, 31, v28
	v_add_co_u32 v29, s3, s6, v28
	s_wait_alu 0xfffd
	v_add_co_ci_u32_e64 v28, null, s7, v34, vcc_lo
	global_load_b32 v2, v[32:33], off
	v_ashrrev_i32_e32 v36, 31, v30
	v_add_co_u32 v31, s4, s6, v30
	global_load_b32 v33, v[27:28], off
	s_wait_alu 0xf1ff
	v_add_co_ci_u32_e64 v30, null, s7, v35, s3
	v_add_co_ci_u32_e64 v32, null, s7, v36, s4
	global_load_b32 v34, v[29:30], off
	global_load_b128 v[27:30], v[6:7], off offset:192
	global_load_b32 v31, v[31:32], off
	v_add_co_u32 v6, vcc_lo, 0x100, v6
	s_wait_alu 0xfffd
	v_add_co_ci_u32_e64 v7, null, 0, v7, vcc_lo
	v_cmp_ge_i32_e32 vcc_lo, v1, v9
	s_or_b32 s15, vcc_lo, s15
	s_wait_loadcnt 0x4
	v_dot4_i32_iu8 v10, v2, v15, v10 neg_lo:[1,1,0]
	v_dot4_i32_iu8 v12, v2, v18, v12 neg_lo:[1,1,0]
	v_dot4_i32_iu8 v13, v2, v17, v13 neg_lo:[1,1,0]
	v_dot4_i32_iu8 v2, v2, v16, v11 neg_lo:[1,1,0]
	s_wait_loadcnt 0x3
	v_dot4_i32_iu8 v10, v33, v19, v10 neg_lo:[1,1,0]
	v_dot4_i32_iu8 v11, v33, v22, v12 neg_lo:[1,1,0]
	v_dot4_i32_iu8 v12, v33, v21, v13 neg_lo:[1,1,0]
	v_dot4_i32_iu8 v2, v33, v20, v2 neg_lo:[1,1,0]
	;; [unrolled: 5-line block ×4, first 2 shown]
	s_and_not1_b32 exec_lo, exec_lo, s15
	s_cbranch_execnz .LBB60_25
; %bb.26:
	s_or_b32 exec_lo, exec_lo, s15
.LBB60_27:
	s_wait_alu 0xfffe
	s_or_b32 exec_lo, exec_lo, s11
.LBB60_28:
	s_wait_alu 0xfffe
	s_or_b32 exec_lo, exec_lo, s10
	s_cbranch_execz .LBB60_30
	s_branch .LBB60_41
.LBB60_29:
                                        ; implicit-def: $vgpr12
                                        ; implicit-def: $vgpr10
                                        ; implicit-def: $vgpr11
                                        ; implicit-def: $vgpr13
.LBB60_30:
	v_dual_mov_b32 v12, 0 :: v_dual_mov_b32 v13, 0
	v_dual_mov_b32 v11, 0 :: v_dual_mov_b32 v10, 0
	s_and_saveexec_b32 s5, s2
	s_cbranch_execz .LBB60_40
; %bb.31:
	v_dual_mov_b32 v10, 0 :: v_dual_add_nc_u32 v1, v14, v8
	v_not_b32_e32 v2, v14
	s_mov_b32 s3, 0
	s_mov_b32 s2, exec_lo
	s_delay_alu instid0(VALU_DEP_2) | instskip(SKIP_2) | instid1(VALU_DEP_3)
	v_subrev_nc_u32_e32 v1, s12, v1
	v_mov_b32_e32 v11, v10
	v_dual_mov_b32 v13, v10 :: v_dual_mov_b32 v12, v10
	v_add_nc_u32_e32 v1, 4, v1
	s_delay_alu instid0(VALU_DEP_1) | instskip(NEXT) | instid1(VALU_DEP_1)
	v_max_i32_e32 v1, v1, v9
	v_add3_u32 v1, s12, v1, v2
	s_delay_alu instid0(VALU_DEP_1) | instskip(NEXT) | instid1(VALU_DEP_1)
	v_sub_nc_u32_e32 v2, v1, v8
	v_and_b32_e32 v1, 12, v2
	s_delay_alu instid0(VALU_DEP_1)
	v_cmpx_ne_u32_e32 12, v1
	s_cbranch_execz .LBB60_35
; %bb.32:
	v_lshrrev_b32_e32 v1, 2, v2
	v_mov_b32_e32 v11, 0
	v_dual_mov_b32 v13, 0 :: v_dual_mov_b32 v12, 0
	s_delay_alu instid0(VALU_DEP_3) | instskip(NEXT) | instid1(VALU_DEP_1)
	v_add_nc_u32_e32 v1, 1, v1
	v_and_b32_e32 v1, 3, v1
	s_delay_alu instid0(VALU_DEP_1)
	v_sub_nc_u32_e32 v6, 0, v1
.LBB60_33:                              ; =>This Inner Loop Header: Depth=1
	v_ashrrev_i32_e32 v1, 31, v0
	s_delay_alu instid0(VALU_DEP_2) | instskip(SKIP_2) | instid1(VALU_DEP_2)
	v_add_co_u32 v6, s4, v6, 1
	s_wait_alu 0xfffe
	s_or_b32 s3, s4, s3
	v_lshlrev_b64_e32 v[14:15], 2, v[0:1]
	v_add_nc_u32_e32 v0, 4, v0
	s_delay_alu instid0(VALU_DEP_2) | instskip(SKIP_1) | instid1(VALU_DEP_3)
	v_add_co_u32 v14, vcc_lo, s8, v14
	s_wait_alu 0xfffd
	v_add_co_ci_u32_e64 v15, null, s9, v15, vcc_lo
	global_load_b32 v1, v[14:15], off
	global_load_b128 v[14:17], v[4:5], off
	s_wait_loadcnt 0x1
	v_subrev_nc_u32_e32 v1, s12, v1
	s_wait_loadcnt 0x0
	v_perm_b32 v20, v17, v16, 0x6020c0c
	v_perm_b32 v21, v15, v14, 0xc0c0501
	;; [unrolled: 1-line block ×3, first 2 shown]
	v_lshlrev_b32_e32 v1, 2, v1
	s_delay_alu instid0(VALU_DEP_1) | instskip(SKIP_3) | instid1(VALU_DEP_2)
	v_ashrrev_i32_e32 v7, 31, v1
	s_wait_kmcnt 0x0
	v_add_co_u32 v18, vcc_lo, s6, v1
	s_wait_alu 0xfffd
	v_add_co_ci_u32_e64 v19, null, s7, v7, vcc_lo
	v_perm_b32 v7, v15, v14, 0xc0c0703
	v_add_co_u32 v4, vcc_lo, v4, 64
	global_load_b32 v1, v[18:19], off
	v_perm_b32 v18, v17, v16, 0x7030c0c
	v_perm_b32 v19, v15, v14, 0xc0c0602
	;; [unrolled: 1-line block ×4, first 2 shown]
	v_or_b32_e32 v17, v22, v21
	v_or_b32_e32 v7, v18, v7
	;; [unrolled: 1-line block ×3, first 2 shown]
	s_wait_alu 0xfffd
	v_add_co_ci_u32_e64 v5, null, 0, v5, vcc_lo
	v_or_b32_e32 v14, v15, v14
	s_wait_loadcnt 0x0
	v_dot4_i32_iu8 v12, v1, v7, v12 neg_lo:[1,1,0]
	v_dot4_i32_iu8 v13, v1, v16, v13 neg_lo:[1,1,0]
	;; [unrolled: 1-line block ×4, first 2 shown]
	s_wait_alu 0xfffe
	s_and_not1_b32 exec_lo, exec_lo, s3
	s_cbranch_execnz .LBB60_33
; %bb.34:
	s_or_b32 exec_lo, exec_lo, s3
.LBB60_35:
	s_wait_alu 0xfffe
	s_or_b32 exec_lo, exec_lo, s2
	s_delay_alu instid0(SALU_CYCLE_1)
	s_mov_b32 s10, exec_lo
	v_cmpx_lt_u32_e32 11, v2
	s_cbranch_execz .LBB60_39
; %bb.36:
	s_mov_b32 s11, 0
.LBB60_37:                              ; =>This Inner Loop Header: Depth=1
	v_ashrrev_i32_e32 v1, 31, v0
	s_delay_alu instid0(VALU_DEP_1) | instskip(SKIP_1) | instid1(VALU_DEP_2)
	v_lshlrev_b64_e32 v[1:2], 2, v[0:1]
	v_add_nc_u32_e32 v0, 16, v0
	v_add_co_u32 v1, vcc_lo, s8, v1
	s_wait_alu 0xfffd
	s_delay_alu instid0(VALU_DEP_3)
	v_add_co_ci_u32_e64 v2, null, s9, v2, vcc_lo
	s_clause 0x3
	global_load_b32 v6, v[1:2], off
	global_load_b32 v7, v[1:2], off offset:16
	global_load_b32 v30, v[1:2], off offset:32
	global_load_b32 v1, v[1:2], off offset:48
	s_clause 0x3
	global_load_b128 v[14:17], v[4:5], off
	global_load_b128 v[18:21], v[4:5], off offset:64
	global_load_b128 v[22:25], v[4:5], off offset:128
	;; [unrolled: 1-line block ×3, first 2 shown]
	s_wait_loadcnt 0x7
	v_subrev_nc_u32_e32 v2, s12, v6
	s_wait_loadcnt 0x6
	v_subrev_nc_u32_e32 v6, s12, v7
	;; [unrolled: 2-line block ×4, first 2 shown]
	v_lshlrev_b32_e32 v2, 2, v2
	v_lshlrev_b32_e32 v6, 2, v6
	;; [unrolled: 1-line block ×3, first 2 shown]
	s_delay_alu instid0(VALU_DEP_4)
	v_lshlrev_b32_e32 v30, 2, v1
	s_wait_loadcnt 0x2
	v_perm_b32 v36, v19, v18, 0xc0c0602
	v_ashrrev_i32_e32 v32, 31, v2
	s_wait_kmcnt 0x0
	v_add_co_u32 v31, s4, s6, v2
	v_ashrrev_i32_e32 v33, 31, v6
	v_add_co_u32 v1, vcc_lo, s6, v6
	s_wait_alu 0xf1ff
	v_add_co_ci_u32_e64 v32, null, s7, v32, s4
	s_wait_alu 0xfffd
	v_add_co_ci_u32_e64 v2, null, s7, v33, vcc_lo
	v_ashrrev_i32_e32 v34, 31, v7
	global_load_b32 v32, v[31:32], off
	v_ashrrev_i32_e32 v35, 31, v30
	v_add_co_u32 v6, s2, s6, v7
	v_add_co_u32 v30, s3, s6, v30
	global_load_b32 v1, v[1:2], off
	s_wait_alu 0xf1ff
	v_add_co_ci_u32_e64 v7, null, s7, v34, s2
	v_add_co_ci_u32_e64 v31, null, s7, v35, s3
	s_clause 0x1
	global_load_b32 v2, v[6:7], off
	global_load_b32 v6, v[30:31], off
	v_perm_b32 v7, v15, v14, 0xc0c0400
	v_perm_b32 v30, v17, v16, 0x4000c0c
	v_perm_b32 v31, v15, v14, 0xc0c0501
	v_perm_b32 v33, v17, v16, 0x5010c0c
	v_perm_b32 v34, v15, v14, 0xc0c0602
	v_perm_b32 v35, v17, v16, 0x6020c0c
	v_perm_b32 v14, v15, v14, 0xc0c0703
	v_perm_b32 v15, v17, v16, 0x7030c0c
	v_perm_b32 v16, v19, v18, 0xc0c0703
	v_perm_b32 v17, v21, v20, 0x7030c0c
	v_perm_b32 v37, v21, v20, 0x6020c0c
	v_perm_b32 v38, v19, v18, 0xc0c0501
	v_perm_b32 v39, v21, v20, 0x5010c0c
	v_perm_b32 v18, v19, v18, 0xc0c0400
	v_perm_b32 v19, v21, v20, 0x4000c0c
	s_wait_loadcnt 0x5
	v_perm_b32 v20, v23, v22, 0xc0c0400
	v_perm_b32 v21, v25, v24, 0x4000c0c
	;; [unrolled: 1-line block ×8, first 2 shown]
	s_wait_loadcnt 0x4
	v_perm_b32 v24, v27, v26, 0xc0c0703
	v_perm_b32 v25, v29, v28, 0x7030c0c
	;; [unrolled: 1-line block ×8, first 2 shown]
	v_or_b32_e32 v7, v30, v7
	v_or_b32_e32 v28, v33, v31
	;; [unrolled: 1-line block ×14, first 2 shown]
	v_add_co_u32 v4, vcc_lo, 0x100, v4
	s_wait_alu 0xfffd
	v_add_co_ci_u32_e64 v5, null, 0, v5, vcc_lo
	v_cmp_ge_i32_e32 vcc_lo, v0, v9
	s_wait_alu 0xfffe
	s_or_b32 s11, vcc_lo, s11
	s_wait_loadcnt 0x3
	v_dot4_i32_iu8 v12, v32, v14, v12 neg_lo:[1,1,0]
	v_dot4_i32_iu8 v13, v32, v29, v13 neg_lo:[1,1,0]
	;; [unrolled: 1-line block ×4, first 2 shown]
	v_or_b32_e32 v10, v47, v46
	s_wait_loadcnt 0x2
	v_dot4_i32_iu8 v12, v1, v15, v12 neg_lo:[1,1,0]
	v_dot4_i32_iu8 v13, v1, v16, v13 neg_lo:[1,1,0]
	;; [unrolled: 1-line block ×4, first 2 shown]
	v_or_b32_e32 v7, v27, v26
	s_wait_loadcnt 0x1
	v_dot4_i32_iu8 v12, v2, v22, v12 neg_lo:[1,1,0]
	v_dot4_i32_iu8 v13, v2, v21, v13 neg_lo:[1,1,0]
	v_dot4_i32_iu8 v11, v2, v20, v11 neg_lo:[1,1,0]
	v_dot4_i32_iu8 v1, v2, v19, v1 neg_lo:[1,1,0]
	s_wait_loadcnt 0x0
	v_dot4_i32_iu8 v12, v6, v23, v12 neg_lo:[1,1,0]
	v_dot4_i32_iu8 v13, v6, v24, v13 neg_lo:[1,1,0]
	;; [unrolled: 1-line block ×4, first 2 shown]
	s_wait_alu 0xfffe
	s_and_not1_b32 exec_lo, exec_lo, s11
	s_cbranch_execnz .LBB60_37
; %bb.38:
	s_or_b32 exec_lo, exec_lo, s11
.LBB60_39:
	s_wait_alu 0xfffe
	s_or_b32 exec_lo, exec_lo, s10
.LBB60_40:
	s_wait_alu 0xfffe
	s_or_b32 exec_lo, exec_lo, s5
.LBB60_41:
	v_mbcnt_lo_u32_b32 v0, -1, 0
	s_mov_b32 s2, -1
	s_delay_alu instid0(VALU_DEP_1) | instskip(NEXT) | instid1(VALU_DEP_1)
	v_xor_b32_e32 v1, 2, v0
	v_cmp_gt_i32_e32 vcc_lo, 32, v1
	s_wait_alu 0xfffd
	v_cndmask_b32_e32 v1, v0, v1, vcc_lo
	s_delay_alu instid0(VALU_DEP_1)
	v_lshlrev_b32_e32 v1, 2, v1
	ds_bpermute_b32 v2, v1, v10
	ds_bpermute_b32 v4, v1, v11
	;; [unrolled: 1-line block ×4, first 2 shown]
	v_xor_b32_e32 v1, 1, v0
	s_delay_alu instid0(VALU_DEP_1) | instskip(SKIP_3) | instid1(VALU_DEP_2)
	v_cmp_gt_i32_e32 vcc_lo, 32, v1
	s_wait_alu 0xfffd
	v_cndmask_b32_e32 v0, v0, v1, vcc_lo
	v_cmp_eq_u32_e32 vcc_lo, 3, v8
	v_lshlrev_b32_e32 v9, 2, v0
	s_wait_dscnt 0x3
	v_add_nc_u32_e32 v0, v2, v10
	s_wait_dscnt 0x2
	v_add_nc_u32_e32 v1, v4, v11
	;; [unrolled: 2-line block ×4, first 2 shown]
	ds_bpermute_b32 v5, v9, v0
	ds_bpermute_b32 v6, v9, v1
	;; [unrolled: 1-line block ×4, first 2 shown]
	s_and_b32 exec_lo, exec_lo, vcc_lo
	s_cbranch_execz .LBB60_14
; %bb.42:
	s_load_b64 s[0:1], s[0:1], 0x50
	s_wait_dscnt 0x3
	v_add_nc_u32_e32 v0, v5, v0
	s_wait_dscnt 0x2
	v_add_nc_u32_e32 v1, v6, v1
	;; [unrolled: 2-line block ×4, first 2 shown]
	v_lshlrev_b32_e32 v5, 2, v3
	v_mul_lo_u32 v0, v0, s13
	v_mul_lo_u32 v1, v1, s13
	;; [unrolled: 1-line block ×4, first 2 shown]
	s_cmp_eq_u32 s14, 0
	s_cbranch_scc1 .LBB60_44
; %bb.43:
	v_ashrrev_i32_e32 v6, 31, v5
	s_mov_b32 s2, 0
	s_delay_alu instid0(VALU_DEP_1) | instskip(SKIP_1) | instid1(VALU_DEP_1)
	v_lshlrev_b64_e32 v[6:7], 2, v[5:6]
	s_wait_kmcnt 0x0
	v_add_co_u32 v13, vcc_lo, s0, v6
	s_wait_alu 0xfffd
	s_delay_alu instid0(VALU_DEP_2)
	v_add_co_ci_u32_e64 v14, null, s1, v7, vcc_lo
	global_load_b128 v[6:9], v[13:14], off
	s_wait_loadcnt 0x0
	v_mad_co_u64_u32 v[15:16], null, v9, s14, v[4:5]
	v_mad_co_u64_u32 v[9:10], null, v6, s14, v[0:1]
	;; [unrolled: 1-line block ×4, first 2 shown]
	s_delay_alu instid0(VALU_DEP_4)
	v_mov_b32_e32 v12, v15
	global_store_b128 v[13:14], v[9:12], off
.LBB60_44:
	s_wait_alu 0xfffe
	s_and_not1_b32 vcc_lo, exec_lo, s2
	s_wait_alu 0xfffe
	s_cbranch_vccnz .LBB60_14
; %bb.45:
	v_ashrrev_i32_e32 v6, 31, v5
	v_mov_b32_e32 v3, v4
	s_delay_alu instid0(VALU_DEP_2) | instskip(SKIP_1) | instid1(VALU_DEP_1)
	v_lshlrev_b64_e32 v[5:6], 2, v[5:6]
	s_wait_kmcnt 0x0
	v_add_co_u32 v5, vcc_lo, s0, v5
	s_wait_alu 0xfffd
	s_delay_alu instid0(VALU_DEP_2)
	v_add_co_ci_u32_e64 v6, null, s1, v6, vcc_lo
	global_store_b128 v[5:6], v[0:3], off
	s_endpgm
	.section	.rodata,"a",@progbits
	.p2align	6, 0x0
	.amdhsa_kernel _ZN9rocsparseL18bsrxmvn_4x4_kernelILj128ELj4EiiiaaiEEvT3_20rocsparse_direction_NS_24const_host_device_scalarIT1_EES1_PKS1_PKT2_SA_S7_PKT4_PKT5_S5_PT6_21rocsparse_index_base_b
		.amdhsa_group_segment_fixed_size 0
		.amdhsa_private_segment_fixed_size 0
		.amdhsa_kernarg_size 96
		.amdhsa_user_sgpr_count 2
		.amdhsa_user_sgpr_dispatch_ptr 0
		.amdhsa_user_sgpr_queue_ptr 0
		.amdhsa_user_sgpr_kernarg_segment_ptr 1
		.amdhsa_user_sgpr_dispatch_id 0
		.amdhsa_user_sgpr_private_segment_size 0
		.amdhsa_wavefront_size32 1
		.amdhsa_uses_dynamic_stack 0
		.amdhsa_enable_private_segment 0
		.amdhsa_system_sgpr_workgroup_id_x 1
		.amdhsa_system_sgpr_workgroup_id_y 0
		.amdhsa_system_sgpr_workgroup_id_z 0
		.amdhsa_system_sgpr_workgroup_info 0
		.amdhsa_system_vgpr_workitem_id 0
		.amdhsa_next_free_vgpr 48
		.amdhsa_next_free_sgpr 16
		.amdhsa_reserve_vcc 1
		.amdhsa_float_round_mode_32 0
		.amdhsa_float_round_mode_16_64 0
		.amdhsa_float_denorm_mode_32 3
		.amdhsa_float_denorm_mode_16_64 3
		.amdhsa_fp16_overflow 0
		.amdhsa_workgroup_processor_mode 1
		.amdhsa_memory_ordered 1
		.amdhsa_forward_progress 1
		.amdhsa_inst_pref_size 28
		.amdhsa_round_robin_scheduling 0
		.amdhsa_exception_fp_ieee_invalid_op 0
		.amdhsa_exception_fp_denorm_src 0
		.amdhsa_exception_fp_ieee_div_zero 0
		.amdhsa_exception_fp_ieee_overflow 0
		.amdhsa_exception_fp_ieee_underflow 0
		.amdhsa_exception_fp_ieee_inexact 0
		.amdhsa_exception_int_div_zero 0
	.end_amdhsa_kernel
	.section	.text._ZN9rocsparseL18bsrxmvn_4x4_kernelILj128ELj4EiiiaaiEEvT3_20rocsparse_direction_NS_24const_host_device_scalarIT1_EES1_PKS1_PKT2_SA_S7_PKT4_PKT5_S5_PT6_21rocsparse_index_base_b,"axG",@progbits,_ZN9rocsparseL18bsrxmvn_4x4_kernelILj128ELj4EiiiaaiEEvT3_20rocsparse_direction_NS_24const_host_device_scalarIT1_EES1_PKS1_PKT2_SA_S7_PKT4_PKT5_S5_PT6_21rocsparse_index_base_b,comdat
.Lfunc_end60:
	.size	_ZN9rocsparseL18bsrxmvn_4x4_kernelILj128ELj4EiiiaaiEEvT3_20rocsparse_direction_NS_24const_host_device_scalarIT1_EES1_PKS1_PKT2_SA_S7_PKT4_PKT5_S5_PT6_21rocsparse_index_base_b, .Lfunc_end60-_ZN9rocsparseL18bsrxmvn_4x4_kernelILj128ELj4EiiiaaiEEvT3_20rocsparse_direction_NS_24const_host_device_scalarIT1_EES1_PKS1_PKT2_SA_S7_PKT4_PKT5_S5_PT6_21rocsparse_index_base_b
                                        ; -- End function
	.set _ZN9rocsparseL18bsrxmvn_4x4_kernelILj128ELj4EiiiaaiEEvT3_20rocsparse_direction_NS_24const_host_device_scalarIT1_EES1_PKS1_PKT2_SA_S7_PKT4_PKT5_S5_PT6_21rocsparse_index_base_b.num_vgpr, 48
	.set _ZN9rocsparseL18bsrxmvn_4x4_kernelILj128ELj4EiiiaaiEEvT3_20rocsparse_direction_NS_24const_host_device_scalarIT1_EES1_PKS1_PKT2_SA_S7_PKT4_PKT5_S5_PT6_21rocsparse_index_base_b.num_agpr, 0
	.set _ZN9rocsparseL18bsrxmvn_4x4_kernelILj128ELj4EiiiaaiEEvT3_20rocsparse_direction_NS_24const_host_device_scalarIT1_EES1_PKS1_PKT2_SA_S7_PKT4_PKT5_S5_PT6_21rocsparse_index_base_b.numbered_sgpr, 16
	.set _ZN9rocsparseL18bsrxmvn_4x4_kernelILj128ELj4EiiiaaiEEvT3_20rocsparse_direction_NS_24const_host_device_scalarIT1_EES1_PKS1_PKT2_SA_S7_PKT4_PKT5_S5_PT6_21rocsparse_index_base_b.num_named_barrier, 0
	.set _ZN9rocsparseL18bsrxmvn_4x4_kernelILj128ELj4EiiiaaiEEvT3_20rocsparse_direction_NS_24const_host_device_scalarIT1_EES1_PKS1_PKT2_SA_S7_PKT4_PKT5_S5_PT6_21rocsparse_index_base_b.private_seg_size, 0
	.set _ZN9rocsparseL18bsrxmvn_4x4_kernelILj128ELj4EiiiaaiEEvT3_20rocsparse_direction_NS_24const_host_device_scalarIT1_EES1_PKS1_PKT2_SA_S7_PKT4_PKT5_S5_PT6_21rocsparse_index_base_b.uses_vcc, 1
	.set _ZN9rocsparseL18bsrxmvn_4x4_kernelILj128ELj4EiiiaaiEEvT3_20rocsparse_direction_NS_24const_host_device_scalarIT1_EES1_PKS1_PKT2_SA_S7_PKT4_PKT5_S5_PT6_21rocsparse_index_base_b.uses_flat_scratch, 0
	.set _ZN9rocsparseL18bsrxmvn_4x4_kernelILj128ELj4EiiiaaiEEvT3_20rocsparse_direction_NS_24const_host_device_scalarIT1_EES1_PKS1_PKT2_SA_S7_PKT4_PKT5_S5_PT6_21rocsparse_index_base_b.has_dyn_sized_stack, 0
	.set _ZN9rocsparseL18bsrxmvn_4x4_kernelILj128ELj4EiiiaaiEEvT3_20rocsparse_direction_NS_24const_host_device_scalarIT1_EES1_PKS1_PKT2_SA_S7_PKT4_PKT5_S5_PT6_21rocsparse_index_base_b.has_recursion, 0
	.set _ZN9rocsparseL18bsrxmvn_4x4_kernelILj128ELj4EiiiaaiEEvT3_20rocsparse_direction_NS_24const_host_device_scalarIT1_EES1_PKS1_PKT2_SA_S7_PKT4_PKT5_S5_PT6_21rocsparse_index_base_b.has_indirect_call, 0
	.section	.AMDGPU.csdata,"",@progbits
; Kernel info:
; codeLenInByte = 3536
; TotalNumSgprs: 18
; NumVgprs: 48
; ScratchSize: 0
; MemoryBound: 0
; FloatMode: 240
; IeeeMode: 1
; LDSByteSize: 0 bytes/workgroup (compile time only)
; SGPRBlocks: 0
; VGPRBlocks: 5
; NumSGPRsForWavesPerEU: 18
; NumVGPRsForWavesPerEU: 48
; Occupancy: 16
; WaveLimiterHint : 1
; COMPUTE_PGM_RSRC2:SCRATCH_EN: 0
; COMPUTE_PGM_RSRC2:USER_SGPR: 2
; COMPUTE_PGM_RSRC2:TRAP_HANDLER: 0
; COMPUTE_PGM_RSRC2:TGID_X_EN: 1
; COMPUTE_PGM_RSRC2:TGID_Y_EN: 0
; COMPUTE_PGM_RSRC2:TGID_Z_EN: 0
; COMPUTE_PGM_RSRC2:TIDIG_COMP_CNT: 0
	.section	.text._ZN9rocsparseL18bsrxmvn_4x4_kernelILj128ELj8EiiiaaiEEvT3_20rocsparse_direction_NS_24const_host_device_scalarIT1_EES1_PKS1_PKT2_SA_S7_PKT4_PKT5_S5_PT6_21rocsparse_index_base_b,"axG",@progbits,_ZN9rocsparseL18bsrxmvn_4x4_kernelILj128ELj8EiiiaaiEEvT3_20rocsparse_direction_NS_24const_host_device_scalarIT1_EES1_PKS1_PKT2_SA_S7_PKT4_PKT5_S5_PT6_21rocsparse_index_base_b,comdat
	.globl	_ZN9rocsparseL18bsrxmvn_4x4_kernelILj128ELj8EiiiaaiEEvT3_20rocsparse_direction_NS_24const_host_device_scalarIT1_EES1_PKS1_PKT2_SA_S7_PKT4_PKT5_S5_PT6_21rocsparse_index_base_b ; -- Begin function _ZN9rocsparseL18bsrxmvn_4x4_kernelILj128ELj8EiiiaaiEEvT3_20rocsparse_direction_NS_24const_host_device_scalarIT1_EES1_PKS1_PKT2_SA_S7_PKT4_PKT5_S5_PT6_21rocsparse_index_base_b
	.p2align	8
	.type	_ZN9rocsparseL18bsrxmvn_4x4_kernelILj128ELj8EiiiaaiEEvT3_20rocsparse_direction_NS_24const_host_device_scalarIT1_EES1_PKS1_PKT2_SA_S7_PKT4_PKT5_S5_PT6_21rocsparse_index_base_b,@function
_ZN9rocsparseL18bsrxmvn_4x4_kernelILj128ELj8EiiiaaiEEvT3_20rocsparse_direction_NS_24const_host_device_scalarIT1_EES1_PKS1_PKT2_SA_S7_PKT4_PKT5_S5_PT6_21rocsparse_index_base_b: ; @_ZN9rocsparseL18bsrxmvn_4x4_kernelILj128ELj8EiiiaaiEEvT3_20rocsparse_direction_NS_24const_host_device_scalarIT1_EES1_PKS1_PKT2_SA_S7_PKT4_PKT5_S5_PT6_21rocsparse_index_base_b
; %bb.0:
	s_clause 0x1
	s_load_b64 s[12:13], s[0:1], 0x58
	s_load_b64 s[4:5], s[0:1], 0x8
	s_mov_b32 s7, -1
	s_wait_kmcnt 0x0
	s_bitcmp1_b32 s13, 0
                                        ; implicit-def: $sgpr13
	s_cselect_b32 s2, -1, 0
	s_delay_alu instid0(SALU_CYCLE_1) | instskip(NEXT) | instid1(SALU_CYCLE_1)
	s_xor_b32 s6, s2, -1
	s_and_b32 vcc_lo, exec_lo, s6
	s_cbranch_vccnz .LBB61_4
; %bb.1:
	s_load_b64 s[2:3], s[0:1], 0x48
	s_and_not1_b32 vcc_lo, exec_lo, s7
	s_cbranch_vccz .LBB61_5
.LBB61_2:
	s_and_b32 vcc_lo, exec_lo, s6
	s_cbranch_vccz .LBB61_6
.LBB61_3:
	s_wait_kmcnt 0x0
	s_load_b32 s14, s[2:3], 0x0
	s_cbranch_execz .LBB61_7
	s_branch .LBB61_8
.LBB61_4:
	s_load_b32 s13, s[4:5], 0x0
	s_load_b64 s[2:3], s[0:1], 0x48
	s_cbranch_execnz .LBB61_2
.LBB61_5:
	s_wait_kmcnt 0x0
	s_mov_b32 s13, s4
	s_and_b32 vcc_lo, exec_lo, s6
	s_cbranch_vccnz .LBB61_3
.LBB61_6:
	s_wait_kmcnt 0x0
                                        ; implicit-def: $sgpr14
.LBB61_7:
	s_wait_kmcnt 0x0
	s_mov_b32 s14, s2
.LBB61_8:
	s_cmp_lg_u32 s13, 0
	s_mov_b32 s6, 0
	s_cselect_b32 s2, -1, 0
	s_wait_kmcnt 0x0
	s_cmp_lg_u32 s14, 1
	s_cselect_b32 s3, -1, 0
	s_delay_alu instid0(SALU_CYCLE_1) | instskip(NEXT) | instid1(SALU_CYCLE_1)
	s_or_b32 s2, s2, s3
	s_and_not1_b32 vcc_lo, exec_lo, s2
	s_cbranch_vccnz .LBB61_14
; %bb.9:
	s_clause 0x1
	s_load_b64 s[4:5], s[0:1], 0x18
	s_load_b64 s[2:3], s[0:1], 0x0
	v_lshrrev_b32_e32 v1, 3, v0
	s_delay_alu instid0(VALU_DEP_1)
	v_lshl_or_b32 v3, ttmp9, 4, v1
	s_wait_kmcnt 0x0
	s_cmp_lg_u64 s[4:5], 0
	s_cbranch_scc0 .LBB61_15
; %bb.10:
	s_load_b32 s6, s[0:1], 0x10
	s_mov_b32 s7, 0
                                        ; implicit-def: $vgpr1
	s_wait_kmcnt 0x0
	v_cmp_gt_i32_e32 vcc_lo, s6, v3
	s_mov_b32 s6, 0
	s_and_saveexec_b32 s8, vcc_lo
	s_delay_alu instid0(SALU_CYCLE_1)
	s_xor_b32 s8, exec_lo, s8
	s_cbranch_execz .LBB61_12
; %bb.11:
	v_ashrrev_i32_e32 v4, 31, v3
	s_mov_b32 s6, exec_lo
	s_delay_alu instid0(VALU_DEP_1) | instskip(NEXT) | instid1(VALU_DEP_1)
	v_lshlrev_b64_e32 v[1:2], 2, v[3:4]
	v_add_co_u32 v1, vcc_lo, s4, v1
	s_delay_alu instid0(VALU_DEP_1)
	v_add_co_ci_u32_e64 v2, null, s5, v2, vcc_lo
	global_load_b32 v1, v[1:2], off
	s_wait_loadcnt 0x0
	v_subrev_nc_u32_e32 v1, s12, v1
.LBB61_12:
	s_or_b32 exec_lo, exec_lo, s8
	s_delay_alu instid0(SALU_CYCLE_1)
	s_and_b32 vcc_lo, exec_lo, s7
	s_wait_alu 0xfffe
	s_cbranch_vccz .LBB61_16
.LBB61_13:
	v_cmp_gt_i32_e32 vcc_lo, s2, v3
	s_and_not1_b32 s2, s6, exec_lo
	s_and_b32 s4, vcc_lo, exec_lo
	s_wait_alu 0xfffe
	s_or_b32 s6, s2, s4
	s_wait_alu 0xfffe
	s_and_saveexec_b32 s2, s6
	s_cbranch_execnz .LBB61_17
.LBB61_14:
	s_endpgm
.LBB61_15:
                                        ; implicit-def: $vgpr1
	s_cbranch_execnz .LBB61_13
.LBB61_16:
	v_mov_b32_e32 v3, v1
	s_and_saveexec_b32 s2, s6
	s_cbranch_execz .LBB61_14
.LBB61_17:
	s_load_b256 s[4:11], s[0:1], 0x20
	s_delay_alu instid0(VALU_DEP_1) | instskip(SKIP_1) | instid1(VALU_DEP_2)
	v_ashrrev_i32_e32 v4, 31, v3
	v_and_b32_e32 v8, 7, v0
	v_lshlrev_b64_e32 v[1:2], 2, v[3:4]
	s_wait_kmcnt 0x0
	s_delay_alu instid0(VALU_DEP_1) | instskip(SKIP_1) | instid1(VALU_DEP_2)
	v_add_co_u32 v4, vcc_lo, s4, v1
	s_wait_alu 0xfffd
	v_add_co_ci_u32_e64 v5, null, s5, v2, vcc_lo
	v_add_co_u32 v1, vcc_lo, s6, v1
	s_wait_alu 0xfffd
	v_add_co_ci_u32_e64 v2, null, s7, v2, vcc_lo
	global_load_b32 v14, v[4:5], off
	v_add_co_u32 v4, vcc_lo, v4, 4
	s_wait_alu 0xfffd
	v_add_co_ci_u32_e64 v5, null, 0, v5, vcc_lo
	s_cmp_eq_u64 s[6:7], 0
	s_load_b64 s[6:7], s[0:1], 0x40
	s_cselect_b32 vcc_lo, -1, 0
	s_cmp_eq_u32 s3, 1
	s_wait_alu 0xfffe
	v_dual_cndmask_b32 v2, v2, v5 :: v_dual_cndmask_b32 v1, v1, v4
	global_load_b32 v4, v[1:2], off
	s_wait_loadcnt 0x1
	v_subrev_nc_u32_e32 v0, s12, v14
	s_delay_alu instid0(VALU_DEP_1) | instskip(NEXT) | instid1(VALU_DEP_1)
	v_add_nc_u32_e32 v0, v0, v8
	v_ashrrev_i32_e32 v1, 31, v0
	s_wait_loadcnt 0x0
	v_subrev_nc_u32_e32 v9, s12, v4
	s_delay_alu instid0(VALU_DEP_2) | instskip(NEXT) | instid1(VALU_DEP_2)
	v_lshlrev_b64_e32 v[1:2], 4, v[0:1]
	v_cmp_lt_i32_e64 s2, v0, v9
	s_delay_alu instid0(VALU_DEP_2) | instskip(SKIP_1) | instid1(VALU_DEP_3)
	v_add_co_u32 v4, vcc_lo, s10, v1
	s_wait_alu 0xfffd
	v_add_co_ci_u32_e64 v5, null, s11, v2, vcc_lo
	s_cbranch_scc1 .LBB61_29
; %bb.18:
	v_dual_mov_b32 v12, 0 :: v_dual_mov_b32 v13, 0
	v_dual_mov_b32 v11, 0 :: v_dual_mov_b32 v10, 0
	s_and_saveexec_b32 s10, s2
	s_cbranch_execz .LBB61_28
; %bb.19:
	v_dual_mov_b32 v10, 0 :: v_dual_add_nc_u32 v1, v14, v8
	v_not_b32_e32 v2, v14
	v_mov_b32_e32 v7, v5
	s_mov_b32 s4, 0
	s_delay_alu instid0(VALU_DEP_3) | instskip(SKIP_3) | instid1(VALU_DEP_3)
	v_subrev_nc_u32_e32 v1, s12, v1
	v_dual_mov_b32 v11, v10 :: v_dual_mov_b32 v6, v4
	v_mov_b32_e32 v13, v10
	s_mov_b32 s3, exec_lo
	v_dual_mov_b32 v12, v10 :: v_dual_add_nc_u32 v1, 8, v1
	s_delay_alu instid0(VALU_DEP_1) | instskip(NEXT) | instid1(VALU_DEP_1)
	v_max_i32_e32 v1, v1, v9
	v_add3_u32 v1, s12, v1, v2
	s_delay_alu instid0(VALU_DEP_1) | instskip(NEXT) | instid1(VALU_DEP_1)
	v_sub_nc_u32_e32 v15, v1, v8
	v_dual_mov_b32 v1, v0 :: v_dual_and_b32 v2, 24, v15
	s_delay_alu instid0(VALU_DEP_1)
	v_cmpx_ne_u32_e32 24, v2
	s_cbranch_execz .LBB61_23
; %bb.20:
	v_lshrrev_b32_e32 v1, 3, v15
	v_mov_b32_e32 v7, v5
	v_mov_b32_e32 v11, 0
	v_dual_mov_b32 v13, 0 :: v_dual_mov_b32 v12, 0
	s_delay_alu instid0(VALU_DEP_4) | instskip(NEXT) | instid1(VALU_DEP_1)
	v_dual_mov_b32 v6, v4 :: v_dual_add_nc_u32 v1, 1, v1
	v_and_b32_e32 v1, 3, v1
	s_delay_alu instid0(VALU_DEP_1)
	v_sub_nc_u32_e32 v16, 0, v1
	v_mov_b32_e32 v1, v0
.LBB61_21:                              ; =>This Inner Loop Header: Depth=1
	s_delay_alu instid0(VALU_DEP_1) | instskip(NEXT) | instid1(VALU_DEP_3)
	v_ashrrev_i32_e32 v2, 31, v1
	v_add_co_u32 v16, s5, v16, 1
	s_wait_alu 0xfffe
	s_or_b32 s4, s5, s4
	s_delay_alu instid0(VALU_DEP_2) | instskip(SKIP_1) | instid1(VALU_DEP_2)
	v_lshlrev_b64_e32 v[17:18], 2, v[1:2]
	v_add_nc_u32_e32 v1, 8, v1
	v_add_co_u32 v17, vcc_lo, s8, v17
	s_wait_alu 0xfffd
	s_delay_alu instid0(VALU_DEP_3) | instskip(SKIP_3) | instid1(VALU_DEP_1)
	v_add_co_ci_u32_e64 v18, null, s9, v18, vcc_lo
	global_load_b32 v2, v[17:18], off
	s_wait_loadcnt 0x0
	v_subrev_nc_u32_e32 v2, s12, v2
	v_lshlrev_b32_e32 v2, 2, v2
	s_delay_alu instid0(VALU_DEP_1) | instskip(SKIP_3) | instid1(VALU_DEP_2)
	v_ashrrev_i32_e32 v17, 31, v2
	s_wait_kmcnt 0x0
	v_add_co_u32 v21, vcc_lo, s6, v2
	s_wait_alu 0xfffd
	v_add_co_ci_u32_e64 v22, null, s7, v17, vcc_lo
	global_load_b128 v[17:20], v[6:7], off
	global_load_b32 v2, v[21:22], off
	v_add_co_u32 v6, vcc_lo, 0x80, v6
	s_wait_alu 0xfffd
	v_add_co_ci_u32_e64 v7, null, 0, v7, vcc_lo
	s_wait_loadcnt 0x0
	v_dot4_i32_iu8 v12, v2, v20, v12 neg_lo:[1,1,0]
	v_dot4_i32_iu8 v13, v2, v19, v13 neg_lo:[1,1,0]
	;; [unrolled: 1-line block ×4, first 2 shown]
	s_wait_alu 0xfffe
	s_and_not1_b32 exec_lo, exec_lo, s4
	s_cbranch_execnz .LBB61_21
; %bb.22:
	s_or_b32 exec_lo, exec_lo, s4
.LBB61_23:
	s_wait_alu 0xfffe
	s_or_b32 exec_lo, exec_lo, s3
	s_delay_alu instid0(SALU_CYCLE_1)
	s_mov_b32 s11, exec_lo
	v_cmpx_lt_u32_e32 23, v15
	s_cbranch_execz .LBB61_27
; %bb.24:
	s_mov_b32 s15, 0
.LBB61_25:                              ; =>This Inner Loop Header: Depth=1
	v_ashrrev_i32_e32 v2, 31, v1
	s_delay_alu instid0(VALU_DEP_1) | instskip(SKIP_1) | instid1(VALU_DEP_2)
	v_lshlrev_b64_e32 v[15:16], 2, v[1:2]
	v_add_nc_u32_e32 v1, 32, v1
	v_add_co_u32 v15, vcc_lo, s8, v15
	s_wait_alu 0xfffd
	s_delay_alu instid0(VALU_DEP_3)
	v_add_co_ci_u32_e64 v16, null, s9, v16, vcc_lo
	s_clause 0x3
	global_load_b32 v2, v[15:16], off
	global_load_b32 v27, v[15:16], off offset:32
	global_load_b32 v28, v[15:16], off offset:64
	global_load_b32 v29, v[15:16], off offset:96
	s_clause 0x2
	global_load_b128 v[15:18], v[6:7], off
	global_load_b128 v[19:22], v[6:7], off offset:128
	global_load_b128 v[23:26], v[6:7], off offset:256
	s_wait_loadcnt 0x6
	v_subrev_nc_u32_e32 v2, s12, v2
	s_wait_loadcnt 0x5
	v_subrev_nc_u32_e32 v27, s12, v27
	;; [unrolled: 2-line block ×4, first 2 shown]
	v_lshlrev_b32_e32 v2, 2, v2
	v_lshlrev_b32_e32 v27, 2, v27
	;; [unrolled: 1-line block ×3, first 2 shown]
	s_delay_alu instid0(VALU_DEP_4) | instskip(NEXT) | instid1(VALU_DEP_4)
	v_lshlrev_b32_e32 v30, 2, v29
	v_ashrrev_i32_e32 v33, 31, v2
	s_wait_kmcnt 0x0
	v_add_co_u32 v32, s5, s6, v2
	v_ashrrev_i32_e32 v34, 31, v27
	v_add_co_u32 v27, vcc_lo, s6, v27
	s_wait_alu 0xf1ff
	v_add_co_ci_u32_e64 v33, null, s7, v33, s5
	v_ashrrev_i32_e32 v35, 31, v28
	v_add_co_u32 v29, s3, s6, v28
	s_wait_alu 0xfffd
	v_add_co_ci_u32_e64 v28, null, s7, v34, vcc_lo
	global_load_b32 v2, v[32:33], off
	v_ashrrev_i32_e32 v36, 31, v30
	v_add_co_u32 v31, s4, s6, v30
	global_load_b32 v33, v[27:28], off
	s_wait_alu 0xf1ff
	v_add_co_ci_u32_e64 v30, null, s7, v35, s3
	v_add_co_ci_u32_e64 v32, null, s7, v36, s4
	global_load_b32 v34, v[29:30], off
	global_load_b128 v[27:30], v[6:7], off offset:384
	global_load_b32 v31, v[31:32], off
	v_add_co_u32 v6, vcc_lo, 0x200, v6
	s_wait_alu 0xfffd
	v_add_co_ci_u32_e64 v7, null, 0, v7, vcc_lo
	v_cmp_ge_i32_e32 vcc_lo, v1, v9
	s_or_b32 s15, vcc_lo, s15
	s_wait_loadcnt 0x4
	v_dot4_i32_iu8 v10, v2, v15, v10 neg_lo:[1,1,0]
	v_dot4_i32_iu8 v12, v2, v18, v12 neg_lo:[1,1,0]
	v_dot4_i32_iu8 v13, v2, v17, v13 neg_lo:[1,1,0]
	v_dot4_i32_iu8 v2, v2, v16, v11 neg_lo:[1,1,0]
	s_wait_loadcnt 0x3
	v_dot4_i32_iu8 v10, v33, v19, v10 neg_lo:[1,1,0]
	v_dot4_i32_iu8 v11, v33, v22, v12 neg_lo:[1,1,0]
	v_dot4_i32_iu8 v12, v33, v21, v13 neg_lo:[1,1,0]
	v_dot4_i32_iu8 v2, v33, v20, v2 neg_lo:[1,1,0]
	;; [unrolled: 5-line block ×4, first 2 shown]
	s_and_not1_b32 exec_lo, exec_lo, s15
	s_cbranch_execnz .LBB61_25
; %bb.26:
	s_or_b32 exec_lo, exec_lo, s15
.LBB61_27:
	s_wait_alu 0xfffe
	s_or_b32 exec_lo, exec_lo, s11
.LBB61_28:
	s_wait_alu 0xfffe
	s_or_b32 exec_lo, exec_lo, s10
	s_cbranch_execz .LBB61_30
	s_branch .LBB61_41
.LBB61_29:
                                        ; implicit-def: $vgpr12
                                        ; implicit-def: $vgpr10
                                        ; implicit-def: $vgpr11
                                        ; implicit-def: $vgpr13
.LBB61_30:
	v_dual_mov_b32 v12, 0 :: v_dual_mov_b32 v13, 0
	v_dual_mov_b32 v11, 0 :: v_dual_mov_b32 v10, 0
	s_and_saveexec_b32 s5, s2
	s_cbranch_execz .LBB61_40
; %bb.31:
	v_dual_mov_b32 v10, 0 :: v_dual_add_nc_u32 v1, v14, v8
	v_not_b32_e32 v2, v14
	s_mov_b32 s3, 0
	s_mov_b32 s2, exec_lo
	s_delay_alu instid0(VALU_DEP_2) | instskip(SKIP_2) | instid1(VALU_DEP_3)
	v_subrev_nc_u32_e32 v1, s12, v1
	v_mov_b32_e32 v11, v10
	v_dual_mov_b32 v13, v10 :: v_dual_mov_b32 v12, v10
	v_add_nc_u32_e32 v1, 8, v1
	s_delay_alu instid0(VALU_DEP_1) | instskip(NEXT) | instid1(VALU_DEP_1)
	v_max_i32_e32 v1, v1, v9
	v_add3_u32 v1, s12, v1, v2
	s_delay_alu instid0(VALU_DEP_1) | instskip(NEXT) | instid1(VALU_DEP_1)
	v_sub_nc_u32_e32 v2, v1, v8
	v_and_b32_e32 v1, 24, v2
	s_delay_alu instid0(VALU_DEP_1)
	v_cmpx_ne_u32_e32 24, v1
	s_cbranch_execz .LBB61_35
; %bb.32:
	v_lshrrev_b32_e32 v1, 3, v2
	v_mov_b32_e32 v11, 0
	v_dual_mov_b32 v13, 0 :: v_dual_mov_b32 v12, 0
	s_delay_alu instid0(VALU_DEP_3) | instskip(NEXT) | instid1(VALU_DEP_1)
	v_add_nc_u32_e32 v1, 1, v1
	v_and_b32_e32 v1, 3, v1
	s_delay_alu instid0(VALU_DEP_1)
	v_sub_nc_u32_e32 v6, 0, v1
.LBB61_33:                              ; =>This Inner Loop Header: Depth=1
	v_ashrrev_i32_e32 v1, 31, v0
	s_delay_alu instid0(VALU_DEP_2) | instskip(SKIP_2) | instid1(VALU_DEP_2)
	v_add_co_u32 v6, s4, v6, 1
	s_wait_alu 0xfffe
	s_or_b32 s3, s4, s3
	v_lshlrev_b64_e32 v[14:15], 2, v[0:1]
	v_add_nc_u32_e32 v0, 8, v0
	s_delay_alu instid0(VALU_DEP_2) | instskip(SKIP_1) | instid1(VALU_DEP_3)
	v_add_co_u32 v14, vcc_lo, s8, v14
	s_wait_alu 0xfffd
	v_add_co_ci_u32_e64 v15, null, s9, v15, vcc_lo
	global_load_b32 v1, v[14:15], off
	global_load_b128 v[14:17], v[4:5], off
	s_wait_loadcnt 0x1
	v_subrev_nc_u32_e32 v1, s12, v1
	s_wait_loadcnt 0x0
	v_perm_b32 v20, v17, v16, 0x6020c0c
	v_perm_b32 v21, v15, v14, 0xc0c0501
	;; [unrolled: 1-line block ×3, first 2 shown]
	v_lshlrev_b32_e32 v1, 2, v1
	s_delay_alu instid0(VALU_DEP_1) | instskip(SKIP_3) | instid1(VALU_DEP_2)
	v_ashrrev_i32_e32 v7, 31, v1
	s_wait_kmcnt 0x0
	v_add_co_u32 v18, vcc_lo, s6, v1
	s_wait_alu 0xfffd
	v_add_co_ci_u32_e64 v19, null, s7, v7, vcc_lo
	v_perm_b32 v7, v15, v14, 0xc0c0703
	v_add_co_u32 v4, vcc_lo, 0x80, v4
	global_load_b32 v1, v[18:19], off
	v_perm_b32 v18, v17, v16, 0x7030c0c
	v_perm_b32 v19, v15, v14, 0xc0c0602
	;; [unrolled: 1-line block ×4, first 2 shown]
	v_or_b32_e32 v17, v22, v21
	v_or_b32_e32 v7, v18, v7
	;; [unrolled: 1-line block ×3, first 2 shown]
	s_wait_alu 0xfffd
	v_add_co_ci_u32_e64 v5, null, 0, v5, vcc_lo
	v_or_b32_e32 v14, v15, v14
	s_wait_loadcnt 0x0
	v_dot4_i32_iu8 v12, v1, v7, v12 neg_lo:[1,1,0]
	v_dot4_i32_iu8 v13, v1, v16, v13 neg_lo:[1,1,0]
	;; [unrolled: 1-line block ×4, first 2 shown]
	s_wait_alu 0xfffe
	s_and_not1_b32 exec_lo, exec_lo, s3
	s_cbranch_execnz .LBB61_33
; %bb.34:
	s_or_b32 exec_lo, exec_lo, s3
.LBB61_35:
	s_wait_alu 0xfffe
	s_or_b32 exec_lo, exec_lo, s2
	s_delay_alu instid0(SALU_CYCLE_1)
	s_mov_b32 s10, exec_lo
	v_cmpx_lt_u32_e32 23, v2
	s_cbranch_execz .LBB61_39
; %bb.36:
	s_mov_b32 s11, 0
.LBB61_37:                              ; =>This Inner Loop Header: Depth=1
	v_ashrrev_i32_e32 v1, 31, v0
	s_delay_alu instid0(VALU_DEP_1) | instskip(SKIP_1) | instid1(VALU_DEP_2)
	v_lshlrev_b64_e32 v[1:2], 2, v[0:1]
	v_add_nc_u32_e32 v0, 32, v0
	v_add_co_u32 v1, vcc_lo, s8, v1
	s_wait_alu 0xfffd
	s_delay_alu instid0(VALU_DEP_3)
	v_add_co_ci_u32_e64 v2, null, s9, v2, vcc_lo
	s_clause 0x3
	global_load_b32 v6, v[1:2], off
	global_load_b32 v7, v[1:2], off offset:32
	global_load_b32 v30, v[1:2], off offset:64
	global_load_b32 v1, v[1:2], off offset:96
	s_clause 0x3
	global_load_b128 v[14:17], v[4:5], off
	global_load_b128 v[18:21], v[4:5], off offset:128
	global_load_b128 v[22:25], v[4:5], off offset:256
	;; [unrolled: 1-line block ×3, first 2 shown]
	s_wait_loadcnt 0x7
	v_subrev_nc_u32_e32 v2, s12, v6
	s_wait_loadcnt 0x6
	v_subrev_nc_u32_e32 v6, s12, v7
	;; [unrolled: 2-line block ×4, first 2 shown]
	v_lshlrev_b32_e32 v2, 2, v2
	v_lshlrev_b32_e32 v6, 2, v6
	;; [unrolled: 1-line block ×3, first 2 shown]
	s_delay_alu instid0(VALU_DEP_4)
	v_lshlrev_b32_e32 v30, 2, v1
	s_wait_loadcnt 0x2
	v_perm_b32 v36, v19, v18, 0xc0c0602
	v_ashrrev_i32_e32 v32, 31, v2
	s_wait_kmcnt 0x0
	v_add_co_u32 v31, s4, s6, v2
	v_ashrrev_i32_e32 v33, 31, v6
	v_add_co_u32 v1, vcc_lo, s6, v6
	s_wait_alu 0xf1ff
	v_add_co_ci_u32_e64 v32, null, s7, v32, s4
	s_wait_alu 0xfffd
	v_add_co_ci_u32_e64 v2, null, s7, v33, vcc_lo
	v_ashrrev_i32_e32 v34, 31, v7
	global_load_b32 v32, v[31:32], off
	v_ashrrev_i32_e32 v35, 31, v30
	v_add_co_u32 v6, s2, s6, v7
	v_add_co_u32 v30, s3, s6, v30
	global_load_b32 v1, v[1:2], off
	s_wait_alu 0xf1ff
	v_add_co_ci_u32_e64 v7, null, s7, v34, s2
	v_add_co_ci_u32_e64 v31, null, s7, v35, s3
	s_clause 0x1
	global_load_b32 v2, v[6:7], off
	global_load_b32 v6, v[30:31], off
	v_perm_b32 v7, v15, v14, 0xc0c0400
	v_perm_b32 v30, v17, v16, 0x4000c0c
	;; [unrolled: 1-line block ×15, first 2 shown]
	s_wait_loadcnt 0x5
	v_perm_b32 v20, v23, v22, 0xc0c0400
	v_perm_b32 v21, v25, v24, 0x4000c0c
	;; [unrolled: 1-line block ×8, first 2 shown]
	s_wait_loadcnt 0x4
	v_perm_b32 v24, v27, v26, 0xc0c0703
	v_perm_b32 v25, v29, v28, 0x7030c0c
	;; [unrolled: 1-line block ×8, first 2 shown]
	v_or_b32_e32 v7, v30, v7
	v_or_b32_e32 v28, v33, v31
	;; [unrolled: 1-line block ×14, first 2 shown]
	v_add_co_u32 v4, vcc_lo, 0x200, v4
	s_wait_alu 0xfffd
	v_add_co_ci_u32_e64 v5, null, 0, v5, vcc_lo
	v_cmp_ge_i32_e32 vcc_lo, v0, v9
	s_wait_alu 0xfffe
	s_or_b32 s11, vcc_lo, s11
	s_wait_loadcnt 0x3
	v_dot4_i32_iu8 v12, v32, v14, v12 neg_lo:[1,1,0]
	v_dot4_i32_iu8 v13, v32, v29, v13 neg_lo:[1,1,0]
	;; [unrolled: 1-line block ×4, first 2 shown]
	v_or_b32_e32 v10, v47, v46
	s_wait_loadcnt 0x2
	v_dot4_i32_iu8 v12, v1, v15, v12 neg_lo:[1,1,0]
	v_dot4_i32_iu8 v13, v1, v16, v13 neg_lo:[1,1,0]
	;; [unrolled: 1-line block ×4, first 2 shown]
	v_or_b32_e32 v7, v27, v26
	s_wait_loadcnt 0x1
	v_dot4_i32_iu8 v12, v2, v22, v12 neg_lo:[1,1,0]
	v_dot4_i32_iu8 v13, v2, v21, v13 neg_lo:[1,1,0]
	;; [unrolled: 1-line block ×4, first 2 shown]
	s_wait_loadcnt 0x0
	v_dot4_i32_iu8 v12, v6, v23, v12 neg_lo:[1,1,0]
	v_dot4_i32_iu8 v13, v6, v24, v13 neg_lo:[1,1,0]
	;; [unrolled: 1-line block ×4, first 2 shown]
	s_wait_alu 0xfffe
	s_and_not1_b32 exec_lo, exec_lo, s11
	s_cbranch_execnz .LBB61_37
; %bb.38:
	s_or_b32 exec_lo, exec_lo, s11
.LBB61_39:
	s_wait_alu 0xfffe
	s_or_b32 exec_lo, exec_lo, s10
.LBB61_40:
	s_wait_alu 0xfffe
	s_or_b32 exec_lo, exec_lo, s5
.LBB61_41:
	v_mbcnt_lo_u32_b32 v0, -1, 0
	s_mov_b32 s2, -1
	s_delay_alu instid0(VALU_DEP_1) | instskip(SKIP_1) | instid1(VALU_DEP_2)
	v_xor_b32_e32 v1, 4, v0
	v_xor_b32_e32 v6, 2, v0
	v_cmp_gt_i32_e32 vcc_lo, 32, v1
	s_wait_alu 0xfffd
	v_cndmask_b32_e32 v1, v0, v1, vcc_lo
	s_delay_alu instid0(VALU_DEP_3) | instskip(SKIP_2) | instid1(VALU_DEP_1)
	v_cmp_gt_i32_e32 vcc_lo, 32, v6
	s_wait_alu 0xfffd
	v_cndmask_b32_e32 v6, v0, v6, vcc_lo
	v_lshlrev_b32_e32 v6, 2, v6
	v_lshlrev_b32_e32 v1, 2, v1
	ds_bpermute_b32 v4, v1, v11
	s_wait_dscnt 0x0
	v_add_nc_u32_e32 v4, v4, v11
	v_xor_b32_e32 v11, 1, v0
	ds_bpermute_b32 v9, v6, v4
	v_cmp_gt_i32_e32 vcc_lo, 32, v11
	s_wait_alu 0xfffd
	v_cndmask_b32_e32 v0, v0, v11, vcc_lo
	ds_bpermute_b32 v2, v1, v10
	ds_bpermute_b32 v5, v1, v13
	;; [unrolled: 1-line block ×3, first 2 shown]
	v_cmp_eq_u32_e32 vcc_lo, 7, v8
	v_lshlrev_b32_e32 v11, 2, v0
	s_wait_dscnt 0x2
	v_add_nc_u32_e32 v2, v2, v10
	s_wait_dscnt 0x1
	v_add_nc_u32_e32 v5, v5, v13
	;; [unrolled: 2-line block ×3, first 2 shown]
	ds_bpermute_b32 v1, v6, v2
	ds_bpermute_b32 v10, v6, v5
	;; [unrolled: 1-line block ×3, first 2 shown]
	s_wait_dscnt 0x2
	v_add_nc_u32_e32 v0, v1, v2
	v_add_nc_u32_e32 v1, v9, v4
	s_wait_dscnt 0x1
	v_add_nc_u32_e32 v2, v10, v5
	s_wait_dscnt 0x0
	v_add_nc_u32_e32 v4, v6, v7
	ds_bpermute_b32 v5, v11, v0
	ds_bpermute_b32 v6, v11, v1
	;; [unrolled: 1-line block ×4, first 2 shown]
	s_and_b32 exec_lo, exec_lo, vcc_lo
	s_cbranch_execz .LBB61_14
; %bb.42:
	s_load_b64 s[0:1], s[0:1], 0x50
	s_wait_dscnt 0x3
	v_add_nc_u32_e32 v0, v5, v0
	s_wait_dscnt 0x2
	v_add_nc_u32_e32 v1, v6, v1
	;; [unrolled: 2-line block ×4, first 2 shown]
	v_lshlrev_b32_e32 v5, 2, v3
	v_mul_lo_u32 v0, v0, s13
	v_mul_lo_u32 v1, v1, s13
	;; [unrolled: 1-line block ×4, first 2 shown]
	s_cmp_eq_u32 s14, 0
	s_cbranch_scc1 .LBB61_44
; %bb.43:
	v_ashrrev_i32_e32 v6, 31, v5
	s_mov_b32 s2, 0
	s_delay_alu instid0(VALU_DEP_1) | instskip(SKIP_1) | instid1(VALU_DEP_1)
	v_lshlrev_b64_e32 v[6:7], 2, v[5:6]
	s_wait_kmcnt 0x0
	v_add_co_u32 v13, vcc_lo, s0, v6
	s_wait_alu 0xfffd
	s_delay_alu instid0(VALU_DEP_2)
	v_add_co_ci_u32_e64 v14, null, s1, v7, vcc_lo
	global_load_b128 v[6:9], v[13:14], off
	s_wait_loadcnt 0x0
	v_mad_co_u64_u32 v[15:16], null, v9, s14, v[4:5]
	v_mad_co_u64_u32 v[9:10], null, v6, s14, v[0:1]
	;; [unrolled: 1-line block ×4, first 2 shown]
	s_delay_alu instid0(VALU_DEP_4)
	v_mov_b32_e32 v12, v15
	global_store_b128 v[13:14], v[9:12], off
.LBB61_44:
	s_wait_alu 0xfffe
	s_and_not1_b32 vcc_lo, exec_lo, s2
	s_wait_alu 0xfffe
	s_cbranch_vccnz .LBB61_14
; %bb.45:
	v_ashrrev_i32_e32 v6, 31, v5
	v_mov_b32_e32 v3, v4
	s_delay_alu instid0(VALU_DEP_2) | instskip(SKIP_1) | instid1(VALU_DEP_1)
	v_lshlrev_b64_e32 v[5:6], 2, v[5:6]
	s_wait_kmcnt 0x0
	v_add_co_u32 v5, vcc_lo, s0, v5
	s_wait_alu 0xfffd
	s_delay_alu instid0(VALU_DEP_2)
	v_add_co_ci_u32_e64 v6, null, s1, v6, vcc_lo
	global_store_b128 v[5:6], v[0:3], off
	s_endpgm
	.section	.rodata,"a",@progbits
	.p2align	6, 0x0
	.amdhsa_kernel _ZN9rocsparseL18bsrxmvn_4x4_kernelILj128ELj8EiiiaaiEEvT3_20rocsparse_direction_NS_24const_host_device_scalarIT1_EES1_PKS1_PKT2_SA_S7_PKT4_PKT5_S5_PT6_21rocsparse_index_base_b
		.amdhsa_group_segment_fixed_size 0
		.amdhsa_private_segment_fixed_size 0
		.amdhsa_kernarg_size 96
		.amdhsa_user_sgpr_count 2
		.amdhsa_user_sgpr_dispatch_ptr 0
		.amdhsa_user_sgpr_queue_ptr 0
		.amdhsa_user_sgpr_kernarg_segment_ptr 1
		.amdhsa_user_sgpr_dispatch_id 0
		.amdhsa_user_sgpr_private_segment_size 0
		.amdhsa_wavefront_size32 1
		.amdhsa_uses_dynamic_stack 0
		.amdhsa_enable_private_segment 0
		.amdhsa_system_sgpr_workgroup_id_x 1
		.amdhsa_system_sgpr_workgroup_id_y 0
		.amdhsa_system_sgpr_workgroup_id_z 0
		.amdhsa_system_sgpr_workgroup_info 0
		.amdhsa_system_vgpr_workitem_id 0
		.amdhsa_next_free_vgpr 48
		.amdhsa_next_free_sgpr 16
		.amdhsa_reserve_vcc 1
		.amdhsa_float_round_mode_32 0
		.amdhsa_float_round_mode_16_64 0
		.amdhsa_float_denorm_mode_32 3
		.amdhsa_float_denorm_mode_16_64 3
		.amdhsa_fp16_overflow 0
		.amdhsa_workgroup_processor_mode 1
		.amdhsa_memory_ordered 1
		.amdhsa_forward_progress 1
		.amdhsa_inst_pref_size 29
		.amdhsa_round_robin_scheduling 0
		.amdhsa_exception_fp_ieee_invalid_op 0
		.amdhsa_exception_fp_denorm_src 0
		.amdhsa_exception_fp_ieee_div_zero 0
		.amdhsa_exception_fp_ieee_overflow 0
		.amdhsa_exception_fp_ieee_underflow 0
		.amdhsa_exception_fp_ieee_inexact 0
		.amdhsa_exception_int_div_zero 0
	.end_amdhsa_kernel
	.section	.text._ZN9rocsparseL18bsrxmvn_4x4_kernelILj128ELj8EiiiaaiEEvT3_20rocsparse_direction_NS_24const_host_device_scalarIT1_EES1_PKS1_PKT2_SA_S7_PKT4_PKT5_S5_PT6_21rocsparse_index_base_b,"axG",@progbits,_ZN9rocsparseL18bsrxmvn_4x4_kernelILj128ELj8EiiiaaiEEvT3_20rocsparse_direction_NS_24const_host_device_scalarIT1_EES1_PKS1_PKT2_SA_S7_PKT4_PKT5_S5_PT6_21rocsparse_index_base_b,comdat
.Lfunc_end61:
	.size	_ZN9rocsparseL18bsrxmvn_4x4_kernelILj128ELj8EiiiaaiEEvT3_20rocsparse_direction_NS_24const_host_device_scalarIT1_EES1_PKS1_PKT2_SA_S7_PKT4_PKT5_S5_PT6_21rocsparse_index_base_b, .Lfunc_end61-_ZN9rocsparseL18bsrxmvn_4x4_kernelILj128ELj8EiiiaaiEEvT3_20rocsparse_direction_NS_24const_host_device_scalarIT1_EES1_PKS1_PKT2_SA_S7_PKT4_PKT5_S5_PT6_21rocsparse_index_base_b
                                        ; -- End function
	.set _ZN9rocsparseL18bsrxmvn_4x4_kernelILj128ELj8EiiiaaiEEvT3_20rocsparse_direction_NS_24const_host_device_scalarIT1_EES1_PKS1_PKT2_SA_S7_PKT4_PKT5_S5_PT6_21rocsparse_index_base_b.num_vgpr, 48
	.set _ZN9rocsparseL18bsrxmvn_4x4_kernelILj128ELj8EiiiaaiEEvT3_20rocsparse_direction_NS_24const_host_device_scalarIT1_EES1_PKS1_PKT2_SA_S7_PKT4_PKT5_S5_PT6_21rocsparse_index_base_b.num_agpr, 0
	.set _ZN9rocsparseL18bsrxmvn_4x4_kernelILj128ELj8EiiiaaiEEvT3_20rocsparse_direction_NS_24const_host_device_scalarIT1_EES1_PKS1_PKT2_SA_S7_PKT4_PKT5_S5_PT6_21rocsparse_index_base_b.numbered_sgpr, 16
	.set _ZN9rocsparseL18bsrxmvn_4x4_kernelILj128ELj8EiiiaaiEEvT3_20rocsparse_direction_NS_24const_host_device_scalarIT1_EES1_PKS1_PKT2_SA_S7_PKT4_PKT5_S5_PT6_21rocsparse_index_base_b.num_named_barrier, 0
	.set _ZN9rocsparseL18bsrxmvn_4x4_kernelILj128ELj8EiiiaaiEEvT3_20rocsparse_direction_NS_24const_host_device_scalarIT1_EES1_PKS1_PKT2_SA_S7_PKT4_PKT5_S5_PT6_21rocsparse_index_base_b.private_seg_size, 0
	.set _ZN9rocsparseL18bsrxmvn_4x4_kernelILj128ELj8EiiiaaiEEvT3_20rocsparse_direction_NS_24const_host_device_scalarIT1_EES1_PKS1_PKT2_SA_S7_PKT4_PKT5_S5_PT6_21rocsparse_index_base_b.uses_vcc, 1
	.set _ZN9rocsparseL18bsrxmvn_4x4_kernelILj128ELj8EiiiaaiEEvT3_20rocsparse_direction_NS_24const_host_device_scalarIT1_EES1_PKS1_PKT2_SA_S7_PKT4_PKT5_S5_PT6_21rocsparse_index_base_b.uses_flat_scratch, 0
	.set _ZN9rocsparseL18bsrxmvn_4x4_kernelILj128ELj8EiiiaaiEEvT3_20rocsparse_direction_NS_24const_host_device_scalarIT1_EES1_PKS1_PKT2_SA_S7_PKT4_PKT5_S5_PT6_21rocsparse_index_base_b.has_dyn_sized_stack, 0
	.set _ZN9rocsparseL18bsrxmvn_4x4_kernelILj128ELj8EiiiaaiEEvT3_20rocsparse_direction_NS_24const_host_device_scalarIT1_EES1_PKS1_PKT2_SA_S7_PKT4_PKT5_S5_PT6_21rocsparse_index_base_b.has_recursion, 0
	.set _ZN9rocsparseL18bsrxmvn_4x4_kernelILj128ELj8EiiiaaiEEvT3_20rocsparse_direction_NS_24const_host_device_scalarIT1_EES1_PKS1_PKT2_SA_S7_PKT4_PKT5_S5_PT6_21rocsparse_index_base_b.has_indirect_call, 0
	.section	.AMDGPU.csdata,"",@progbits
; Kernel info:
; codeLenInByte = 3620
; TotalNumSgprs: 18
; NumVgprs: 48
; ScratchSize: 0
; MemoryBound: 0
; FloatMode: 240
; IeeeMode: 1
; LDSByteSize: 0 bytes/workgroup (compile time only)
; SGPRBlocks: 0
; VGPRBlocks: 5
; NumSGPRsForWavesPerEU: 18
; NumVGPRsForWavesPerEU: 48
; Occupancy: 16
; WaveLimiterHint : 1
; COMPUTE_PGM_RSRC2:SCRATCH_EN: 0
; COMPUTE_PGM_RSRC2:USER_SGPR: 2
; COMPUTE_PGM_RSRC2:TRAP_HANDLER: 0
; COMPUTE_PGM_RSRC2:TGID_X_EN: 1
; COMPUTE_PGM_RSRC2:TGID_Y_EN: 0
; COMPUTE_PGM_RSRC2:TGID_Z_EN: 0
; COMPUTE_PGM_RSRC2:TIDIG_COMP_CNT: 0
	.section	.text._ZN9rocsparseL18bsrxmvn_4x4_kernelILj128ELj16EiiiaaiEEvT3_20rocsparse_direction_NS_24const_host_device_scalarIT1_EES1_PKS1_PKT2_SA_S7_PKT4_PKT5_S5_PT6_21rocsparse_index_base_b,"axG",@progbits,_ZN9rocsparseL18bsrxmvn_4x4_kernelILj128ELj16EiiiaaiEEvT3_20rocsparse_direction_NS_24const_host_device_scalarIT1_EES1_PKS1_PKT2_SA_S7_PKT4_PKT5_S5_PT6_21rocsparse_index_base_b,comdat
	.globl	_ZN9rocsparseL18bsrxmvn_4x4_kernelILj128ELj16EiiiaaiEEvT3_20rocsparse_direction_NS_24const_host_device_scalarIT1_EES1_PKS1_PKT2_SA_S7_PKT4_PKT5_S5_PT6_21rocsparse_index_base_b ; -- Begin function _ZN9rocsparseL18bsrxmvn_4x4_kernelILj128ELj16EiiiaaiEEvT3_20rocsparse_direction_NS_24const_host_device_scalarIT1_EES1_PKS1_PKT2_SA_S7_PKT4_PKT5_S5_PT6_21rocsparse_index_base_b
	.p2align	8
	.type	_ZN9rocsparseL18bsrxmvn_4x4_kernelILj128ELj16EiiiaaiEEvT3_20rocsparse_direction_NS_24const_host_device_scalarIT1_EES1_PKS1_PKT2_SA_S7_PKT4_PKT5_S5_PT6_21rocsparse_index_base_b,@function
_ZN9rocsparseL18bsrxmvn_4x4_kernelILj128ELj16EiiiaaiEEvT3_20rocsparse_direction_NS_24const_host_device_scalarIT1_EES1_PKS1_PKT2_SA_S7_PKT4_PKT5_S5_PT6_21rocsparse_index_base_b: ; @_ZN9rocsparseL18bsrxmvn_4x4_kernelILj128ELj16EiiiaaiEEvT3_20rocsparse_direction_NS_24const_host_device_scalarIT1_EES1_PKS1_PKT2_SA_S7_PKT4_PKT5_S5_PT6_21rocsparse_index_base_b
; %bb.0:
	s_clause 0x1
	s_load_b64 s[12:13], s[0:1], 0x58
	s_load_b64 s[4:5], s[0:1], 0x8
	s_mov_b32 s7, -1
	s_wait_kmcnt 0x0
	s_bitcmp1_b32 s13, 0
                                        ; implicit-def: $sgpr13
	s_cselect_b32 s2, -1, 0
	s_delay_alu instid0(SALU_CYCLE_1) | instskip(NEXT) | instid1(SALU_CYCLE_1)
	s_xor_b32 s6, s2, -1
	s_and_b32 vcc_lo, exec_lo, s6
	s_cbranch_vccnz .LBB62_4
; %bb.1:
	s_load_b64 s[2:3], s[0:1], 0x48
	s_and_not1_b32 vcc_lo, exec_lo, s7
	s_cbranch_vccz .LBB62_5
.LBB62_2:
	s_and_b32 vcc_lo, exec_lo, s6
	s_cbranch_vccz .LBB62_6
.LBB62_3:
	s_wait_kmcnt 0x0
	s_load_b32 s14, s[2:3], 0x0
	s_cbranch_execz .LBB62_7
	s_branch .LBB62_8
.LBB62_4:
	s_load_b32 s13, s[4:5], 0x0
	s_load_b64 s[2:3], s[0:1], 0x48
	s_cbranch_execnz .LBB62_2
.LBB62_5:
	s_wait_kmcnt 0x0
	s_mov_b32 s13, s4
	s_and_b32 vcc_lo, exec_lo, s6
	s_cbranch_vccnz .LBB62_3
.LBB62_6:
	s_wait_kmcnt 0x0
                                        ; implicit-def: $sgpr14
.LBB62_7:
	s_wait_kmcnt 0x0
	s_mov_b32 s14, s2
.LBB62_8:
	s_cmp_lg_u32 s13, 0
	s_mov_b32 s6, 0
	s_cselect_b32 s2, -1, 0
	s_wait_kmcnt 0x0
	s_cmp_lg_u32 s14, 1
	s_cselect_b32 s3, -1, 0
	s_delay_alu instid0(SALU_CYCLE_1) | instskip(NEXT) | instid1(SALU_CYCLE_1)
	s_or_b32 s2, s2, s3
	s_and_not1_b32 vcc_lo, exec_lo, s2
	s_cbranch_vccnz .LBB62_14
; %bb.9:
	s_clause 0x1
	s_load_b64 s[4:5], s[0:1], 0x18
	s_load_b64 s[2:3], s[0:1], 0x0
	v_lshrrev_b32_e32 v1, 4, v0
	s_delay_alu instid0(VALU_DEP_1)
	v_lshl_or_b32 v3, ttmp9, 3, v1
	s_wait_kmcnt 0x0
	s_cmp_lg_u64 s[4:5], 0
	s_cbranch_scc0 .LBB62_15
; %bb.10:
	s_load_b32 s6, s[0:1], 0x10
	s_mov_b32 s7, 0
                                        ; implicit-def: $vgpr1
	s_wait_kmcnt 0x0
	v_cmp_gt_i32_e32 vcc_lo, s6, v3
	s_mov_b32 s6, 0
	s_and_saveexec_b32 s8, vcc_lo
	s_delay_alu instid0(SALU_CYCLE_1)
	s_xor_b32 s8, exec_lo, s8
	s_cbranch_execz .LBB62_12
; %bb.11:
	v_ashrrev_i32_e32 v4, 31, v3
	s_mov_b32 s6, exec_lo
	s_delay_alu instid0(VALU_DEP_1) | instskip(NEXT) | instid1(VALU_DEP_1)
	v_lshlrev_b64_e32 v[1:2], 2, v[3:4]
	v_add_co_u32 v1, vcc_lo, s4, v1
	s_delay_alu instid0(VALU_DEP_1)
	v_add_co_ci_u32_e64 v2, null, s5, v2, vcc_lo
	global_load_b32 v1, v[1:2], off
	s_wait_loadcnt 0x0
	v_subrev_nc_u32_e32 v1, s12, v1
.LBB62_12:
	s_or_b32 exec_lo, exec_lo, s8
	s_delay_alu instid0(SALU_CYCLE_1)
	s_and_b32 vcc_lo, exec_lo, s7
	s_wait_alu 0xfffe
	s_cbranch_vccz .LBB62_16
.LBB62_13:
	v_cmp_gt_i32_e32 vcc_lo, s2, v3
	s_and_not1_b32 s2, s6, exec_lo
	s_and_b32 s4, vcc_lo, exec_lo
	s_wait_alu 0xfffe
	s_or_b32 s6, s2, s4
	s_wait_alu 0xfffe
	s_and_saveexec_b32 s2, s6
	s_cbranch_execnz .LBB62_17
.LBB62_14:
	s_endpgm
.LBB62_15:
                                        ; implicit-def: $vgpr1
	s_cbranch_execnz .LBB62_13
.LBB62_16:
	v_mov_b32_e32 v3, v1
	s_and_saveexec_b32 s2, s6
	s_cbranch_execz .LBB62_14
.LBB62_17:
	s_load_b256 s[4:11], s[0:1], 0x20
	s_delay_alu instid0(VALU_DEP_1) | instskip(SKIP_1) | instid1(VALU_DEP_2)
	v_ashrrev_i32_e32 v4, 31, v3
	v_and_b32_e32 v8, 15, v0
	v_lshlrev_b64_e32 v[1:2], 2, v[3:4]
	s_wait_kmcnt 0x0
	s_delay_alu instid0(VALU_DEP_1) | instskip(SKIP_1) | instid1(VALU_DEP_2)
	v_add_co_u32 v4, vcc_lo, s4, v1
	s_wait_alu 0xfffd
	v_add_co_ci_u32_e64 v5, null, s5, v2, vcc_lo
	v_add_co_u32 v1, vcc_lo, s6, v1
	s_wait_alu 0xfffd
	v_add_co_ci_u32_e64 v2, null, s7, v2, vcc_lo
	global_load_b32 v14, v[4:5], off
	v_add_co_u32 v4, vcc_lo, v4, 4
	s_wait_alu 0xfffd
	v_add_co_ci_u32_e64 v5, null, 0, v5, vcc_lo
	s_cmp_eq_u64 s[6:7], 0
	s_load_b64 s[6:7], s[0:1], 0x40
	s_cselect_b32 vcc_lo, -1, 0
	s_cmp_eq_u32 s3, 1
	s_wait_alu 0xfffe
	v_dual_cndmask_b32 v2, v2, v5 :: v_dual_cndmask_b32 v1, v1, v4
	global_load_b32 v4, v[1:2], off
	s_wait_loadcnt 0x1
	v_subrev_nc_u32_e32 v0, s12, v14
	s_delay_alu instid0(VALU_DEP_1) | instskip(NEXT) | instid1(VALU_DEP_1)
	v_add_nc_u32_e32 v0, v0, v8
	v_ashrrev_i32_e32 v1, 31, v0
	s_wait_loadcnt 0x0
	v_subrev_nc_u32_e32 v10, s12, v4
	s_delay_alu instid0(VALU_DEP_2) | instskip(NEXT) | instid1(VALU_DEP_2)
	v_lshlrev_b64_e32 v[1:2], 4, v[0:1]
	v_cmp_lt_i32_e64 s2, v0, v10
	s_delay_alu instid0(VALU_DEP_2) | instskip(SKIP_1) | instid1(VALU_DEP_3)
	v_add_co_u32 v4, vcc_lo, s10, v1
	s_wait_alu 0xfffd
	v_add_co_ci_u32_e64 v5, null, s11, v2, vcc_lo
	s_cbranch_scc1 .LBB62_29
; %bb.18:
	v_dual_mov_b32 v12, 0 :: v_dual_mov_b32 v13, 0
	v_mov_b32_e32 v11, 0
	v_mov_b32_e32 v9, 0
	s_and_saveexec_b32 s10, s2
	s_cbranch_execz .LBB62_28
; %bb.19:
	v_mov_b32_e32 v9, 0
	v_add_nc_u32_e32 v1, v14, v8
	v_mov_b32_e32 v7, v5
	v_not_b32_e32 v2, v14
	s_mov_b32 s4, 0
	v_mov_b32_e32 v12, v9
	v_subrev_nc_u32_e32 v1, s12, v1
	s_mov_b32 s3, exec_lo
	s_delay_alu instid0(VALU_DEP_1) | instskip(NEXT) | instid1(VALU_DEP_1)
	v_dual_mov_b32 v6, v4 :: v_dual_add_nc_u32 v1, 16, v1
	v_max_i32_e32 v1, v1, v10
	s_delay_alu instid0(VALU_DEP_1) | instskip(NEXT) | instid1(VALU_DEP_1)
	v_add3_u32 v1, s12, v1, v2
	v_sub_nc_u32_e32 v15, v1, v8
	s_delay_alu instid0(VALU_DEP_1) | instskip(SKIP_2) | instid1(VALU_DEP_3)
	v_dual_mov_b32 v1, v0 :: v_dual_and_b32 v2, 48, v15
	v_mov_b32_e32 v11, v9
	v_mov_b32_e32 v13, v9
	v_cmpx_ne_u32_e32 48, v2
	s_cbranch_execz .LBB62_23
; %bb.20:
	v_lshrrev_b32_e32 v1, 4, v15
	v_mov_b32_e32 v7, v5
	v_mov_b32_e32 v11, 0
	v_dual_mov_b32 v13, 0 :: v_dual_mov_b32 v12, 0
	s_delay_alu instid0(VALU_DEP_4) | instskip(NEXT) | instid1(VALU_DEP_1)
	v_dual_mov_b32 v6, v4 :: v_dual_add_nc_u32 v1, 1, v1
	v_and_b32_e32 v1, 3, v1
	s_delay_alu instid0(VALU_DEP_1)
	v_sub_nc_u32_e32 v16, 0, v1
	v_mov_b32_e32 v1, v0
.LBB62_21:                              ; =>This Inner Loop Header: Depth=1
	s_delay_alu instid0(VALU_DEP_1) | instskip(NEXT) | instid1(VALU_DEP_3)
	v_ashrrev_i32_e32 v2, 31, v1
	v_add_co_u32 v16, s5, v16, 1
	s_wait_alu 0xfffe
	s_or_b32 s4, s5, s4
	s_delay_alu instid0(VALU_DEP_2) | instskip(SKIP_1) | instid1(VALU_DEP_2)
	v_lshlrev_b64_e32 v[17:18], 2, v[1:2]
	v_add_nc_u32_e32 v1, 16, v1
	v_add_co_u32 v17, vcc_lo, s8, v17
	s_wait_alu 0xfffd
	s_delay_alu instid0(VALU_DEP_3) | instskip(SKIP_3) | instid1(VALU_DEP_1)
	v_add_co_ci_u32_e64 v18, null, s9, v18, vcc_lo
	global_load_b32 v2, v[17:18], off
	s_wait_loadcnt 0x0
	v_subrev_nc_u32_e32 v2, s12, v2
	v_lshlrev_b32_e32 v2, 2, v2
	s_delay_alu instid0(VALU_DEP_1) | instskip(SKIP_3) | instid1(VALU_DEP_2)
	v_ashrrev_i32_e32 v17, 31, v2
	s_wait_kmcnt 0x0
	v_add_co_u32 v21, vcc_lo, s6, v2
	s_wait_alu 0xfffd
	v_add_co_ci_u32_e64 v22, null, s7, v17, vcc_lo
	global_load_b128 v[17:20], v[6:7], off
	global_load_b32 v2, v[21:22], off
	v_add_co_u32 v6, vcc_lo, 0x100, v6
	s_wait_alu 0xfffd
	v_add_co_ci_u32_e64 v7, null, 0, v7, vcc_lo
	s_wait_loadcnt 0x0
	v_dot4_i32_iu8 v12, v2, v20, v12 neg_lo:[1,1,0]
	v_dot4_i32_iu8 v13, v2, v19, v13 neg_lo:[1,1,0]
	;; [unrolled: 1-line block ×4, first 2 shown]
	s_wait_alu 0xfffe
	s_and_not1_b32 exec_lo, exec_lo, s4
	s_cbranch_execnz .LBB62_21
; %bb.22:
	s_or_b32 exec_lo, exec_lo, s4
.LBB62_23:
	s_wait_alu 0xfffe
	s_or_b32 exec_lo, exec_lo, s3
	s_delay_alu instid0(SALU_CYCLE_1)
	s_mov_b32 s11, exec_lo
	v_cmpx_lt_u32_e32 47, v15
	s_cbranch_execz .LBB62_27
; %bb.24:
	s_mov_b32 s15, 0
.LBB62_25:                              ; =>This Inner Loop Header: Depth=1
	v_ashrrev_i32_e32 v2, 31, v1
	s_delay_alu instid0(VALU_DEP_1) | instskip(SKIP_1) | instid1(VALU_DEP_2)
	v_lshlrev_b64_e32 v[15:16], 2, v[1:2]
	v_add_nc_u32_e32 v1, 64, v1
	v_add_co_u32 v15, vcc_lo, s8, v15
	s_wait_alu 0xfffd
	s_delay_alu instid0(VALU_DEP_3)
	v_add_co_ci_u32_e64 v16, null, s9, v16, vcc_lo
	s_clause 0x3
	global_load_b32 v2, v[15:16], off
	global_load_b32 v27, v[15:16], off offset:64
	global_load_b32 v28, v[15:16], off offset:128
	;; [unrolled: 1-line block ×3, first 2 shown]
	s_clause 0x2
	global_load_b128 v[15:18], v[6:7], off
	global_load_b128 v[19:22], v[6:7], off offset:256
	global_load_b128 v[23:26], v[6:7], off offset:512
	s_wait_loadcnt 0x6
	v_subrev_nc_u32_e32 v2, s12, v2
	s_wait_loadcnt 0x5
	v_subrev_nc_u32_e32 v27, s12, v27
	s_wait_loadcnt 0x4
	v_subrev_nc_u32_e32 v28, s12, v28
	s_wait_loadcnt 0x3
	v_subrev_nc_u32_e32 v29, s12, v29
	v_lshlrev_b32_e32 v2, 2, v2
	v_lshlrev_b32_e32 v27, 2, v27
	;; [unrolled: 1-line block ×3, first 2 shown]
	s_delay_alu instid0(VALU_DEP_4) | instskip(NEXT) | instid1(VALU_DEP_4)
	v_lshlrev_b32_e32 v30, 2, v29
	v_ashrrev_i32_e32 v33, 31, v2
	s_wait_kmcnt 0x0
	v_add_co_u32 v32, s5, s6, v2
	v_ashrrev_i32_e32 v34, 31, v27
	v_add_co_u32 v27, vcc_lo, s6, v27
	s_wait_alu 0xf1ff
	v_add_co_ci_u32_e64 v33, null, s7, v33, s5
	v_ashrrev_i32_e32 v35, 31, v28
	v_add_co_u32 v29, s3, s6, v28
	s_wait_alu 0xfffd
	v_add_co_ci_u32_e64 v28, null, s7, v34, vcc_lo
	global_load_b32 v2, v[32:33], off
	v_ashrrev_i32_e32 v36, 31, v30
	v_add_co_u32 v31, s4, s6, v30
	global_load_b32 v33, v[27:28], off
	s_wait_alu 0xf1ff
	v_add_co_ci_u32_e64 v30, null, s7, v35, s3
	v_add_co_ci_u32_e64 v32, null, s7, v36, s4
	global_load_b32 v34, v[29:30], off
	global_load_b128 v[27:30], v[6:7], off offset:768
	global_load_b32 v31, v[31:32], off
	v_add_co_u32 v6, vcc_lo, 0x400, v6
	s_wait_alu 0xfffd
	v_add_co_ci_u32_e64 v7, null, 0, v7, vcc_lo
	v_cmp_ge_i32_e32 vcc_lo, v1, v10
	s_or_b32 s15, vcc_lo, s15
	s_wait_loadcnt 0x4
	v_dot4_i32_iu8 v9, v2, v15, v9 neg_lo:[1,1,0]
	v_dot4_i32_iu8 v12, v2, v18, v12 neg_lo:[1,1,0]
	v_dot4_i32_iu8 v13, v2, v17, v13 neg_lo:[1,1,0]
	v_dot4_i32_iu8 v2, v2, v16, v11 neg_lo:[1,1,0]
	s_wait_loadcnt 0x3
	v_dot4_i32_iu8 v9, v33, v19, v9 neg_lo:[1,1,0]
	v_dot4_i32_iu8 v11, v33, v22, v12 neg_lo:[1,1,0]
	v_dot4_i32_iu8 v12, v33, v21, v13 neg_lo:[1,1,0]
	v_dot4_i32_iu8 v2, v33, v20, v2 neg_lo:[1,1,0]
	;; [unrolled: 5-line block ×4, first 2 shown]
	s_and_not1_b32 exec_lo, exec_lo, s15
	s_cbranch_execnz .LBB62_25
; %bb.26:
	s_or_b32 exec_lo, exec_lo, s15
.LBB62_27:
	s_wait_alu 0xfffe
	s_or_b32 exec_lo, exec_lo, s11
.LBB62_28:
	s_wait_alu 0xfffe
	s_or_b32 exec_lo, exec_lo, s10
	s_cbranch_execz .LBB62_30
	s_branch .LBB62_41
.LBB62_29:
                                        ; implicit-def: $vgpr12
                                        ; implicit-def: $vgpr9
                                        ; implicit-def: $vgpr11
                                        ; implicit-def: $vgpr13
.LBB62_30:
	v_dual_mov_b32 v12, 0 :: v_dual_mov_b32 v13, 0
	v_mov_b32_e32 v11, 0
	v_mov_b32_e32 v9, 0
	s_and_saveexec_b32 s5, s2
	s_cbranch_execz .LBB62_40
; %bb.31:
	v_mov_b32_e32 v9, 0
	v_add_nc_u32_e32 v1, v14, v8
	v_not_b32_e32 v2, v14
	s_mov_b32 s3, 0
	s_mov_b32 s2, exec_lo
	v_mov_b32_e32 v12, v9
	v_subrev_nc_u32_e32 v1, s12, v1
	v_mov_b32_e32 v11, v9
	v_mov_b32_e32 v13, v9
	s_delay_alu instid0(VALU_DEP_3) | instskip(NEXT) | instid1(VALU_DEP_1)
	v_add_nc_u32_e32 v1, 16, v1
	v_max_i32_e32 v1, v1, v10
	s_delay_alu instid0(VALU_DEP_1) | instskip(NEXT) | instid1(VALU_DEP_1)
	v_add3_u32 v1, s12, v1, v2
	v_sub_nc_u32_e32 v2, v1, v8
	s_delay_alu instid0(VALU_DEP_1) | instskip(NEXT) | instid1(VALU_DEP_1)
	v_and_b32_e32 v1, 48, v2
	v_cmpx_ne_u32_e32 48, v1
	s_cbranch_execz .LBB62_35
; %bb.32:
	v_lshrrev_b32_e32 v1, 4, v2
	v_mov_b32_e32 v11, 0
	v_dual_mov_b32 v13, 0 :: v_dual_mov_b32 v12, 0
	s_delay_alu instid0(VALU_DEP_3) | instskip(NEXT) | instid1(VALU_DEP_1)
	v_add_nc_u32_e32 v1, 1, v1
	v_and_b32_e32 v1, 3, v1
	s_delay_alu instid0(VALU_DEP_1)
	v_sub_nc_u32_e32 v6, 0, v1
.LBB62_33:                              ; =>This Inner Loop Header: Depth=1
	v_ashrrev_i32_e32 v1, 31, v0
	s_delay_alu instid0(VALU_DEP_2) | instskip(SKIP_2) | instid1(VALU_DEP_2)
	v_add_co_u32 v6, s4, v6, 1
	s_wait_alu 0xfffe
	s_or_b32 s3, s4, s3
	v_lshlrev_b64_e32 v[14:15], 2, v[0:1]
	v_add_nc_u32_e32 v0, 16, v0
	s_delay_alu instid0(VALU_DEP_2) | instskip(SKIP_1) | instid1(VALU_DEP_3)
	v_add_co_u32 v14, vcc_lo, s8, v14
	s_wait_alu 0xfffd
	v_add_co_ci_u32_e64 v15, null, s9, v15, vcc_lo
	global_load_b32 v1, v[14:15], off
	global_load_b128 v[14:17], v[4:5], off
	s_wait_loadcnt 0x1
	v_subrev_nc_u32_e32 v1, s12, v1
	s_wait_loadcnt 0x0
	v_perm_b32 v20, v17, v16, 0x6020c0c
	v_perm_b32 v21, v15, v14, 0xc0c0501
	;; [unrolled: 1-line block ×3, first 2 shown]
	v_lshlrev_b32_e32 v1, 2, v1
	s_delay_alu instid0(VALU_DEP_1) | instskip(SKIP_3) | instid1(VALU_DEP_2)
	v_ashrrev_i32_e32 v7, 31, v1
	s_wait_kmcnt 0x0
	v_add_co_u32 v18, vcc_lo, s6, v1
	s_wait_alu 0xfffd
	v_add_co_ci_u32_e64 v19, null, s7, v7, vcc_lo
	v_perm_b32 v7, v15, v14, 0xc0c0703
	v_add_co_u32 v4, vcc_lo, 0x100, v4
	global_load_b32 v1, v[18:19], off
	v_perm_b32 v18, v17, v16, 0x7030c0c
	v_perm_b32 v19, v15, v14, 0xc0c0602
	;; [unrolled: 1-line block ×4, first 2 shown]
	v_or_b32_e32 v17, v22, v21
	v_or_b32_e32 v7, v18, v7
	v_or_b32_e32 v16, v20, v19
	s_wait_alu 0xfffd
	v_add_co_ci_u32_e64 v5, null, 0, v5, vcc_lo
	v_or_b32_e32 v14, v15, v14
	s_wait_loadcnt 0x0
	v_dot4_i32_iu8 v12, v1, v7, v12 neg_lo:[1,1,0]
	v_dot4_i32_iu8 v13, v1, v16, v13 neg_lo:[1,1,0]
	;; [unrolled: 1-line block ×4, first 2 shown]
	s_wait_alu 0xfffe
	s_and_not1_b32 exec_lo, exec_lo, s3
	s_cbranch_execnz .LBB62_33
; %bb.34:
	s_or_b32 exec_lo, exec_lo, s3
.LBB62_35:
	s_wait_alu 0xfffe
	s_or_b32 exec_lo, exec_lo, s2
	s_delay_alu instid0(SALU_CYCLE_1)
	s_mov_b32 s10, exec_lo
	v_cmpx_lt_u32_e32 47, v2
	s_cbranch_execz .LBB62_39
; %bb.36:
	s_mov_b32 s11, 0
.LBB62_37:                              ; =>This Inner Loop Header: Depth=1
	v_ashrrev_i32_e32 v1, 31, v0
	s_delay_alu instid0(VALU_DEP_1) | instskip(SKIP_1) | instid1(VALU_DEP_2)
	v_lshlrev_b64_e32 v[1:2], 2, v[0:1]
	v_add_nc_u32_e32 v0, 64, v0
	v_add_co_u32 v1, vcc_lo, s8, v1
	s_wait_alu 0xfffd
	s_delay_alu instid0(VALU_DEP_3)
	v_add_co_ci_u32_e64 v2, null, s9, v2, vcc_lo
	s_clause 0x3
	global_load_b32 v6, v[1:2], off
	global_load_b32 v7, v[1:2], off offset:64
	global_load_b32 v30, v[1:2], off offset:128
	;; [unrolled: 1-line block ×3, first 2 shown]
	s_clause 0x3
	global_load_b128 v[14:17], v[4:5], off
	global_load_b128 v[18:21], v[4:5], off offset:256
	global_load_b128 v[22:25], v[4:5], off offset:512
	;; [unrolled: 1-line block ×3, first 2 shown]
	s_wait_loadcnt 0x7
	v_subrev_nc_u32_e32 v2, s12, v6
	s_wait_loadcnt 0x6
	v_subrev_nc_u32_e32 v6, s12, v7
	;; [unrolled: 2-line block ×4, first 2 shown]
	v_lshlrev_b32_e32 v2, 2, v2
	v_lshlrev_b32_e32 v6, 2, v6
	;; [unrolled: 1-line block ×3, first 2 shown]
	s_delay_alu instid0(VALU_DEP_4)
	v_lshlrev_b32_e32 v30, 2, v1
	s_wait_loadcnt 0x2
	v_perm_b32 v36, v19, v18, 0xc0c0602
	v_ashrrev_i32_e32 v32, 31, v2
	s_wait_kmcnt 0x0
	v_add_co_u32 v31, s4, s6, v2
	v_ashrrev_i32_e32 v33, 31, v6
	v_add_co_u32 v1, vcc_lo, s6, v6
	s_wait_alu 0xf1ff
	v_add_co_ci_u32_e64 v32, null, s7, v32, s4
	s_wait_alu 0xfffd
	v_add_co_ci_u32_e64 v2, null, s7, v33, vcc_lo
	v_ashrrev_i32_e32 v34, 31, v7
	global_load_b32 v32, v[31:32], off
	v_ashrrev_i32_e32 v35, 31, v30
	v_add_co_u32 v6, s2, s6, v7
	v_add_co_u32 v30, s3, s6, v30
	global_load_b32 v1, v[1:2], off
	s_wait_alu 0xf1ff
	v_add_co_ci_u32_e64 v7, null, s7, v34, s2
	v_add_co_ci_u32_e64 v31, null, s7, v35, s3
	s_clause 0x1
	global_load_b32 v2, v[6:7], off
	global_load_b32 v6, v[30:31], off
	v_perm_b32 v7, v15, v14, 0xc0c0400
	v_perm_b32 v30, v17, v16, 0x4000c0c
	;; [unrolled: 1-line block ×15, first 2 shown]
	s_wait_loadcnt 0x5
	v_perm_b32 v20, v23, v22, 0xc0c0400
	v_perm_b32 v21, v25, v24, 0x4000c0c
	;; [unrolled: 1-line block ×8, first 2 shown]
	s_wait_loadcnt 0x4
	v_perm_b32 v24, v27, v26, 0xc0c0703
	v_perm_b32 v25, v29, v28, 0x7030c0c
	;; [unrolled: 1-line block ×8, first 2 shown]
	v_or_b32_e32 v7, v30, v7
	v_or_b32_e32 v28, v33, v31
	;; [unrolled: 1-line block ×14, first 2 shown]
	v_add_co_u32 v4, vcc_lo, 0x400, v4
	s_wait_alu 0xfffd
	v_add_co_ci_u32_e64 v5, null, 0, v5, vcc_lo
	v_cmp_ge_i32_e32 vcc_lo, v0, v10
	s_wait_alu 0xfffe
	s_or_b32 s11, vcc_lo, s11
	s_wait_loadcnt 0x3
	v_dot4_i32_iu8 v12, v32, v14, v12 neg_lo:[1,1,0]
	v_dot4_i32_iu8 v13, v32, v29, v13 neg_lo:[1,1,0]
	;; [unrolled: 1-line block ×4, first 2 shown]
	v_or_b32_e32 v9, v47, v46
	s_wait_loadcnt 0x2
	v_dot4_i32_iu8 v12, v1, v15, v12 neg_lo:[1,1,0]
	v_dot4_i32_iu8 v13, v1, v16, v13 neg_lo:[1,1,0]
	;; [unrolled: 1-line block ×4, first 2 shown]
	v_or_b32_e32 v7, v27, v26
	s_wait_loadcnt 0x1
	v_dot4_i32_iu8 v12, v2, v22, v12 neg_lo:[1,1,0]
	v_dot4_i32_iu8 v13, v2, v21, v13 neg_lo:[1,1,0]
	;; [unrolled: 1-line block ×4, first 2 shown]
	s_wait_loadcnt 0x0
	v_dot4_i32_iu8 v12, v6, v23, v12 neg_lo:[1,1,0]
	v_dot4_i32_iu8 v13, v6, v24, v13 neg_lo:[1,1,0]
	;; [unrolled: 1-line block ×4, first 2 shown]
	s_wait_alu 0xfffe
	s_and_not1_b32 exec_lo, exec_lo, s11
	s_cbranch_execnz .LBB62_37
; %bb.38:
	s_or_b32 exec_lo, exec_lo, s11
.LBB62_39:
	s_wait_alu 0xfffe
	s_or_b32 exec_lo, exec_lo, s10
.LBB62_40:
	s_wait_alu 0xfffe
	s_or_b32 exec_lo, exec_lo, s5
.LBB62_41:
	v_mbcnt_lo_u32_b32 v0, -1, 0
	s_mov_b32 s2, -1
	s_delay_alu instid0(VALU_DEP_1) | instskip(SKIP_1) | instid1(VALU_DEP_2)
	v_xor_b32_e32 v1, 8, v0
	v_xor_b32_e32 v6, 4, v0
	v_cmp_gt_i32_e32 vcc_lo, 32, v1
	s_wait_alu 0xfffd
	v_cndmask_b32_e32 v1, v0, v1, vcc_lo
	s_delay_alu instid0(VALU_DEP_3) | instskip(SKIP_2) | instid1(VALU_DEP_1)
	v_cmp_gt_i32_e32 vcc_lo, 32, v6
	s_wait_alu 0xfffd
	v_cndmask_b32_e32 v6, v0, v6, vcc_lo
	v_lshlrev_b32_e32 v6, 2, v6
	v_lshlrev_b32_e32 v1, 2, v1
	ds_bpermute_b32 v4, v1, v11
	ds_bpermute_b32 v2, v1, v9
	;; [unrolled: 1-line block ×4, first 2 shown]
	s_wait_dscnt 0x3
	v_add_nc_u32_e32 v4, v4, v11
	v_xor_b32_e32 v11, 2, v0
	s_wait_dscnt 0x1
	v_add_nc_u32_e32 v5, v5, v13
	s_wait_dscnt 0x0
	v_add_nc_u32_e32 v1, v1, v12
	v_cmp_gt_i32_e32 vcc_lo, 32, v11
	v_add_nc_u32_e32 v2, v2, v9
	ds_bpermute_b32 v9, v6, v4
	ds_bpermute_b32 v10, v6, v5
	s_wait_alu 0xfffd
	v_cndmask_b32_e32 v11, v0, v11, vcc_lo
	ds_bpermute_b32 v7, v6, v2
	ds_bpermute_b32 v6, v6, v1
	v_lshlrev_b32_e32 v11, 2, v11
	s_wait_dscnt 0x3
	v_add_nc_u32_e32 v4, v9, v4
	s_wait_dscnt 0x2
	v_add_nc_u32_e32 v5, v10, v5
	s_wait_dscnt 0x1
	v_add_nc_u32_e32 v2, v7, v2
	s_wait_dscnt 0x0
	v_add_nc_u32_e32 v6, v6, v1
	ds_bpermute_b32 v7, v11, v4
	ds_bpermute_b32 v9, v11, v5
	;; [unrolled: 1-line block ×4, first 2 shown]
	v_xor_b32_e32 v11, 1, v0
	s_delay_alu instid0(VALU_DEP_1) | instskip(SKIP_3) | instid1(VALU_DEP_2)
	v_cmp_gt_i32_e32 vcc_lo, 32, v11
	s_wait_alu 0xfffd
	v_cndmask_b32_e32 v0, v0, v11, vcc_lo
	v_cmp_eq_u32_e32 vcc_lo, 15, v8
	v_lshlrev_b32_e32 v11, 2, v0
	s_wait_dscnt 0x1
	v_add_nc_u32_e32 v0, v1, v2
	v_add_nc_u32_e32 v1, v7, v4
	;; [unrolled: 1-line block ×3, first 2 shown]
	s_wait_dscnt 0x0
	v_add_nc_u32_e32 v4, v10, v6
	ds_bpermute_b32 v5, v11, v0
	ds_bpermute_b32 v6, v11, v1
	;; [unrolled: 1-line block ×4, first 2 shown]
	s_and_b32 exec_lo, exec_lo, vcc_lo
	s_cbranch_execz .LBB62_14
; %bb.42:
	s_load_b64 s[0:1], s[0:1], 0x50
	s_wait_dscnt 0x3
	v_add_nc_u32_e32 v0, v5, v0
	s_wait_dscnt 0x2
	v_add_nc_u32_e32 v1, v6, v1
	;; [unrolled: 2-line block ×4, first 2 shown]
	v_lshlrev_b32_e32 v5, 2, v3
	v_mul_lo_u32 v0, v0, s13
	v_mul_lo_u32 v1, v1, s13
	;; [unrolled: 1-line block ×4, first 2 shown]
	s_cmp_eq_u32 s14, 0
	s_cbranch_scc1 .LBB62_44
; %bb.43:
	v_ashrrev_i32_e32 v6, 31, v5
	s_mov_b32 s2, 0
	s_delay_alu instid0(VALU_DEP_1) | instskip(SKIP_1) | instid1(VALU_DEP_1)
	v_lshlrev_b64_e32 v[6:7], 2, v[5:6]
	s_wait_kmcnt 0x0
	v_add_co_u32 v13, vcc_lo, s0, v6
	s_wait_alu 0xfffd
	s_delay_alu instid0(VALU_DEP_2)
	v_add_co_ci_u32_e64 v14, null, s1, v7, vcc_lo
	global_load_b128 v[6:9], v[13:14], off
	s_wait_loadcnt 0x0
	v_mad_co_u64_u32 v[15:16], null, v9, s14, v[4:5]
	v_mad_co_u64_u32 v[9:10], null, v6, s14, v[0:1]
	;; [unrolled: 1-line block ×4, first 2 shown]
	s_delay_alu instid0(VALU_DEP_4)
	v_mov_b32_e32 v12, v15
	global_store_b128 v[13:14], v[9:12], off
.LBB62_44:
	s_wait_alu 0xfffe
	s_and_not1_b32 vcc_lo, exec_lo, s2
	s_wait_alu 0xfffe
	s_cbranch_vccnz .LBB62_14
; %bb.45:
	v_ashrrev_i32_e32 v6, 31, v5
	v_mov_b32_e32 v3, v4
	s_delay_alu instid0(VALU_DEP_2) | instskip(SKIP_1) | instid1(VALU_DEP_1)
	v_lshlrev_b64_e32 v[5:6], 2, v[5:6]
	s_wait_kmcnt 0x0
	v_add_co_u32 v5, vcc_lo, s0, v5
	s_wait_alu 0xfffd
	s_delay_alu instid0(VALU_DEP_2)
	v_add_co_ci_u32_e64 v6, null, s1, v6, vcc_lo
	global_store_b128 v[5:6], v[0:3], off
	s_endpgm
	.section	.rodata,"a",@progbits
	.p2align	6, 0x0
	.amdhsa_kernel _ZN9rocsparseL18bsrxmvn_4x4_kernelILj128ELj16EiiiaaiEEvT3_20rocsparse_direction_NS_24const_host_device_scalarIT1_EES1_PKS1_PKT2_SA_S7_PKT4_PKT5_S5_PT6_21rocsparse_index_base_b
		.amdhsa_group_segment_fixed_size 0
		.amdhsa_private_segment_fixed_size 0
		.amdhsa_kernarg_size 96
		.amdhsa_user_sgpr_count 2
		.amdhsa_user_sgpr_dispatch_ptr 0
		.amdhsa_user_sgpr_queue_ptr 0
		.amdhsa_user_sgpr_kernarg_segment_ptr 1
		.amdhsa_user_sgpr_dispatch_id 0
		.amdhsa_user_sgpr_private_segment_size 0
		.amdhsa_wavefront_size32 1
		.amdhsa_uses_dynamic_stack 0
		.amdhsa_enable_private_segment 0
		.amdhsa_system_sgpr_workgroup_id_x 1
		.amdhsa_system_sgpr_workgroup_id_y 0
		.amdhsa_system_sgpr_workgroup_id_z 0
		.amdhsa_system_sgpr_workgroup_info 0
		.amdhsa_system_vgpr_workitem_id 0
		.amdhsa_next_free_vgpr 48
		.amdhsa_next_free_sgpr 16
		.amdhsa_reserve_vcc 1
		.amdhsa_float_round_mode_32 0
		.amdhsa_float_round_mode_16_64 0
		.amdhsa_float_denorm_mode_32 3
		.amdhsa_float_denorm_mode_16_64 3
		.amdhsa_fp16_overflow 0
		.amdhsa_workgroup_processor_mode 1
		.amdhsa_memory_ordered 1
		.amdhsa_forward_progress 1
		.amdhsa_inst_pref_size 29
		.amdhsa_round_robin_scheduling 0
		.amdhsa_exception_fp_ieee_invalid_op 0
		.amdhsa_exception_fp_denorm_src 0
		.amdhsa_exception_fp_ieee_div_zero 0
		.amdhsa_exception_fp_ieee_overflow 0
		.amdhsa_exception_fp_ieee_underflow 0
		.amdhsa_exception_fp_ieee_inexact 0
		.amdhsa_exception_int_div_zero 0
	.end_amdhsa_kernel
	.section	.text._ZN9rocsparseL18bsrxmvn_4x4_kernelILj128ELj16EiiiaaiEEvT3_20rocsparse_direction_NS_24const_host_device_scalarIT1_EES1_PKS1_PKT2_SA_S7_PKT4_PKT5_S5_PT6_21rocsparse_index_base_b,"axG",@progbits,_ZN9rocsparseL18bsrxmvn_4x4_kernelILj128ELj16EiiiaaiEEvT3_20rocsparse_direction_NS_24const_host_device_scalarIT1_EES1_PKS1_PKT2_SA_S7_PKT4_PKT5_S5_PT6_21rocsparse_index_base_b,comdat
.Lfunc_end62:
	.size	_ZN9rocsparseL18bsrxmvn_4x4_kernelILj128ELj16EiiiaaiEEvT3_20rocsparse_direction_NS_24const_host_device_scalarIT1_EES1_PKS1_PKT2_SA_S7_PKT4_PKT5_S5_PT6_21rocsparse_index_base_b, .Lfunc_end62-_ZN9rocsparseL18bsrxmvn_4x4_kernelILj128ELj16EiiiaaiEEvT3_20rocsparse_direction_NS_24const_host_device_scalarIT1_EES1_PKS1_PKT2_SA_S7_PKT4_PKT5_S5_PT6_21rocsparse_index_base_b
                                        ; -- End function
	.set _ZN9rocsparseL18bsrxmvn_4x4_kernelILj128ELj16EiiiaaiEEvT3_20rocsparse_direction_NS_24const_host_device_scalarIT1_EES1_PKS1_PKT2_SA_S7_PKT4_PKT5_S5_PT6_21rocsparse_index_base_b.num_vgpr, 48
	.set _ZN9rocsparseL18bsrxmvn_4x4_kernelILj128ELj16EiiiaaiEEvT3_20rocsparse_direction_NS_24const_host_device_scalarIT1_EES1_PKS1_PKT2_SA_S7_PKT4_PKT5_S5_PT6_21rocsparse_index_base_b.num_agpr, 0
	.set _ZN9rocsparseL18bsrxmvn_4x4_kernelILj128ELj16EiiiaaiEEvT3_20rocsparse_direction_NS_24const_host_device_scalarIT1_EES1_PKS1_PKT2_SA_S7_PKT4_PKT5_S5_PT6_21rocsparse_index_base_b.numbered_sgpr, 16
	.set _ZN9rocsparseL18bsrxmvn_4x4_kernelILj128ELj16EiiiaaiEEvT3_20rocsparse_direction_NS_24const_host_device_scalarIT1_EES1_PKS1_PKT2_SA_S7_PKT4_PKT5_S5_PT6_21rocsparse_index_base_b.num_named_barrier, 0
	.set _ZN9rocsparseL18bsrxmvn_4x4_kernelILj128ELj16EiiiaaiEEvT3_20rocsparse_direction_NS_24const_host_device_scalarIT1_EES1_PKS1_PKT2_SA_S7_PKT4_PKT5_S5_PT6_21rocsparse_index_base_b.private_seg_size, 0
	.set _ZN9rocsparseL18bsrxmvn_4x4_kernelILj128ELj16EiiiaaiEEvT3_20rocsparse_direction_NS_24const_host_device_scalarIT1_EES1_PKS1_PKT2_SA_S7_PKT4_PKT5_S5_PT6_21rocsparse_index_base_b.uses_vcc, 1
	.set _ZN9rocsparseL18bsrxmvn_4x4_kernelILj128ELj16EiiiaaiEEvT3_20rocsparse_direction_NS_24const_host_device_scalarIT1_EES1_PKS1_PKT2_SA_S7_PKT4_PKT5_S5_PT6_21rocsparse_index_base_b.uses_flat_scratch, 0
	.set _ZN9rocsparseL18bsrxmvn_4x4_kernelILj128ELj16EiiiaaiEEvT3_20rocsparse_direction_NS_24const_host_device_scalarIT1_EES1_PKS1_PKT2_SA_S7_PKT4_PKT5_S5_PT6_21rocsparse_index_base_b.has_dyn_sized_stack, 0
	.set _ZN9rocsparseL18bsrxmvn_4x4_kernelILj128ELj16EiiiaaiEEvT3_20rocsparse_direction_NS_24const_host_device_scalarIT1_EES1_PKS1_PKT2_SA_S7_PKT4_PKT5_S5_PT6_21rocsparse_index_base_b.has_recursion, 0
	.set _ZN9rocsparseL18bsrxmvn_4x4_kernelILj128ELj16EiiiaaiEEvT3_20rocsparse_direction_NS_24const_host_device_scalarIT1_EES1_PKS1_PKT2_SA_S7_PKT4_PKT5_S5_PT6_21rocsparse_index_base_b.has_indirect_call, 0
	.section	.AMDGPU.csdata,"",@progbits
; Kernel info:
; codeLenInByte = 3692
; TotalNumSgprs: 18
; NumVgprs: 48
; ScratchSize: 0
; MemoryBound: 0
; FloatMode: 240
; IeeeMode: 1
; LDSByteSize: 0 bytes/workgroup (compile time only)
; SGPRBlocks: 0
; VGPRBlocks: 5
; NumSGPRsForWavesPerEU: 18
; NumVGPRsForWavesPerEU: 48
; Occupancy: 16
; WaveLimiterHint : 1
; COMPUTE_PGM_RSRC2:SCRATCH_EN: 0
; COMPUTE_PGM_RSRC2:USER_SGPR: 2
; COMPUTE_PGM_RSRC2:TRAP_HANDLER: 0
; COMPUTE_PGM_RSRC2:TGID_X_EN: 1
; COMPUTE_PGM_RSRC2:TGID_Y_EN: 0
; COMPUTE_PGM_RSRC2:TGID_Z_EN: 0
; COMPUTE_PGM_RSRC2:TIDIG_COMP_CNT: 0
	.section	.text._ZN9rocsparseL18bsrxmvn_4x4_kernelILj128ELj32EiiiaaiEEvT3_20rocsparse_direction_NS_24const_host_device_scalarIT1_EES1_PKS1_PKT2_SA_S7_PKT4_PKT5_S5_PT6_21rocsparse_index_base_b,"axG",@progbits,_ZN9rocsparseL18bsrxmvn_4x4_kernelILj128ELj32EiiiaaiEEvT3_20rocsparse_direction_NS_24const_host_device_scalarIT1_EES1_PKS1_PKT2_SA_S7_PKT4_PKT5_S5_PT6_21rocsparse_index_base_b,comdat
	.globl	_ZN9rocsparseL18bsrxmvn_4x4_kernelILj128ELj32EiiiaaiEEvT3_20rocsparse_direction_NS_24const_host_device_scalarIT1_EES1_PKS1_PKT2_SA_S7_PKT4_PKT5_S5_PT6_21rocsparse_index_base_b ; -- Begin function _ZN9rocsparseL18bsrxmvn_4x4_kernelILj128ELj32EiiiaaiEEvT3_20rocsparse_direction_NS_24const_host_device_scalarIT1_EES1_PKS1_PKT2_SA_S7_PKT4_PKT5_S5_PT6_21rocsparse_index_base_b
	.p2align	8
	.type	_ZN9rocsparseL18bsrxmvn_4x4_kernelILj128ELj32EiiiaaiEEvT3_20rocsparse_direction_NS_24const_host_device_scalarIT1_EES1_PKS1_PKT2_SA_S7_PKT4_PKT5_S5_PT6_21rocsparse_index_base_b,@function
_ZN9rocsparseL18bsrxmvn_4x4_kernelILj128ELj32EiiiaaiEEvT3_20rocsparse_direction_NS_24const_host_device_scalarIT1_EES1_PKS1_PKT2_SA_S7_PKT4_PKT5_S5_PT6_21rocsparse_index_base_b: ; @_ZN9rocsparseL18bsrxmvn_4x4_kernelILj128ELj32EiiiaaiEEvT3_20rocsparse_direction_NS_24const_host_device_scalarIT1_EES1_PKS1_PKT2_SA_S7_PKT4_PKT5_S5_PT6_21rocsparse_index_base_b
; %bb.0:
	s_clause 0x1
	s_load_b64 s[12:13], s[0:1], 0x58
	s_load_b64 s[4:5], s[0:1], 0x8
	s_mov_b32 s7, -1
	s_wait_kmcnt 0x0
	s_bitcmp1_b32 s13, 0
                                        ; implicit-def: $sgpr13
	s_cselect_b32 s2, -1, 0
	s_delay_alu instid0(SALU_CYCLE_1) | instskip(NEXT) | instid1(SALU_CYCLE_1)
	s_xor_b32 s6, s2, -1
	s_and_b32 vcc_lo, exec_lo, s6
	s_cbranch_vccnz .LBB63_4
; %bb.1:
	s_load_b64 s[2:3], s[0:1], 0x48
	s_and_not1_b32 vcc_lo, exec_lo, s7
	s_cbranch_vccz .LBB63_5
.LBB63_2:
	s_and_b32 vcc_lo, exec_lo, s6
	s_cbranch_vccz .LBB63_6
.LBB63_3:
	s_wait_kmcnt 0x0
	s_load_b32 s14, s[2:3], 0x0
	s_cbranch_execz .LBB63_7
	s_branch .LBB63_8
.LBB63_4:
	s_load_b32 s13, s[4:5], 0x0
	s_load_b64 s[2:3], s[0:1], 0x48
	s_cbranch_execnz .LBB63_2
.LBB63_5:
	s_wait_kmcnt 0x0
	s_mov_b32 s13, s4
	s_and_b32 vcc_lo, exec_lo, s6
	s_cbranch_vccnz .LBB63_3
.LBB63_6:
	s_wait_kmcnt 0x0
                                        ; implicit-def: $sgpr14
.LBB63_7:
	s_wait_kmcnt 0x0
	s_mov_b32 s14, s2
.LBB63_8:
	s_cmp_lg_u32 s13, 0
	s_mov_b32 s6, 0
	s_cselect_b32 s2, -1, 0
	s_wait_kmcnt 0x0
	s_cmp_lg_u32 s14, 1
	s_cselect_b32 s3, -1, 0
	s_delay_alu instid0(SALU_CYCLE_1) | instskip(NEXT) | instid1(SALU_CYCLE_1)
	s_or_b32 s2, s2, s3
	s_and_not1_b32 vcc_lo, exec_lo, s2
	s_cbranch_vccnz .LBB63_14
; %bb.9:
	s_clause 0x1
	s_load_b64 s[4:5], s[0:1], 0x18
	s_load_b64 s[2:3], s[0:1], 0x0
	v_lshrrev_b32_e32 v1, 5, v0
	s_delay_alu instid0(VALU_DEP_1)
	v_lshl_or_b32 v3, ttmp9, 2, v1
	s_wait_kmcnt 0x0
	s_cmp_lg_u64 s[4:5], 0
	s_cbranch_scc0 .LBB63_15
; %bb.10:
	s_load_b32 s6, s[0:1], 0x10
	s_mov_b32 s7, 0
                                        ; implicit-def: $vgpr1
	s_wait_kmcnt 0x0
	v_cmp_gt_i32_e32 vcc_lo, s6, v3
	s_mov_b32 s6, 0
	s_and_saveexec_b32 s8, vcc_lo
	s_delay_alu instid0(SALU_CYCLE_1)
	s_xor_b32 s8, exec_lo, s8
	s_cbranch_execz .LBB63_12
; %bb.11:
	v_ashrrev_i32_e32 v4, 31, v3
	s_mov_b32 s6, exec_lo
	s_delay_alu instid0(VALU_DEP_1) | instskip(NEXT) | instid1(VALU_DEP_1)
	v_lshlrev_b64_e32 v[1:2], 2, v[3:4]
	v_add_co_u32 v1, vcc_lo, s4, v1
	s_delay_alu instid0(VALU_DEP_1)
	v_add_co_ci_u32_e64 v2, null, s5, v2, vcc_lo
	global_load_b32 v1, v[1:2], off
	s_wait_loadcnt 0x0
	v_subrev_nc_u32_e32 v1, s12, v1
.LBB63_12:
	s_or_b32 exec_lo, exec_lo, s8
	s_delay_alu instid0(SALU_CYCLE_1)
	s_and_b32 vcc_lo, exec_lo, s7
	s_wait_alu 0xfffe
	s_cbranch_vccz .LBB63_16
.LBB63_13:
	v_cmp_gt_i32_e32 vcc_lo, s2, v3
	s_and_not1_b32 s2, s6, exec_lo
	s_and_b32 s4, vcc_lo, exec_lo
	s_wait_alu 0xfffe
	s_or_b32 s6, s2, s4
	s_wait_alu 0xfffe
	s_and_saveexec_b32 s2, s6
	s_cbranch_execnz .LBB63_17
.LBB63_14:
	s_endpgm
.LBB63_15:
                                        ; implicit-def: $vgpr1
	s_cbranch_execnz .LBB63_13
.LBB63_16:
	v_mov_b32_e32 v3, v1
	s_and_saveexec_b32 s2, s6
	s_cbranch_execz .LBB63_14
.LBB63_17:
	s_load_b256 s[4:11], s[0:1], 0x20
	s_delay_alu instid0(VALU_DEP_1) | instskip(SKIP_1) | instid1(VALU_DEP_2)
	v_ashrrev_i32_e32 v4, 31, v3
	v_and_b32_e32 v8, 31, v0
	v_lshlrev_b64_e32 v[1:2], 2, v[3:4]
	s_wait_kmcnt 0x0
	s_delay_alu instid0(VALU_DEP_1) | instskip(SKIP_1) | instid1(VALU_DEP_2)
	v_add_co_u32 v4, vcc_lo, s4, v1
	s_wait_alu 0xfffd
	v_add_co_ci_u32_e64 v5, null, s5, v2, vcc_lo
	v_add_co_u32 v1, vcc_lo, s6, v1
	s_wait_alu 0xfffd
	v_add_co_ci_u32_e64 v2, null, s7, v2, vcc_lo
	global_load_b32 v14, v[4:5], off
	v_add_co_u32 v4, vcc_lo, v4, 4
	s_wait_alu 0xfffd
	v_add_co_ci_u32_e64 v5, null, 0, v5, vcc_lo
	s_cmp_eq_u64 s[6:7], 0
	s_load_b64 s[6:7], s[0:1], 0x40
	s_cselect_b32 vcc_lo, -1, 0
	s_cmp_eq_u32 s3, 1
	s_wait_alu 0xfffe
	v_dual_cndmask_b32 v2, v2, v5 :: v_dual_cndmask_b32 v1, v1, v4
	global_load_b32 v4, v[1:2], off
	s_wait_loadcnt 0x1
	v_subrev_nc_u32_e32 v0, s12, v14
	s_delay_alu instid0(VALU_DEP_1) | instskip(NEXT) | instid1(VALU_DEP_1)
	v_add_nc_u32_e32 v0, v0, v8
	v_ashrrev_i32_e32 v1, 31, v0
	s_wait_loadcnt 0x0
	v_subrev_nc_u32_e32 v10, s12, v4
	s_delay_alu instid0(VALU_DEP_2) | instskip(NEXT) | instid1(VALU_DEP_2)
	v_lshlrev_b64_e32 v[1:2], 4, v[0:1]
	v_cmp_lt_i32_e64 s2, v0, v10
	s_delay_alu instid0(VALU_DEP_2) | instskip(SKIP_1) | instid1(VALU_DEP_3)
	v_add_co_u32 v4, vcc_lo, s10, v1
	s_wait_alu 0xfffd
	v_add_co_ci_u32_e64 v5, null, s11, v2, vcc_lo
	s_cbranch_scc1 .LBB63_29
; %bb.18:
	v_dual_mov_b32 v12, 0 :: v_dual_mov_b32 v13, 0
	v_mov_b32_e32 v11, 0
	v_mov_b32_e32 v9, 0
	s_and_saveexec_b32 s10, s2
	s_cbranch_execz .LBB63_28
; %bb.19:
	v_mov_b32_e32 v9, 0
	v_add_nc_u32_e32 v1, v14, v8
	v_mov_b32_e32 v7, v5
	v_not_b32_e32 v2, v14
	s_mov_b32 s4, 0
	v_mov_b32_e32 v12, v9
	v_subrev_nc_u32_e32 v1, s12, v1
	s_mov_b32 s3, exec_lo
	s_delay_alu instid0(VALU_DEP_1) | instskip(NEXT) | instid1(VALU_DEP_1)
	v_dual_mov_b32 v6, v4 :: v_dual_add_nc_u32 v1, 32, v1
	v_max_i32_e32 v1, v1, v10
	s_delay_alu instid0(VALU_DEP_1) | instskip(NEXT) | instid1(VALU_DEP_1)
	v_add3_u32 v1, s12, v1, v2
	v_sub_nc_u32_e32 v15, v1, v8
	s_delay_alu instid0(VALU_DEP_1) | instskip(SKIP_2) | instid1(VALU_DEP_3)
	v_dual_mov_b32 v1, v0 :: v_dual_and_b32 v2, 0x60, v15
	v_mov_b32_e32 v11, v9
	v_mov_b32_e32 v13, v9
	v_cmpx_ne_u32_e32 0x60, v2
	s_cbranch_execz .LBB63_23
; %bb.20:
	v_lshrrev_b32_e32 v1, 5, v15
	v_mov_b32_e32 v7, v5
	v_mov_b32_e32 v11, 0
	v_dual_mov_b32 v13, 0 :: v_dual_mov_b32 v12, 0
	s_delay_alu instid0(VALU_DEP_4) | instskip(NEXT) | instid1(VALU_DEP_1)
	v_dual_mov_b32 v6, v4 :: v_dual_add_nc_u32 v1, 1, v1
	v_and_b32_e32 v1, 3, v1
	s_delay_alu instid0(VALU_DEP_1)
	v_sub_nc_u32_e32 v16, 0, v1
	v_mov_b32_e32 v1, v0
.LBB63_21:                              ; =>This Inner Loop Header: Depth=1
	s_delay_alu instid0(VALU_DEP_1) | instskip(NEXT) | instid1(VALU_DEP_3)
	v_ashrrev_i32_e32 v2, 31, v1
	v_add_co_u32 v16, s5, v16, 1
	s_wait_alu 0xfffe
	s_or_b32 s4, s5, s4
	s_delay_alu instid0(VALU_DEP_2) | instskip(SKIP_1) | instid1(VALU_DEP_2)
	v_lshlrev_b64_e32 v[17:18], 2, v[1:2]
	v_add_nc_u32_e32 v1, 32, v1
	v_add_co_u32 v17, vcc_lo, s8, v17
	s_wait_alu 0xfffd
	s_delay_alu instid0(VALU_DEP_3) | instskip(SKIP_3) | instid1(VALU_DEP_1)
	v_add_co_ci_u32_e64 v18, null, s9, v18, vcc_lo
	global_load_b32 v2, v[17:18], off
	s_wait_loadcnt 0x0
	v_subrev_nc_u32_e32 v2, s12, v2
	v_lshlrev_b32_e32 v2, 2, v2
	s_delay_alu instid0(VALU_DEP_1) | instskip(SKIP_3) | instid1(VALU_DEP_2)
	v_ashrrev_i32_e32 v17, 31, v2
	s_wait_kmcnt 0x0
	v_add_co_u32 v21, vcc_lo, s6, v2
	s_wait_alu 0xfffd
	v_add_co_ci_u32_e64 v22, null, s7, v17, vcc_lo
	global_load_b128 v[17:20], v[6:7], off
	global_load_b32 v2, v[21:22], off
	v_add_co_u32 v6, vcc_lo, 0x200, v6
	s_wait_alu 0xfffd
	v_add_co_ci_u32_e64 v7, null, 0, v7, vcc_lo
	s_wait_loadcnt 0x0
	v_dot4_i32_iu8 v12, v2, v20, v12 neg_lo:[1,1,0]
	v_dot4_i32_iu8 v13, v2, v19, v13 neg_lo:[1,1,0]
	;; [unrolled: 1-line block ×4, first 2 shown]
	s_wait_alu 0xfffe
	s_and_not1_b32 exec_lo, exec_lo, s4
	s_cbranch_execnz .LBB63_21
; %bb.22:
	s_or_b32 exec_lo, exec_lo, s4
.LBB63_23:
	s_wait_alu 0xfffe
	s_or_b32 exec_lo, exec_lo, s3
	s_delay_alu instid0(SALU_CYCLE_1)
	s_mov_b32 s11, exec_lo
	v_cmpx_lt_u32_e32 0x5f, v15
	s_cbranch_execz .LBB63_27
; %bb.24:
	s_mov_b32 s15, 0
.LBB63_25:                              ; =>This Inner Loop Header: Depth=1
	v_ashrrev_i32_e32 v2, 31, v1
	s_delay_alu instid0(VALU_DEP_1) | instskip(SKIP_1) | instid1(VALU_DEP_2)
	v_lshlrev_b64_e32 v[15:16], 2, v[1:2]
	v_add_nc_u32_e32 v1, 0x80, v1
	v_add_co_u32 v15, vcc_lo, s8, v15
	s_wait_alu 0xfffd
	s_delay_alu instid0(VALU_DEP_3)
	v_add_co_ci_u32_e64 v16, null, s9, v16, vcc_lo
	s_clause 0x3
	global_load_b32 v2, v[15:16], off
	global_load_b32 v27, v[15:16], off offset:128
	global_load_b32 v28, v[15:16], off offset:256
	;; [unrolled: 1-line block ×3, first 2 shown]
	s_clause 0x2
	global_load_b128 v[15:18], v[6:7], off
	global_load_b128 v[19:22], v[6:7], off offset:512
	global_load_b128 v[23:26], v[6:7], off offset:1024
	s_wait_loadcnt 0x6
	v_subrev_nc_u32_e32 v2, s12, v2
	s_wait_loadcnt 0x5
	v_subrev_nc_u32_e32 v27, s12, v27
	;; [unrolled: 2-line block ×4, first 2 shown]
	v_lshlrev_b32_e32 v2, 2, v2
	v_lshlrev_b32_e32 v27, 2, v27
	;; [unrolled: 1-line block ×3, first 2 shown]
	s_delay_alu instid0(VALU_DEP_4) | instskip(NEXT) | instid1(VALU_DEP_4)
	v_lshlrev_b32_e32 v30, 2, v29
	v_ashrrev_i32_e32 v33, 31, v2
	s_wait_kmcnt 0x0
	v_add_co_u32 v32, s5, s6, v2
	v_ashrrev_i32_e32 v34, 31, v27
	v_add_co_u32 v27, vcc_lo, s6, v27
	s_wait_alu 0xf1ff
	v_add_co_ci_u32_e64 v33, null, s7, v33, s5
	v_ashrrev_i32_e32 v35, 31, v28
	v_add_co_u32 v29, s3, s6, v28
	s_wait_alu 0xfffd
	v_add_co_ci_u32_e64 v28, null, s7, v34, vcc_lo
	global_load_b32 v2, v[32:33], off
	v_ashrrev_i32_e32 v36, 31, v30
	v_add_co_u32 v31, s4, s6, v30
	global_load_b32 v33, v[27:28], off
	s_wait_alu 0xf1ff
	v_add_co_ci_u32_e64 v30, null, s7, v35, s3
	v_add_co_ci_u32_e64 v32, null, s7, v36, s4
	global_load_b32 v34, v[29:30], off
	global_load_b128 v[27:30], v[6:7], off offset:1536
	global_load_b32 v31, v[31:32], off
	v_add_co_u32 v6, vcc_lo, 0x800, v6
	s_wait_alu 0xfffd
	v_add_co_ci_u32_e64 v7, null, 0, v7, vcc_lo
	v_cmp_ge_i32_e32 vcc_lo, v1, v10
	s_or_b32 s15, vcc_lo, s15
	s_wait_loadcnt 0x4
	v_dot4_i32_iu8 v9, v2, v15, v9 neg_lo:[1,1,0]
	v_dot4_i32_iu8 v12, v2, v18, v12 neg_lo:[1,1,0]
	v_dot4_i32_iu8 v13, v2, v17, v13 neg_lo:[1,1,0]
	v_dot4_i32_iu8 v2, v2, v16, v11 neg_lo:[1,1,0]
	s_wait_loadcnt 0x3
	v_dot4_i32_iu8 v9, v33, v19, v9 neg_lo:[1,1,0]
	v_dot4_i32_iu8 v11, v33, v22, v12 neg_lo:[1,1,0]
	v_dot4_i32_iu8 v12, v33, v21, v13 neg_lo:[1,1,0]
	v_dot4_i32_iu8 v2, v33, v20, v2 neg_lo:[1,1,0]
	;; [unrolled: 5-line block ×4, first 2 shown]
	s_and_not1_b32 exec_lo, exec_lo, s15
	s_cbranch_execnz .LBB63_25
; %bb.26:
	s_or_b32 exec_lo, exec_lo, s15
.LBB63_27:
	s_wait_alu 0xfffe
	s_or_b32 exec_lo, exec_lo, s11
.LBB63_28:
	s_wait_alu 0xfffe
	s_or_b32 exec_lo, exec_lo, s10
	s_cbranch_execz .LBB63_30
	s_branch .LBB63_41
.LBB63_29:
                                        ; implicit-def: $vgpr12
                                        ; implicit-def: $vgpr9
                                        ; implicit-def: $vgpr11
                                        ; implicit-def: $vgpr13
.LBB63_30:
	v_dual_mov_b32 v12, 0 :: v_dual_mov_b32 v13, 0
	v_mov_b32_e32 v11, 0
	v_mov_b32_e32 v9, 0
	s_and_saveexec_b32 s5, s2
	s_cbranch_execz .LBB63_40
; %bb.31:
	v_mov_b32_e32 v9, 0
	v_add_nc_u32_e32 v1, v14, v8
	v_not_b32_e32 v2, v14
	s_mov_b32 s3, 0
	s_mov_b32 s2, exec_lo
	v_mov_b32_e32 v12, v9
	v_subrev_nc_u32_e32 v1, s12, v1
	v_mov_b32_e32 v11, v9
	v_mov_b32_e32 v13, v9
	s_delay_alu instid0(VALU_DEP_3) | instskip(NEXT) | instid1(VALU_DEP_1)
	v_add_nc_u32_e32 v1, 32, v1
	v_max_i32_e32 v1, v1, v10
	s_delay_alu instid0(VALU_DEP_1) | instskip(NEXT) | instid1(VALU_DEP_1)
	v_add3_u32 v1, s12, v1, v2
	v_sub_nc_u32_e32 v2, v1, v8
	s_delay_alu instid0(VALU_DEP_1) | instskip(NEXT) | instid1(VALU_DEP_1)
	v_and_b32_e32 v1, 0x60, v2
	v_cmpx_ne_u32_e32 0x60, v1
	s_cbranch_execz .LBB63_35
; %bb.32:
	v_lshrrev_b32_e32 v1, 5, v2
	v_mov_b32_e32 v11, 0
	v_dual_mov_b32 v13, 0 :: v_dual_mov_b32 v12, 0
	s_delay_alu instid0(VALU_DEP_3) | instskip(NEXT) | instid1(VALU_DEP_1)
	v_add_nc_u32_e32 v1, 1, v1
	v_and_b32_e32 v1, 3, v1
	s_delay_alu instid0(VALU_DEP_1)
	v_sub_nc_u32_e32 v6, 0, v1
.LBB63_33:                              ; =>This Inner Loop Header: Depth=1
	v_ashrrev_i32_e32 v1, 31, v0
	s_delay_alu instid0(VALU_DEP_2) | instskip(SKIP_2) | instid1(VALU_DEP_2)
	v_add_co_u32 v6, s4, v6, 1
	s_wait_alu 0xfffe
	s_or_b32 s3, s4, s3
	v_lshlrev_b64_e32 v[14:15], 2, v[0:1]
	v_add_nc_u32_e32 v0, 32, v0
	s_delay_alu instid0(VALU_DEP_2) | instskip(SKIP_1) | instid1(VALU_DEP_3)
	v_add_co_u32 v14, vcc_lo, s8, v14
	s_wait_alu 0xfffd
	v_add_co_ci_u32_e64 v15, null, s9, v15, vcc_lo
	global_load_b32 v1, v[14:15], off
	global_load_b128 v[14:17], v[4:5], off
	s_wait_loadcnt 0x1
	v_subrev_nc_u32_e32 v1, s12, v1
	s_wait_loadcnt 0x0
	v_perm_b32 v20, v17, v16, 0x6020c0c
	v_perm_b32 v21, v15, v14, 0xc0c0501
	;; [unrolled: 1-line block ×3, first 2 shown]
	v_lshlrev_b32_e32 v1, 2, v1
	s_delay_alu instid0(VALU_DEP_1) | instskip(SKIP_3) | instid1(VALU_DEP_2)
	v_ashrrev_i32_e32 v7, 31, v1
	s_wait_kmcnt 0x0
	v_add_co_u32 v18, vcc_lo, s6, v1
	s_wait_alu 0xfffd
	v_add_co_ci_u32_e64 v19, null, s7, v7, vcc_lo
	v_perm_b32 v7, v15, v14, 0xc0c0703
	v_add_co_u32 v4, vcc_lo, 0x200, v4
	global_load_b32 v1, v[18:19], off
	v_perm_b32 v18, v17, v16, 0x7030c0c
	v_perm_b32 v19, v15, v14, 0xc0c0602
	;; [unrolled: 1-line block ×4, first 2 shown]
	v_or_b32_e32 v17, v22, v21
	v_or_b32_e32 v7, v18, v7
	;; [unrolled: 1-line block ×3, first 2 shown]
	s_wait_alu 0xfffd
	v_add_co_ci_u32_e64 v5, null, 0, v5, vcc_lo
	v_or_b32_e32 v14, v15, v14
	s_wait_loadcnt 0x0
	v_dot4_i32_iu8 v12, v1, v7, v12 neg_lo:[1,1,0]
	v_dot4_i32_iu8 v13, v1, v16, v13 neg_lo:[1,1,0]
	;; [unrolled: 1-line block ×4, first 2 shown]
	s_wait_alu 0xfffe
	s_and_not1_b32 exec_lo, exec_lo, s3
	s_cbranch_execnz .LBB63_33
; %bb.34:
	s_or_b32 exec_lo, exec_lo, s3
.LBB63_35:
	s_wait_alu 0xfffe
	s_or_b32 exec_lo, exec_lo, s2
	s_delay_alu instid0(SALU_CYCLE_1)
	s_mov_b32 s10, exec_lo
	v_cmpx_lt_u32_e32 0x5f, v2
	s_cbranch_execz .LBB63_39
; %bb.36:
	s_mov_b32 s11, 0
.LBB63_37:                              ; =>This Inner Loop Header: Depth=1
	v_ashrrev_i32_e32 v1, 31, v0
	s_delay_alu instid0(VALU_DEP_1) | instskip(SKIP_1) | instid1(VALU_DEP_2)
	v_lshlrev_b64_e32 v[1:2], 2, v[0:1]
	v_add_nc_u32_e32 v0, 0x80, v0
	v_add_co_u32 v1, vcc_lo, s8, v1
	s_wait_alu 0xfffd
	s_delay_alu instid0(VALU_DEP_3)
	v_add_co_ci_u32_e64 v2, null, s9, v2, vcc_lo
	s_clause 0x3
	global_load_b32 v6, v[1:2], off
	global_load_b32 v7, v[1:2], off offset:128
	global_load_b32 v30, v[1:2], off offset:256
	;; [unrolled: 1-line block ×3, first 2 shown]
	s_clause 0x3
	global_load_b128 v[14:17], v[4:5], off
	global_load_b128 v[18:21], v[4:5], off offset:512
	global_load_b128 v[22:25], v[4:5], off offset:1024
	;; [unrolled: 1-line block ×3, first 2 shown]
	s_wait_loadcnt 0x7
	v_subrev_nc_u32_e32 v2, s12, v6
	s_wait_loadcnt 0x6
	v_subrev_nc_u32_e32 v6, s12, v7
	;; [unrolled: 2-line block ×4, first 2 shown]
	v_lshlrev_b32_e32 v2, 2, v2
	v_lshlrev_b32_e32 v6, 2, v6
	;; [unrolled: 1-line block ×3, first 2 shown]
	s_delay_alu instid0(VALU_DEP_4)
	v_lshlrev_b32_e32 v30, 2, v1
	s_wait_loadcnt 0x2
	v_perm_b32 v36, v19, v18, 0xc0c0602
	v_ashrrev_i32_e32 v32, 31, v2
	s_wait_kmcnt 0x0
	v_add_co_u32 v31, s4, s6, v2
	v_ashrrev_i32_e32 v33, 31, v6
	v_add_co_u32 v1, vcc_lo, s6, v6
	s_wait_alu 0xf1ff
	v_add_co_ci_u32_e64 v32, null, s7, v32, s4
	s_wait_alu 0xfffd
	v_add_co_ci_u32_e64 v2, null, s7, v33, vcc_lo
	v_ashrrev_i32_e32 v34, 31, v7
	global_load_b32 v32, v[31:32], off
	v_ashrrev_i32_e32 v35, 31, v30
	v_add_co_u32 v6, s2, s6, v7
	v_add_co_u32 v30, s3, s6, v30
	global_load_b32 v1, v[1:2], off
	s_wait_alu 0xf1ff
	v_add_co_ci_u32_e64 v7, null, s7, v34, s2
	v_add_co_ci_u32_e64 v31, null, s7, v35, s3
	s_clause 0x1
	global_load_b32 v2, v[6:7], off
	global_load_b32 v6, v[30:31], off
	v_perm_b32 v7, v15, v14, 0xc0c0400
	v_perm_b32 v30, v17, v16, 0x4000c0c
	;; [unrolled: 1-line block ×15, first 2 shown]
	s_wait_loadcnt 0x5
	v_perm_b32 v20, v23, v22, 0xc0c0400
	v_perm_b32 v21, v25, v24, 0x4000c0c
	;; [unrolled: 1-line block ×8, first 2 shown]
	s_wait_loadcnt 0x4
	v_perm_b32 v24, v27, v26, 0xc0c0703
	v_perm_b32 v25, v29, v28, 0x7030c0c
	;; [unrolled: 1-line block ×8, first 2 shown]
	v_or_b32_e32 v7, v30, v7
	v_or_b32_e32 v28, v33, v31
	;; [unrolled: 1-line block ×14, first 2 shown]
	v_add_co_u32 v4, vcc_lo, 0x800, v4
	s_wait_alu 0xfffd
	v_add_co_ci_u32_e64 v5, null, 0, v5, vcc_lo
	v_cmp_ge_i32_e32 vcc_lo, v0, v10
	s_wait_alu 0xfffe
	s_or_b32 s11, vcc_lo, s11
	s_wait_loadcnt 0x3
	v_dot4_i32_iu8 v12, v32, v14, v12 neg_lo:[1,1,0]
	v_dot4_i32_iu8 v13, v32, v29, v13 neg_lo:[1,1,0]
	;; [unrolled: 1-line block ×4, first 2 shown]
	v_or_b32_e32 v9, v47, v46
	s_wait_loadcnt 0x2
	v_dot4_i32_iu8 v12, v1, v15, v12 neg_lo:[1,1,0]
	v_dot4_i32_iu8 v13, v1, v16, v13 neg_lo:[1,1,0]
	;; [unrolled: 1-line block ×4, first 2 shown]
	v_or_b32_e32 v7, v27, v26
	s_wait_loadcnt 0x1
	v_dot4_i32_iu8 v12, v2, v22, v12 neg_lo:[1,1,0]
	v_dot4_i32_iu8 v13, v2, v21, v13 neg_lo:[1,1,0]
	;; [unrolled: 1-line block ×4, first 2 shown]
	s_wait_loadcnt 0x0
	v_dot4_i32_iu8 v12, v6, v23, v12 neg_lo:[1,1,0]
	v_dot4_i32_iu8 v13, v6, v24, v13 neg_lo:[1,1,0]
	v_dot4_i32_iu8 v11, v6, v9, v11 neg_lo:[1,1,0]
	v_dot4_i32_iu8 v9, v6, v7, v1 neg_lo:[1,1,0]
	s_wait_alu 0xfffe
	s_and_not1_b32 exec_lo, exec_lo, s11
	s_cbranch_execnz .LBB63_37
; %bb.38:
	s_or_b32 exec_lo, exec_lo, s11
.LBB63_39:
	s_wait_alu 0xfffe
	s_or_b32 exec_lo, exec_lo, s10
.LBB63_40:
	s_wait_alu 0xfffe
	s_or_b32 exec_lo, exec_lo, s5
.LBB63_41:
	v_mbcnt_lo_u32_b32 v0, -1, 0
	s_mov_b32 s2, -1
	s_delay_alu instid0(VALU_DEP_1) | instskip(SKIP_1) | instid1(VALU_DEP_2)
	v_xor_b32_e32 v1, 16, v0
	v_xor_b32_e32 v6, 8, v0
	v_cmp_gt_i32_e32 vcc_lo, 32, v1
	s_wait_alu 0xfffd
	v_cndmask_b32_e32 v1, v0, v1, vcc_lo
	s_delay_alu instid0(VALU_DEP_3) | instskip(SKIP_2) | instid1(VALU_DEP_1)
	v_cmp_gt_i32_e32 vcc_lo, 32, v6
	s_wait_alu 0xfffd
	v_cndmask_b32_e32 v6, v0, v6, vcc_lo
	v_lshlrev_b32_e32 v6, 2, v6
	v_lshlrev_b32_e32 v1, 2, v1
	ds_bpermute_b32 v4, v1, v11
	ds_bpermute_b32 v2, v1, v9
	;; [unrolled: 1-line block ×4, first 2 shown]
	s_wait_dscnt 0x3
	v_add_nc_u32_e32 v4, v4, v11
	v_xor_b32_e32 v11, 4, v0
	s_wait_dscnt 0x1
	v_add_nc_u32_e32 v5, v5, v13
	s_wait_dscnt 0x0
	v_add_nc_u32_e32 v1, v1, v12
	v_cmp_gt_i32_e32 vcc_lo, 32, v11
	v_add_nc_u32_e32 v2, v2, v9
	ds_bpermute_b32 v9, v6, v4
	ds_bpermute_b32 v10, v6, v5
	s_wait_alu 0xfffd
	v_cndmask_b32_e32 v11, v0, v11, vcc_lo
	ds_bpermute_b32 v7, v6, v2
	ds_bpermute_b32 v6, v6, v1
	v_lshlrev_b32_e32 v11, 2, v11
	s_wait_dscnt 0x3
	v_add_nc_u32_e32 v4, v9, v4
	s_wait_dscnt 0x2
	v_add_nc_u32_e32 v5, v10, v5
	;; [unrolled: 2-line block ×4, first 2 shown]
	ds_bpermute_b32 v7, v11, v4
	ds_bpermute_b32 v9, v11, v5
	;; [unrolled: 1-line block ×4, first 2 shown]
	v_xor_b32_e32 v11, 2, v0
	s_delay_alu instid0(VALU_DEP_1) | instskip(SKIP_2) | instid1(VALU_DEP_1)
	v_cmp_gt_i32_e32 vcc_lo, 32, v11
	s_wait_alu 0xfffd
	v_cndmask_b32_e32 v11, v0, v11, vcc_lo
	v_lshlrev_b32_e32 v11, 2, v11
	s_wait_dscnt 0x3
	v_add_nc_u32_e32 v4, v7, v4
	s_wait_dscnt 0x2
	v_add_nc_u32_e32 v5, v9, v5
	s_wait_dscnt 0x1
	v_add_nc_u32_e32 v2, v6, v2
	s_wait_dscnt 0x0
	v_add_nc_u32_e32 v6, v10, v1
	ds_bpermute_b32 v7, v11, v4
	ds_bpermute_b32 v9, v11, v5
	;; [unrolled: 1-line block ×4, first 2 shown]
	v_xor_b32_e32 v11, 1, v0
	s_delay_alu instid0(VALU_DEP_1) | instskip(SKIP_3) | instid1(VALU_DEP_2)
	v_cmp_gt_i32_e32 vcc_lo, 32, v11
	s_wait_alu 0xfffd
	v_cndmask_b32_e32 v0, v0, v11, vcc_lo
	v_cmp_eq_u32_e32 vcc_lo, 31, v8
	v_lshlrev_b32_e32 v11, 2, v0
	s_wait_dscnt 0x1
	v_add_nc_u32_e32 v0, v1, v2
	v_add_nc_u32_e32 v1, v7, v4
	;; [unrolled: 1-line block ×3, first 2 shown]
	s_wait_dscnt 0x0
	v_add_nc_u32_e32 v4, v10, v6
	ds_bpermute_b32 v5, v11, v0
	ds_bpermute_b32 v6, v11, v1
	ds_bpermute_b32 v7, v11, v2
	ds_bpermute_b32 v9, v11, v4
	s_and_b32 exec_lo, exec_lo, vcc_lo
	s_cbranch_execz .LBB63_14
; %bb.42:
	s_load_b64 s[0:1], s[0:1], 0x50
	s_wait_dscnt 0x3
	v_add_nc_u32_e32 v0, v5, v0
	s_wait_dscnt 0x2
	v_add_nc_u32_e32 v1, v6, v1
	;; [unrolled: 2-line block ×4, first 2 shown]
	v_lshlrev_b32_e32 v5, 2, v3
	v_mul_lo_u32 v0, v0, s13
	v_mul_lo_u32 v1, v1, s13
	;; [unrolled: 1-line block ×4, first 2 shown]
	s_cmp_eq_u32 s14, 0
	s_cbranch_scc1 .LBB63_44
; %bb.43:
	v_ashrrev_i32_e32 v6, 31, v5
	s_mov_b32 s2, 0
	s_delay_alu instid0(VALU_DEP_1) | instskip(SKIP_1) | instid1(VALU_DEP_1)
	v_lshlrev_b64_e32 v[6:7], 2, v[5:6]
	s_wait_kmcnt 0x0
	v_add_co_u32 v13, vcc_lo, s0, v6
	s_wait_alu 0xfffd
	s_delay_alu instid0(VALU_DEP_2)
	v_add_co_ci_u32_e64 v14, null, s1, v7, vcc_lo
	global_load_b128 v[6:9], v[13:14], off
	s_wait_loadcnt 0x0
	v_mad_co_u64_u32 v[15:16], null, v9, s14, v[4:5]
	v_mad_co_u64_u32 v[9:10], null, v6, s14, v[0:1]
	;; [unrolled: 1-line block ×4, first 2 shown]
	s_delay_alu instid0(VALU_DEP_4)
	v_mov_b32_e32 v12, v15
	global_store_b128 v[13:14], v[9:12], off
.LBB63_44:
	s_wait_alu 0xfffe
	s_and_not1_b32 vcc_lo, exec_lo, s2
	s_wait_alu 0xfffe
	s_cbranch_vccnz .LBB63_14
; %bb.45:
	v_ashrrev_i32_e32 v6, 31, v5
	v_mov_b32_e32 v3, v4
	s_delay_alu instid0(VALU_DEP_2) | instskip(SKIP_1) | instid1(VALU_DEP_1)
	v_lshlrev_b64_e32 v[5:6], 2, v[5:6]
	s_wait_kmcnt 0x0
	v_add_co_u32 v5, vcc_lo, s0, v5
	s_wait_alu 0xfffd
	s_delay_alu instid0(VALU_DEP_2)
	v_add_co_ci_u32_e64 v6, null, s1, v6, vcc_lo
	global_store_b128 v[5:6], v[0:3], off
	s_endpgm
	.section	.rodata,"a",@progbits
	.p2align	6, 0x0
	.amdhsa_kernel _ZN9rocsparseL18bsrxmvn_4x4_kernelILj128ELj32EiiiaaiEEvT3_20rocsparse_direction_NS_24const_host_device_scalarIT1_EES1_PKS1_PKT2_SA_S7_PKT4_PKT5_S5_PT6_21rocsparse_index_base_b
		.amdhsa_group_segment_fixed_size 0
		.amdhsa_private_segment_fixed_size 0
		.amdhsa_kernarg_size 96
		.amdhsa_user_sgpr_count 2
		.amdhsa_user_sgpr_dispatch_ptr 0
		.amdhsa_user_sgpr_queue_ptr 0
		.amdhsa_user_sgpr_kernarg_segment_ptr 1
		.amdhsa_user_sgpr_dispatch_id 0
		.amdhsa_user_sgpr_private_segment_size 0
		.amdhsa_wavefront_size32 1
		.amdhsa_uses_dynamic_stack 0
		.amdhsa_enable_private_segment 0
		.amdhsa_system_sgpr_workgroup_id_x 1
		.amdhsa_system_sgpr_workgroup_id_y 0
		.amdhsa_system_sgpr_workgroup_id_z 0
		.amdhsa_system_sgpr_workgroup_info 0
		.amdhsa_system_vgpr_workitem_id 0
		.amdhsa_next_free_vgpr 48
		.amdhsa_next_free_sgpr 16
		.amdhsa_reserve_vcc 1
		.amdhsa_float_round_mode_32 0
		.amdhsa_float_round_mode_16_64 0
		.amdhsa_float_denorm_mode_32 3
		.amdhsa_float_denorm_mode_16_64 3
		.amdhsa_fp16_overflow 0
		.amdhsa_workgroup_processor_mode 1
		.amdhsa_memory_ordered 1
		.amdhsa_forward_progress 1
		.amdhsa_inst_pref_size 30
		.amdhsa_round_robin_scheduling 0
		.amdhsa_exception_fp_ieee_invalid_op 0
		.amdhsa_exception_fp_denorm_src 0
		.amdhsa_exception_fp_ieee_div_zero 0
		.amdhsa_exception_fp_ieee_overflow 0
		.amdhsa_exception_fp_ieee_underflow 0
		.amdhsa_exception_fp_ieee_inexact 0
		.amdhsa_exception_int_div_zero 0
	.end_amdhsa_kernel
	.section	.text._ZN9rocsparseL18bsrxmvn_4x4_kernelILj128ELj32EiiiaaiEEvT3_20rocsparse_direction_NS_24const_host_device_scalarIT1_EES1_PKS1_PKT2_SA_S7_PKT4_PKT5_S5_PT6_21rocsparse_index_base_b,"axG",@progbits,_ZN9rocsparseL18bsrxmvn_4x4_kernelILj128ELj32EiiiaaiEEvT3_20rocsparse_direction_NS_24const_host_device_scalarIT1_EES1_PKS1_PKT2_SA_S7_PKT4_PKT5_S5_PT6_21rocsparse_index_base_b,comdat
.Lfunc_end63:
	.size	_ZN9rocsparseL18bsrxmvn_4x4_kernelILj128ELj32EiiiaaiEEvT3_20rocsparse_direction_NS_24const_host_device_scalarIT1_EES1_PKS1_PKT2_SA_S7_PKT4_PKT5_S5_PT6_21rocsparse_index_base_b, .Lfunc_end63-_ZN9rocsparseL18bsrxmvn_4x4_kernelILj128ELj32EiiiaaiEEvT3_20rocsparse_direction_NS_24const_host_device_scalarIT1_EES1_PKS1_PKT2_SA_S7_PKT4_PKT5_S5_PT6_21rocsparse_index_base_b
                                        ; -- End function
	.set _ZN9rocsparseL18bsrxmvn_4x4_kernelILj128ELj32EiiiaaiEEvT3_20rocsparse_direction_NS_24const_host_device_scalarIT1_EES1_PKS1_PKT2_SA_S7_PKT4_PKT5_S5_PT6_21rocsparse_index_base_b.num_vgpr, 48
	.set _ZN9rocsparseL18bsrxmvn_4x4_kernelILj128ELj32EiiiaaiEEvT3_20rocsparse_direction_NS_24const_host_device_scalarIT1_EES1_PKS1_PKT2_SA_S7_PKT4_PKT5_S5_PT6_21rocsparse_index_base_b.num_agpr, 0
	.set _ZN9rocsparseL18bsrxmvn_4x4_kernelILj128ELj32EiiiaaiEEvT3_20rocsparse_direction_NS_24const_host_device_scalarIT1_EES1_PKS1_PKT2_SA_S7_PKT4_PKT5_S5_PT6_21rocsparse_index_base_b.numbered_sgpr, 16
	.set _ZN9rocsparseL18bsrxmvn_4x4_kernelILj128ELj32EiiiaaiEEvT3_20rocsparse_direction_NS_24const_host_device_scalarIT1_EES1_PKS1_PKT2_SA_S7_PKT4_PKT5_S5_PT6_21rocsparse_index_base_b.num_named_barrier, 0
	.set _ZN9rocsparseL18bsrxmvn_4x4_kernelILj128ELj32EiiiaaiEEvT3_20rocsparse_direction_NS_24const_host_device_scalarIT1_EES1_PKS1_PKT2_SA_S7_PKT4_PKT5_S5_PT6_21rocsparse_index_base_b.private_seg_size, 0
	.set _ZN9rocsparseL18bsrxmvn_4x4_kernelILj128ELj32EiiiaaiEEvT3_20rocsparse_direction_NS_24const_host_device_scalarIT1_EES1_PKS1_PKT2_SA_S7_PKT4_PKT5_S5_PT6_21rocsparse_index_base_b.uses_vcc, 1
	.set _ZN9rocsparseL18bsrxmvn_4x4_kernelILj128ELj32EiiiaaiEEvT3_20rocsparse_direction_NS_24const_host_device_scalarIT1_EES1_PKS1_PKT2_SA_S7_PKT4_PKT5_S5_PT6_21rocsparse_index_base_b.uses_flat_scratch, 0
	.set _ZN9rocsparseL18bsrxmvn_4x4_kernelILj128ELj32EiiiaaiEEvT3_20rocsparse_direction_NS_24const_host_device_scalarIT1_EES1_PKS1_PKT2_SA_S7_PKT4_PKT5_S5_PT6_21rocsparse_index_base_b.has_dyn_sized_stack, 0
	.set _ZN9rocsparseL18bsrxmvn_4x4_kernelILj128ELj32EiiiaaiEEvT3_20rocsparse_direction_NS_24const_host_device_scalarIT1_EES1_PKS1_PKT2_SA_S7_PKT4_PKT5_S5_PT6_21rocsparse_index_base_b.has_recursion, 0
	.set _ZN9rocsparseL18bsrxmvn_4x4_kernelILj128ELj32EiiiaaiEEvT3_20rocsparse_direction_NS_24const_host_device_scalarIT1_EES1_PKS1_PKT2_SA_S7_PKT4_PKT5_S5_PT6_21rocsparse_index_base_b.has_indirect_call, 0
	.section	.AMDGPU.csdata,"",@progbits
; Kernel info:
; codeLenInByte = 3812
; TotalNumSgprs: 18
; NumVgprs: 48
; ScratchSize: 0
; MemoryBound: 0
; FloatMode: 240
; IeeeMode: 1
; LDSByteSize: 0 bytes/workgroup (compile time only)
; SGPRBlocks: 0
; VGPRBlocks: 5
; NumSGPRsForWavesPerEU: 18
; NumVGPRsForWavesPerEU: 48
; Occupancy: 16
; WaveLimiterHint : 1
; COMPUTE_PGM_RSRC2:SCRATCH_EN: 0
; COMPUTE_PGM_RSRC2:USER_SGPR: 2
; COMPUTE_PGM_RSRC2:TRAP_HANDLER: 0
; COMPUTE_PGM_RSRC2:TGID_X_EN: 1
; COMPUTE_PGM_RSRC2:TGID_Y_EN: 0
; COMPUTE_PGM_RSRC2:TGID_Z_EN: 0
; COMPUTE_PGM_RSRC2:TIDIG_COMP_CNT: 0
	.section	.text._ZN9rocsparseL18bsrxmvn_4x4_kernelILj128ELj64EiiiaaiEEvT3_20rocsparse_direction_NS_24const_host_device_scalarIT1_EES1_PKS1_PKT2_SA_S7_PKT4_PKT5_S5_PT6_21rocsparse_index_base_b,"axG",@progbits,_ZN9rocsparseL18bsrxmvn_4x4_kernelILj128ELj64EiiiaaiEEvT3_20rocsparse_direction_NS_24const_host_device_scalarIT1_EES1_PKS1_PKT2_SA_S7_PKT4_PKT5_S5_PT6_21rocsparse_index_base_b,comdat
	.globl	_ZN9rocsparseL18bsrxmvn_4x4_kernelILj128ELj64EiiiaaiEEvT3_20rocsparse_direction_NS_24const_host_device_scalarIT1_EES1_PKS1_PKT2_SA_S7_PKT4_PKT5_S5_PT6_21rocsparse_index_base_b ; -- Begin function _ZN9rocsparseL18bsrxmvn_4x4_kernelILj128ELj64EiiiaaiEEvT3_20rocsparse_direction_NS_24const_host_device_scalarIT1_EES1_PKS1_PKT2_SA_S7_PKT4_PKT5_S5_PT6_21rocsparse_index_base_b
	.p2align	8
	.type	_ZN9rocsparseL18bsrxmvn_4x4_kernelILj128ELj64EiiiaaiEEvT3_20rocsparse_direction_NS_24const_host_device_scalarIT1_EES1_PKS1_PKT2_SA_S7_PKT4_PKT5_S5_PT6_21rocsparse_index_base_b,@function
_ZN9rocsparseL18bsrxmvn_4x4_kernelILj128ELj64EiiiaaiEEvT3_20rocsparse_direction_NS_24const_host_device_scalarIT1_EES1_PKS1_PKT2_SA_S7_PKT4_PKT5_S5_PT6_21rocsparse_index_base_b: ; @_ZN9rocsparseL18bsrxmvn_4x4_kernelILj128ELj64EiiiaaiEEvT3_20rocsparse_direction_NS_24const_host_device_scalarIT1_EES1_PKS1_PKT2_SA_S7_PKT4_PKT5_S5_PT6_21rocsparse_index_base_b
; %bb.0:
	s_clause 0x1
	s_load_b64 s[12:13], s[0:1], 0x58
	s_load_b64 s[4:5], s[0:1], 0x8
	s_mov_b32 s7, -1
	s_wait_kmcnt 0x0
	s_bitcmp1_b32 s13, 0
                                        ; implicit-def: $sgpr13
	s_cselect_b32 s2, -1, 0
	s_delay_alu instid0(SALU_CYCLE_1) | instskip(NEXT) | instid1(SALU_CYCLE_1)
	s_xor_b32 s6, s2, -1
	s_and_b32 vcc_lo, exec_lo, s6
	s_cbranch_vccnz .LBB64_4
; %bb.1:
	s_load_b64 s[2:3], s[0:1], 0x48
	s_and_not1_b32 vcc_lo, exec_lo, s7
	s_cbranch_vccz .LBB64_5
.LBB64_2:
	s_and_b32 vcc_lo, exec_lo, s6
	s_cbranch_vccz .LBB64_6
.LBB64_3:
	s_wait_kmcnt 0x0
	s_load_b32 s14, s[2:3], 0x0
	s_cbranch_execz .LBB64_7
	s_branch .LBB64_8
.LBB64_4:
	s_load_b32 s13, s[4:5], 0x0
	s_load_b64 s[2:3], s[0:1], 0x48
	s_cbranch_execnz .LBB64_2
.LBB64_5:
	s_wait_kmcnt 0x0
	s_mov_b32 s13, s4
	s_and_b32 vcc_lo, exec_lo, s6
	s_cbranch_vccnz .LBB64_3
.LBB64_6:
	s_wait_kmcnt 0x0
                                        ; implicit-def: $sgpr14
.LBB64_7:
	s_wait_kmcnt 0x0
	s_mov_b32 s14, s2
.LBB64_8:
	s_cmp_lg_u32 s13, 0
	s_mov_b32 s6, 0
	s_cselect_b32 s2, -1, 0
	s_wait_kmcnt 0x0
	s_cmp_lg_u32 s14, 1
	s_cselect_b32 s3, -1, 0
	s_delay_alu instid0(SALU_CYCLE_1) | instskip(NEXT) | instid1(SALU_CYCLE_1)
	s_or_b32 s2, s2, s3
	s_and_not1_b32 vcc_lo, exec_lo, s2
	s_cbranch_vccnz .LBB64_14
; %bb.9:
	s_clause 0x1
	s_load_b64 s[4:5], s[0:1], 0x18
	s_load_b64 s[2:3], s[0:1], 0x0
	v_lshrrev_b32_e32 v1, 6, v0
	s_delay_alu instid0(VALU_DEP_1)
	v_lshl_or_b32 v3, ttmp9, 1, v1
	s_wait_kmcnt 0x0
	s_cmp_lg_u64 s[4:5], 0
	s_cbranch_scc0 .LBB64_15
; %bb.10:
	s_load_b32 s6, s[0:1], 0x10
	s_mov_b32 s7, 0
                                        ; implicit-def: $vgpr1
	s_wait_kmcnt 0x0
	v_cmp_gt_i32_e32 vcc_lo, s6, v3
	s_mov_b32 s6, 0
	s_and_saveexec_b32 s8, vcc_lo
	s_delay_alu instid0(SALU_CYCLE_1)
	s_xor_b32 s8, exec_lo, s8
	s_cbranch_execz .LBB64_12
; %bb.11:
	v_ashrrev_i32_e32 v4, 31, v3
	s_mov_b32 s6, exec_lo
	s_delay_alu instid0(VALU_DEP_1) | instskip(NEXT) | instid1(VALU_DEP_1)
	v_lshlrev_b64_e32 v[1:2], 2, v[3:4]
	v_add_co_u32 v1, vcc_lo, s4, v1
	s_delay_alu instid0(VALU_DEP_1)
	v_add_co_ci_u32_e64 v2, null, s5, v2, vcc_lo
	global_load_b32 v1, v[1:2], off
	s_wait_loadcnt 0x0
	v_subrev_nc_u32_e32 v1, s12, v1
.LBB64_12:
	s_or_b32 exec_lo, exec_lo, s8
	s_delay_alu instid0(SALU_CYCLE_1)
	s_and_b32 vcc_lo, exec_lo, s7
	s_wait_alu 0xfffe
	s_cbranch_vccz .LBB64_16
.LBB64_13:
	v_cmp_gt_i32_e32 vcc_lo, s2, v3
	s_and_not1_b32 s2, s6, exec_lo
	s_and_b32 s4, vcc_lo, exec_lo
	s_wait_alu 0xfffe
	s_or_b32 s6, s2, s4
	s_wait_alu 0xfffe
	s_and_saveexec_b32 s2, s6
	s_cbranch_execnz .LBB64_17
.LBB64_14:
	s_endpgm
.LBB64_15:
                                        ; implicit-def: $vgpr1
	s_cbranch_execnz .LBB64_13
.LBB64_16:
	v_mov_b32_e32 v3, v1
	s_and_saveexec_b32 s2, s6
	s_cbranch_execz .LBB64_14
.LBB64_17:
	s_load_b256 s[4:11], s[0:1], 0x20
	s_delay_alu instid0(VALU_DEP_1) | instskip(SKIP_1) | instid1(VALU_DEP_2)
	v_ashrrev_i32_e32 v4, 31, v3
	v_and_b32_e32 v8, 63, v0
	v_lshlrev_b64_e32 v[1:2], 2, v[3:4]
	s_wait_kmcnt 0x0
	s_delay_alu instid0(VALU_DEP_1) | instskip(SKIP_1) | instid1(VALU_DEP_2)
	v_add_co_u32 v4, vcc_lo, s4, v1
	s_wait_alu 0xfffd
	v_add_co_ci_u32_e64 v5, null, s5, v2, vcc_lo
	v_add_co_u32 v1, vcc_lo, s6, v1
	s_wait_alu 0xfffd
	v_add_co_ci_u32_e64 v2, null, s7, v2, vcc_lo
	global_load_b32 v14, v[4:5], off
	v_add_co_u32 v4, vcc_lo, v4, 4
	s_wait_alu 0xfffd
	v_add_co_ci_u32_e64 v5, null, 0, v5, vcc_lo
	s_cmp_eq_u64 s[6:7], 0
	s_load_b64 s[6:7], s[0:1], 0x40
	s_cselect_b32 vcc_lo, -1, 0
	s_cmp_eq_u32 s3, 1
	s_wait_alu 0xfffe
	v_dual_cndmask_b32 v2, v2, v5 :: v_dual_cndmask_b32 v1, v1, v4
	global_load_b32 v4, v[1:2], off
	s_wait_loadcnt 0x1
	v_subrev_nc_u32_e32 v0, s12, v14
	s_delay_alu instid0(VALU_DEP_1) | instskip(NEXT) | instid1(VALU_DEP_1)
	v_add_nc_u32_e32 v0, v0, v8
	v_ashrrev_i32_e32 v1, 31, v0
	s_wait_loadcnt 0x0
	v_subrev_nc_u32_e32 v12, s12, v4
	s_delay_alu instid0(VALU_DEP_2) | instskip(NEXT) | instid1(VALU_DEP_2)
	v_lshlrev_b64_e32 v[1:2], 4, v[0:1]
	v_cmp_lt_i32_e64 s2, v0, v12
	s_delay_alu instid0(VALU_DEP_2) | instskip(SKIP_1) | instid1(VALU_DEP_3)
	v_add_co_u32 v4, vcc_lo, s10, v1
	s_wait_alu 0xfffd
	v_add_co_ci_u32_e64 v5, null, s11, v2, vcc_lo
	s_cbranch_scc1 .LBB64_29
; %bb.18:
	v_dual_mov_b32 v11, 0 :: v_dual_mov_b32 v10, 0
	v_mov_b32_e32 v13, 0
	v_mov_b32_e32 v9, 0
	s_and_saveexec_b32 s10, s2
	s_cbranch_execz .LBB64_28
; %bb.19:
	v_mov_b32_e32 v9, 0
	v_add_nc_u32_e32 v1, v14, v8
	v_mov_b32_e32 v7, v5
	v_not_b32_e32 v2, v14
	s_mov_b32 s4, 0
	v_mov_b32_e32 v10, v9
	v_subrev_nc_u32_e32 v1, s12, v1
	s_mov_b32 s3, exec_lo
	s_delay_alu instid0(VALU_DEP_1) | instskip(NEXT) | instid1(VALU_DEP_1)
	v_dual_mov_b32 v6, v4 :: v_dual_add_nc_u32 v1, 64, v1
	v_max_i32_e32 v1, v1, v12
	s_delay_alu instid0(VALU_DEP_1) | instskip(NEXT) | instid1(VALU_DEP_1)
	v_add3_u32 v1, s12, v1, v2
	v_sub_nc_u32_e32 v15, v1, v8
	s_delay_alu instid0(VALU_DEP_1) | instskip(SKIP_2) | instid1(VALU_DEP_3)
	v_dual_mov_b32 v1, v0 :: v_dual_and_b32 v2, 0xc0, v15
	v_mov_b32_e32 v13, v9
	v_mov_b32_e32 v11, v9
	v_cmpx_ne_u32_e32 0xc0, v2
	s_cbranch_execz .LBB64_23
; %bb.20:
	v_lshrrev_b32_e32 v1, 6, v15
	v_mov_b32_e32 v7, v5
	v_mov_b32_e32 v13, 0
	v_dual_mov_b32 v11, 0 :: v_dual_mov_b32 v10, 0
	s_delay_alu instid0(VALU_DEP_4) | instskip(NEXT) | instid1(VALU_DEP_1)
	v_dual_mov_b32 v6, v4 :: v_dual_add_nc_u32 v1, 1, v1
	v_and_b32_e32 v1, 3, v1
	s_delay_alu instid0(VALU_DEP_1)
	v_sub_nc_u32_e32 v16, 0, v1
	v_mov_b32_e32 v1, v0
.LBB64_21:                              ; =>This Inner Loop Header: Depth=1
	s_delay_alu instid0(VALU_DEP_1) | instskip(NEXT) | instid1(VALU_DEP_3)
	v_ashrrev_i32_e32 v2, 31, v1
	v_add_co_u32 v16, s5, v16, 1
	s_wait_alu 0xfffe
	s_or_b32 s4, s5, s4
	s_delay_alu instid0(VALU_DEP_2) | instskip(SKIP_1) | instid1(VALU_DEP_2)
	v_lshlrev_b64_e32 v[17:18], 2, v[1:2]
	v_add_nc_u32_e32 v1, 64, v1
	v_add_co_u32 v17, vcc_lo, s8, v17
	s_wait_alu 0xfffd
	s_delay_alu instid0(VALU_DEP_3) | instskip(SKIP_3) | instid1(VALU_DEP_1)
	v_add_co_ci_u32_e64 v18, null, s9, v18, vcc_lo
	global_load_b32 v2, v[17:18], off
	s_wait_loadcnt 0x0
	v_subrev_nc_u32_e32 v2, s12, v2
	v_lshlrev_b32_e32 v2, 2, v2
	s_delay_alu instid0(VALU_DEP_1) | instskip(SKIP_3) | instid1(VALU_DEP_2)
	v_ashrrev_i32_e32 v17, 31, v2
	s_wait_kmcnt 0x0
	v_add_co_u32 v21, vcc_lo, s6, v2
	s_wait_alu 0xfffd
	v_add_co_ci_u32_e64 v22, null, s7, v17, vcc_lo
	global_load_b128 v[17:20], v[6:7], off
	global_load_b32 v2, v[21:22], off
	v_add_co_u32 v6, vcc_lo, 0x400, v6
	s_wait_alu 0xfffd
	v_add_co_ci_u32_e64 v7, null, 0, v7, vcc_lo
	s_wait_loadcnt 0x0
	v_dot4_i32_iu8 v11, v2, v20, v11 neg_lo:[1,1,0]
	v_dot4_i32_iu8 v13, v2, v19, v13 neg_lo:[1,1,0]
	;; [unrolled: 1-line block ×4, first 2 shown]
	s_wait_alu 0xfffe
	s_and_not1_b32 exec_lo, exec_lo, s4
	s_cbranch_execnz .LBB64_21
; %bb.22:
	s_or_b32 exec_lo, exec_lo, s4
.LBB64_23:
	s_wait_alu 0xfffe
	s_or_b32 exec_lo, exec_lo, s3
	s_delay_alu instid0(SALU_CYCLE_1)
	s_mov_b32 s11, exec_lo
	v_cmpx_lt_u32_e32 0xbf, v15
	s_cbranch_execz .LBB64_27
; %bb.24:
	s_mov_b32 s15, 0
.LBB64_25:                              ; =>This Inner Loop Header: Depth=1
	v_ashrrev_i32_e32 v2, 31, v1
	s_delay_alu instid0(VALU_DEP_1) | instskip(SKIP_1) | instid1(VALU_DEP_2)
	v_lshlrev_b64_e32 v[15:16], 2, v[1:2]
	v_add_nc_u32_e32 v1, 0x100, v1
	v_add_co_u32 v15, vcc_lo, s8, v15
	s_wait_alu 0xfffd
	s_delay_alu instid0(VALU_DEP_3)
	v_add_co_ci_u32_e64 v16, null, s9, v16, vcc_lo
	s_clause 0x3
	global_load_b32 v2, v[15:16], off
	global_load_b32 v27, v[15:16], off offset:256
	global_load_b32 v28, v[15:16], off offset:512
	;; [unrolled: 1-line block ×3, first 2 shown]
	s_clause 0x2
	global_load_b128 v[15:18], v[6:7], off
	global_load_b128 v[19:22], v[6:7], off offset:1024
	global_load_b128 v[23:26], v[6:7], off offset:2048
	s_wait_loadcnt 0x6
	v_subrev_nc_u32_e32 v2, s12, v2
	s_wait_loadcnt 0x5
	v_subrev_nc_u32_e32 v27, s12, v27
	;; [unrolled: 2-line block ×4, first 2 shown]
	v_lshlrev_b32_e32 v2, 2, v2
	v_lshlrev_b32_e32 v27, 2, v27
	;; [unrolled: 1-line block ×3, first 2 shown]
	s_delay_alu instid0(VALU_DEP_4) | instskip(NEXT) | instid1(VALU_DEP_4)
	v_lshlrev_b32_e32 v30, 2, v29
	v_ashrrev_i32_e32 v33, 31, v2
	s_wait_kmcnt 0x0
	v_add_co_u32 v32, s5, s6, v2
	v_ashrrev_i32_e32 v34, 31, v27
	v_add_co_u32 v27, vcc_lo, s6, v27
	s_wait_alu 0xf1ff
	v_add_co_ci_u32_e64 v33, null, s7, v33, s5
	v_ashrrev_i32_e32 v35, 31, v28
	v_add_co_u32 v29, s3, s6, v28
	s_wait_alu 0xfffd
	v_add_co_ci_u32_e64 v28, null, s7, v34, vcc_lo
	global_load_b32 v2, v[32:33], off
	v_ashrrev_i32_e32 v36, 31, v30
	v_add_co_u32 v31, s4, s6, v30
	global_load_b32 v33, v[27:28], off
	s_wait_alu 0xf1ff
	v_add_co_ci_u32_e64 v30, null, s7, v35, s3
	v_add_co_ci_u32_e64 v32, null, s7, v36, s4
	global_load_b32 v34, v[29:30], off
	global_load_b128 v[27:30], v[6:7], off offset:3072
	global_load_b32 v31, v[31:32], off
	v_add_co_u32 v6, vcc_lo, 0x1000, v6
	s_wait_alu 0xfffd
	v_add_co_ci_u32_e64 v7, null, 0, v7, vcc_lo
	v_cmp_ge_i32_e32 vcc_lo, v1, v12
	s_or_b32 s15, vcc_lo, s15
	s_wait_loadcnt 0x4
	v_dot4_i32_iu8 v9, v2, v15, v9 neg_lo:[1,1,0]
	v_dot4_i32_iu8 v11, v2, v18, v11 neg_lo:[1,1,0]
	v_dot4_i32_iu8 v13, v2, v17, v13 neg_lo:[1,1,0]
	v_dot4_i32_iu8 v2, v2, v16, v10 neg_lo:[1,1,0]
	s_wait_loadcnt 0x3
	v_dot4_i32_iu8 v9, v33, v19, v9 neg_lo:[1,1,0]
	v_dot4_i32_iu8 v10, v33, v22, v11 neg_lo:[1,1,0]
	v_dot4_i32_iu8 v11, v33, v21, v13 neg_lo:[1,1,0]
	v_dot4_i32_iu8 v2, v33, v20, v2 neg_lo:[1,1,0]
	;; [unrolled: 5-line block ×4, first 2 shown]
	s_and_not1_b32 exec_lo, exec_lo, s15
	s_cbranch_execnz .LBB64_25
; %bb.26:
	s_or_b32 exec_lo, exec_lo, s15
.LBB64_27:
	s_wait_alu 0xfffe
	s_or_b32 exec_lo, exec_lo, s11
.LBB64_28:
	s_wait_alu 0xfffe
	s_or_b32 exec_lo, exec_lo, s10
	s_cbranch_execz .LBB64_30
	s_branch .LBB64_41
.LBB64_29:
                                        ; implicit-def: $vgpr11
                                        ; implicit-def: $vgpr9
                                        ; implicit-def: $vgpr10
                                        ; implicit-def: $vgpr13
.LBB64_30:
	v_dual_mov_b32 v11, 0 :: v_dual_mov_b32 v10, 0
	v_mov_b32_e32 v13, 0
	v_mov_b32_e32 v9, 0
	s_and_saveexec_b32 s5, s2
	s_cbranch_execz .LBB64_40
; %bb.31:
	v_mov_b32_e32 v9, 0
	v_add_nc_u32_e32 v1, v14, v8
	v_not_b32_e32 v2, v14
	s_mov_b32 s3, 0
	s_mov_b32 s2, exec_lo
	v_mov_b32_e32 v10, v9
	v_subrev_nc_u32_e32 v1, s12, v1
	v_mov_b32_e32 v13, v9
	v_mov_b32_e32 v11, v9
	s_delay_alu instid0(VALU_DEP_3) | instskip(NEXT) | instid1(VALU_DEP_1)
	v_add_nc_u32_e32 v1, 64, v1
	v_max_i32_e32 v1, v1, v12
	s_delay_alu instid0(VALU_DEP_1) | instskip(NEXT) | instid1(VALU_DEP_1)
	v_add3_u32 v1, s12, v1, v2
	v_sub_nc_u32_e32 v2, v1, v8
	s_delay_alu instid0(VALU_DEP_1) | instskip(NEXT) | instid1(VALU_DEP_1)
	v_and_b32_e32 v1, 0xc0, v2
	v_cmpx_ne_u32_e32 0xc0, v1
	s_cbranch_execz .LBB64_35
; %bb.32:
	v_lshrrev_b32_e32 v1, 6, v2
	v_mov_b32_e32 v13, 0
	v_dual_mov_b32 v11, 0 :: v_dual_mov_b32 v10, 0
	s_delay_alu instid0(VALU_DEP_3) | instskip(NEXT) | instid1(VALU_DEP_1)
	v_add_nc_u32_e32 v1, 1, v1
	v_and_b32_e32 v1, 3, v1
	s_delay_alu instid0(VALU_DEP_1)
	v_sub_nc_u32_e32 v6, 0, v1
.LBB64_33:                              ; =>This Inner Loop Header: Depth=1
	v_ashrrev_i32_e32 v1, 31, v0
	s_delay_alu instid0(VALU_DEP_2) | instskip(SKIP_2) | instid1(VALU_DEP_2)
	v_add_co_u32 v6, s4, v6, 1
	s_wait_alu 0xfffe
	s_or_b32 s3, s4, s3
	v_lshlrev_b64_e32 v[14:15], 2, v[0:1]
	v_add_nc_u32_e32 v0, 64, v0
	s_delay_alu instid0(VALU_DEP_2) | instskip(SKIP_1) | instid1(VALU_DEP_3)
	v_add_co_u32 v14, vcc_lo, s8, v14
	s_wait_alu 0xfffd
	v_add_co_ci_u32_e64 v15, null, s9, v15, vcc_lo
	global_load_b32 v1, v[14:15], off
	global_load_b128 v[14:17], v[4:5], off
	s_wait_loadcnt 0x1
	v_subrev_nc_u32_e32 v1, s12, v1
	s_wait_loadcnt 0x0
	v_perm_b32 v20, v17, v16, 0x6020c0c
	v_perm_b32 v21, v15, v14, 0xc0c0501
	v_perm_b32 v22, v17, v16, 0x5010c0c
	v_lshlrev_b32_e32 v1, 2, v1
	s_delay_alu instid0(VALU_DEP_1) | instskip(SKIP_3) | instid1(VALU_DEP_2)
	v_ashrrev_i32_e32 v7, 31, v1
	s_wait_kmcnt 0x0
	v_add_co_u32 v18, vcc_lo, s6, v1
	s_wait_alu 0xfffd
	v_add_co_ci_u32_e64 v19, null, s7, v7, vcc_lo
	v_perm_b32 v7, v15, v14, 0xc0c0703
	v_add_co_u32 v4, vcc_lo, 0x400, v4
	global_load_b32 v1, v[18:19], off
	v_perm_b32 v18, v17, v16, 0x7030c0c
	v_perm_b32 v19, v15, v14, 0xc0c0602
	;; [unrolled: 1-line block ×4, first 2 shown]
	v_or_b32_e32 v17, v22, v21
	v_or_b32_e32 v7, v18, v7
	;; [unrolled: 1-line block ×3, first 2 shown]
	s_wait_alu 0xfffd
	v_add_co_ci_u32_e64 v5, null, 0, v5, vcc_lo
	v_or_b32_e32 v14, v15, v14
	s_wait_loadcnt 0x0
	v_dot4_i32_iu8 v11, v1, v7, v11 neg_lo:[1,1,0]
	v_dot4_i32_iu8 v13, v1, v16, v13 neg_lo:[1,1,0]
	v_dot4_i32_iu8 v10, v1, v17, v10 neg_lo:[1,1,0]
	v_dot4_i32_iu8 v9, v1, v14, v9 neg_lo:[1,1,0]
	s_wait_alu 0xfffe
	s_and_not1_b32 exec_lo, exec_lo, s3
	s_cbranch_execnz .LBB64_33
; %bb.34:
	s_or_b32 exec_lo, exec_lo, s3
.LBB64_35:
	s_wait_alu 0xfffe
	s_or_b32 exec_lo, exec_lo, s2
	s_delay_alu instid0(SALU_CYCLE_1)
	s_mov_b32 s10, exec_lo
	v_cmpx_lt_u32_e32 0xbf, v2
	s_cbranch_execz .LBB64_39
; %bb.36:
	s_mov_b32 s11, 0
.LBB64_37:                              ; =>This Inner Loop Header: Depth=1
	v_ashrrev_i32_e32 v1, 31, v0
	s_delay_alu instid0(VALU_DEP_1) | instskip(SKIP_1) | instid1(VALU_DEP_2)
	v_lshlrev_b64_e32 v[1:2], 2, v[0:1]
	v_add_nc_u32_e32 v0, 0x100, v0
	v_add_co_u32 v1, vcc_lo, s8, v1
	s_wait_alu 0xfffd
	s_delay_alu instid0(VALU_DEP_3)
	v_add_co_ci_u32_e64 v2, null, s9, v2, vcc_lo
	s_clause 0x3
	global_load_b32 v6, v[1:2], off
	global_load_b32 v7, v[1:2], off offset:256
	global_load_b32 v30, v[1:2], off offset:512
	;; [unrolled: 1-line block ×3, first 2 shown]
	s_clause 0x3
	global_load_b128 v[14:17], v[4:5], off
	global_load_b128 v[18:21], v[4:5], off offset:1024
	global_load_b128 v[22:25], v[4:5], off offset:2048
	;; [unrolled: 1-line block ×3, first 2 shown]
	s_wait_loadcnt 0x7
	v_subrev_nc_u32_e32 v2, s12, v6
	s_wait_loadcnt 0x6
	v_subrev_nc_u32_e32 v6, s12, v7
	;; [unrolled: 2-line block ×4, first 2 shown]
	v_lshlrev_b32_e32 v2, 2, v2
	v_lshlrev_b32_e32 v6, 2, v6
	;; [unrolled: 1-line block ×3, first 2 shown]
	s_delay_alu instid0(VALU_DEP_4)
	v_lshlrev_b32_e32 v30, 2, v1
	s_wait_loadcnt 0x2
	v_perm_b32 v36, v19, v18, 0xc0c0602
	v_ashrrev_i32_e32 v32, 31, v2
	s_wait_kmcnt 0x0
	v_add_co_u32 v31, s4, s6, v2
	v_ashrrev_i32_e32 v33, 31, v6
	v_add_co_u32 v1, vcc_lo, s6, v6
	s_wait_alu 0xf1ff
	v_add_co_ci_u32_e64 v32, null, s7, v32, s4
	s_wait_alu 0xfffd
	v_add_co_ci_u32_e64 v2, null, s7, v33, vcc_lo
	v_ashrrev_i32_e32 v34, 31, v7
	global_load_b32 v32, v[31:32], off
	v_ashrrev_i32_e32 v35, 31, v30
	v_add_co_u32 v6, s2, s6, v7
	v_add_co_u32 v30, s3, s6, v30
	global_load_b32 v1, v[1:2], off
	s_wait_alu 0xf1ff
	v_add_co_ci_u32_e64 v7, null, s7, v34, s2
	v_add_co_ci_u32_e64 v31, null, s7, v35, s3
	s_clause 0x1
	global_load_b32 v2, v[6:7], off
	global_load_b32 v6, v[30:31], off
	v_perm_b32 v7, v15, v14, 0xc0c0400
	v_perm_b32 v30, v17, v16, 0x4000c0c
	v_perm_b32 v31, v15, v14, 0xc0c0501
	v_perm_b32 v33, v17, v16, 0x5010c0c
	v_perm_b32 v34, v15, v14, 0xc0c0602
	v_perm_b32 v35, v17, v16, 0x6020c0c
	v_perm_b32 v14, v15, v14, 0xc0c0703
	v_perm_b32 v15, v17, v16, 0x7030c0c
	v_perm_b32 v16, v19, v18, 0xc0c0703
	v_perm_b32 v17, v21, v20, 0x7030c0c
	v_perm_b32 v37, v21, v20, 0x6020c0c
	v_perm_b32 v38, v19, v18, 0xc0c0501
	v_perm_b32 v39, v21, v20, 0x5010c0c
	v_perm_b32 v18, v19, v18, 0xc0c0400
	v_perm_b32 v19, v21, v20, 0x4000c0c
	s_wait_loadcnt 0x5
	v_perm_b32 v20, v23, v22, 0xc0c0400
	v_perm_b32 v21, v25, v24, 0x4000c0c
	;; [unrolled: 1-line block ×8, first 2 shown]
	s_wait_loadcnt 0x4
	v_perm_b32 v24, v27, v26, 0xc0c0703
	v_perm_b32 v25, v29, v28, 0x7030c0c
	;; [unrolled: 1-line block ×8, first 2 shown]
	v_or_b32_e32 v7, v30, v7
	v_or_b32_e32 v28, v33, v31
	;; [unrolled: 1-line block ×14, first 2 shown]
	v_add_co_u32 v4, vcc_lo, 0x1000, v4
	s_wait_alu 0xfffd
	v_add_co_ci_u32_e64 v5, null, 0, v5, vcc_lo
	v_cmp_ge_i32_e32 vcc_lo, v0, v12
	s_wait_alu 0xfffe
	s_or_b32 s11, vcc_lo, s11
	s_wait_loadcnt 0x3
	v_dot4_i32_iu8 v11, v32, v14, v11 neg_lo:[1,1,0]
	v_dot4_i32_iu8 v13, v32, v29, v13 neg_lo:[1,1,0]
	;; [unrolled: 1-line block ×4, first 2 shown]
	v_or_b32_e32 v9, v47, v46
	s_wait_loadcnt 0x2
	v_dot4_i32_iu8 v11, v1, v15, v11 neg_lo:[1,1,0]
	v_dot4_i32_iu8 v13, v1, v16, v13 neg_lo:[1,1,0]
	;; [unrolled: 1-line block ×4, first 2 shown]
	v_or_b32_e32 v7, v27, v26
	s_wait_loadcnt 0x1
	v_dot4_i32_iu8 v11, v2, v22, v11 neg_lo:[1,1,0]
	v_dot4_i32_iu8 v13, v2, v21, v13 neg_lo:[1,1,0]
	;; [unrolled: 1-line block ×4, first 2 shown]
	s_wait_loadcnt 0x0
	v_dot4_i32_iu8 v11, v6, v23, v11 neg_lo:[1,1,0]
	v_dot4_i32_iu8 v13, v6, v24, v13 neg_lo:[1,1,0]
	;; [unrolled: 1-line block ×4, first 2 shown]
	s_wait_alu 0xfffe
	s_and_not1_b32 exec_lo, exec_lo, s11
	s_cbranch_execnz .LBB64_37
; %bb.38:
	s_or_b32 exec_lo, exec_lo, s11
.LBB64_39:
	s_wait_alu 0xfffe
	s_or_b32 exec_lo, exec_lo, s10
.LBB64_40:
	s_wait_alu 0xfffe
	s_or_b32 exec_lo, exec_lo, s5
.LBB64_41:
	v_mbcnt_lo_u32_b32 v0, -1, 0
	s_mov_b32 s2, -1
	s_delay_alu instid0(VALU_DEP_1) | instskip(SKIP_1) | instid1(VALU_DEP_2)
	v_or_b32_e32 v1, 32, v0
	v_xor_b32_e32 v6, 16, v0
	v_cmp_gt_i32_e32 vcc_lo, 32, v1
	s_wait_alu 0xfffd
	v_cndmask_b32_e32 v1, v0, v1, vcc_lo
	s_delay_alu instid0(VALU_DEP_3) | instskip(SKIP_2) | instid1(VALU_DEP_1)
	v_cmp_gt_i32_e32 vcc_lo, 32, v6
	s_wait_alu 0xfffd
	v_cndmask_b32_e32 v6, v0, v6, vcc_lo
	v_lshlrev_b32_e32 v6, 2, v6
	v_lshlrev_b32_e32 v1, 2, v1
	ds_bpermute_b32 v2, v1, v9
	ds_bpermute_b32 v4, v1, v10
	;; [unrolled: 1-line block ×4, first 2 shown]
	s_wait_dscnt 0x2
	v_add_nc_u32_e32 v4, v4, v10
	s_wait_dscnt 0x1
	v_add_nc_u32_e32 v5, v5, v13
	;; [unrolled: 2-line block ×3, first 2 shown]
	v_xor_b32_e32 v11, 8, v0
	ds_bpermute_b32 v10, v6, v5
	v_cmp_gt_i32_e32 vcc_lo, 32, v11
	v_add_nc_u32_e32 v2, v2, v9
	ds_bpermute_b32 v9, v6, v4
	s_wait_alu 0xfffd
	v_cndmask_b32_e32 v11, v0, v11, vcc_lo
	ds_bpermute_b32 v7, v6, v2
	ds_bpermute_b32 v6, v6, v1
	v_lshlrev_b32_e32 v11, 2, v11
	s_wait_dscnt 0x3
	v_add_nc_u32_e32 v5, v10, v5
	s_wait_dscnt 0x2
	v_add_nc_u32_e32 v4, v9, v4
	ds_bpermute_b32 v9, v11, v5
	s_wait_dscnt 0x2
	v_add_nc_u32_e32 v2, v7, v2
	s_wait_dscnt 0x1
	v_add_nc_u32_e32 v1, v6, v1
	ds_bpermute_b32 v7, v11, v4
	ds_bpermute_b32 v6, v11, v2
	;; [unrolled: 1-line block ×3, first 2 shown]
	v_xor_b32_e32 v11, 4, v0
	s_delay_alu instid0(VALU_DEP_1) | instskip(SKIP_4) | instid1(VALU_DEP_2)
	v_cmp_gt_i32_e32 vcc_lo, 32, v11
	s_wait_alu 0xfffd
	v_cndmask_b32_e32 v11, v0, v11, vcc_lo
	s_wait_dscnt 0x3
	v_add_nc_u32_e32 v5, v9, v5
	v_lshlrev_b32_e32 v11, 2, v11
	s_wait_dscnt 0x2
	v_add_nc_u32_e32 v4, v7, v4
	s_wait_dscnt 0x1
	v_add_nc_u32_e32 v2, v6, v2
	;; [unrolled: 2-line block ×3, first 2 shown]
	ds_bpermute_b32 v9, v11, v5
	ds_bpermute_b32 v7, v11, v4
	;; [unrolled: 1-line block ×4, first 2 shown]
	v_xor_b32_e32 v11, 2, v0
	s_delay_alu instid0(VALU_DEP_1) | instskip(SKIP_2) | instid1(VALU_DEP_1)
	v_cmp_gt_i32_e32 vcc_lo, 32, v11
	s_wait_alu 0xfffd
	v_cndmask_b32_e32 v11, v0, v11, vcc_lo
	v_lshlrev_b32_e32 v11, 2, v11
	s_wait_dscnt 0x2
	v_add_nc_u32_e32 v4, v7, v4
	v_add_nc_u32_e32 v5, v9, v5
	s_wait_dscnt 0x1
	v_add_nc_u32_e32 v2, v6, v2
	s_wait_dscnt 0x0
	v_add_nc_u32_e32 v6, v10, v1
	ds_bpermute_b32 v7, v11, v4
	ds_bpermute_b32 v9, v11, v5
	;; [unrolled: 1-line block ×4, first 2 shown]
	v_xor_b32_e32 v11, 1, v0
	s_delay_alu instid0(VALU_DEP_1) | instskip(SKIP_3) | instid1(VALU_DEP_2)
	v_cmp_gt_i32_e32 vcc_lo, 32, v11
	s_wait_alu 0xfffd
	v_cndmask_b32_e32 v0, v0, v11, vcc_lo
	v_cmp_eq_u32_e32 vcc_lo, 63, v8
	v_lshlrev_b32_e32 v11, 2, v0
	s_wait_dscnt 0x1
	v_add_nc_u32_e32 v0, v1, v2
	v_add_nc_u32_e32 v1, v7, v4
	;; [unrolled: 1-line block ×3, first 2 shown]
	s_wait_dscnt 0x0
	v_add_nc_u32_e32 v4, v10, v6
	ds_bpermute_b32 v5, v11, v0
	ds_bpermute_b32 v6, v11, v1
	;; [unrolled: 1-line block ×4, first 2 shown]
	s_and_b32 exec_lo, exec_lo, vcc_lo
	s_cbranch_execz .LBB64_14
; %bb.42:
	s_load_b64 s[0:1], s[0:1], 0x50
	s_wait_dscnt 0x3
	v_add_nc_u32_e32 v0, v5, v0
	s_wait_dscnt 0x2
	v_add_nc_u32_e32 v1, v6, v1
	;; [unrolled: 2-line block ×4, first 2 shown]
	v_lshlrev_b32_e32 v5, 2, v3
	v_mul_lo_u32 v0, v0, s13
	v_mul_lo_u32 v1, v1, s13
	;; [unrolled: 1-line block ×4, first 2 shown]
	s_cmp_eq_u32 s14, 0
	s_cbranch_scc1 .LBB64_44
; %bb.43:
	v_ashrrev_i32_e32 v6, 31, v5
	s_mov_b32 s2, 0
	s_delay_alu instid0(VALU_DEP_1) | instskip(SKIP_1) | instid1(VALU_DEP_1)
	v_lshlrev_b64_e32 v[6:7], 2, v[5:6]
	s_wait_kmcnt 0x0
	v_add_co_u32 v13, vcc_lo, s0, v6
	s_wait_alu 0xfffd
	s_delay_alu instid0(VALU_DEP_2)
	v_add_co_ci_u32_e64 v14, null, s1, v7, vcc_lo
	global_load_b128 v[6:9], v[13:14], off
	s_wait_loadcnt 0x0
	v_mad_co_u64_u32 v[15:16], null, v9, s14, v[4:5]
	v_mad_co_u64_u32 v[9:10], null, v6, s14, v[0:1]
	;; [unrolled: 1-line block ×4, first 2 shown]
	s_delay_alu instid0(VALU_DEP_4)
	v_mov_b32_e32 v12, v15
	global_store_b128 v[13:14], v[9:12], off
.LBB64_44:
	s_wait_alu 0xfffe
	s_and_not1_b32 vcc_lo, exec_lo, s2
	s_wait_alu 0xfffe
	s_cbranch_vccnz .LBB64_14
; %bb.45:
	v_ashrrev_i32_e32 v6, 31, v5
	v_mov_b32_e32 v3, v4
	s_delay_alu instid0(VALU_DEP_2) | instskip(SKIP_1) | instid1(VALU_DEP_1)
	v_lshlrev_b64_e32 v[5:6], 2, v[5:6]
	s_wait_kmcnt 0x0
	v_add_co_u32 v5, vcc_lo, s0, v5
	s_wait_alu 0xfffd
	s_delay_alu instid0(VALU_DEP_2)
	v_add_co_ci_u32_e64 v6, null, s1, v6, vcc_lo
	global_store_b128 v[5:6], v[0:3], off
	s_endpgm
	.section	.rodata,"a",@progbits
	.p2align	6, 0x0
	.amdhsa_kernel _ZN9rocsparseL18bsrxmvn_4x4_kernelILj128ELj64EiiiaaiEEvT3_20rocsparse_direction_NS_24const_host_device_scalarIT1_EES1_PKS1_PKT2_SA_S7_PKT4_PKT5_S5_PT6_21rocsparse_index_base_b
		.amdhsa_group_segment_fixed_size 0
		.amdhsa_private_segment_fixed_size 0
		.amdhsa_kernarg_size 96
		.amdhsa_user_sgpr_count 2
		.amdhsa_user_sgpr_dispatch_ptr 0
		.amdhsa_user_sgpr_queue_ptr 0
		.amdhsa_user_sgpr_kernarg_segment_ptr 1
		.amdhsa_user_sgpr_dispatch_id 0
		.amdhsa_user_sgpr_private_segment_size 0
		.amdhsa_wavefront_size32 1
		.amdhsa_uses_dynamic_stack 0
		.amdhsa_enable_private_segment 0
		.amdhsa_system_sgpr_workgroup_id_x 1
		.amdhsa_system_sgpr_workgroup_id_y 0
		.amdhsa_system_sgpr_workgroup_id_z 0
		.amdhsa_system_sgpr_workgroup_info 0
		.amdhsa_system_vgpr_workitem_id 0
		.amdhsa_next_free_vgpr 48
		.amdhsa_next_free_sgpr 16
		.amdhsa_reserve_vcc 1
		.amdhsa_float_round_mode_32 0
		.amdhsa_float_round_mode_16_64 0
		.amdhsa_float_denorm_mode_32 3
		.amdhsa_float_denorm_mode_16_64 3
		.amdhsa_fp16_overflow 0
		.amdhsa_workgroup_processor_mode 1
		.amdhsa_memory_ordered 1
		.amdhsa_forward_progress 1
		.amdhsa_inst_pref_size 31
		.amdhsa_round_robin_scheduling 0
		.amdhsa_exception_fp_ieee_invalid_op 0
		.amdhsa_exception_fp_denorm_src 0
		.amdhsa_exception_fp_ieee_div_zero 0
		.amdhsa_exception_fp_ieee_overflow 0
		.amdhsa_exception_fp_ieee_underflow 0
		.amdhsa_exception_fp_ieee_inexact 0
		.amdhsa_exception_int_div_zero 0
	.end_amdhsa_kernel
	.section	.text._ZN9rocsparseL18bsrxmvn_4x4_kernelILj128ELj64EiiiaaiEEvT3_20rocsparse_direction_NS_24const_host_device_scalarIT1_EES1_PKS1_PKT2_SA_S7_PKT4_PKT5_S5_PT6_21rocsparse_index_base_b,"axG",@progbits,_ZN9rocsparseL18bsrxmvn_4x4_kernelILj128ELj64EiiiaaiEEvT3_20rocsparse_direction_NS_24const_host_device_scalarIT1_EES1_PKS1_PKT2_SA_S7_PKT4_PKT5_S5_PT6_21rocsparse_index_base_b,comdat
.Lfunc_end64:
	.size	_ZN9rocsparseL18bsrxmvn_4x4_kernelILj128ELj64EiiiaaiEEvT3_20rocsparse_direction_NS_24const_host_device_scalarIT1_EES1_PKS1_PKT2_SA_S7_PKT4_PKT5_S5_PT6_21rocsparse_index_base_b, .Lfunc_end64-_ZN9rocsparseL18bsrxmvn_4x4_kernelILj128ELj64EiiiaaiEEvT3_20rocsparse_direction_NS_24const_host_device_scalarIT1_EES1_PKS1_PKT2_SA_S7_PKT4_PKT5_S5_PT6_21rocsparse_index_base_b
                                        ; -- End function
	.set _ZN9rocsparseL18bsrxmvn_4x4_kernelILj128ELj64EiiiaaiEEvT3_20rocsparse_direction_NS_24const_host_device_scalarIT1_EES1_PKS1_PKT2_SA_S7_PKT4_PKT5_S5_PT6_21rocsparse_index_base_b.num_vgpr, 48
	.set _ZN9rocsparseL18bsrxmvn_4x4_kernelILj128ELj64EiiiaaiEEvT3_20rocsparse_direction_NS_24const_host_device_scalarIT1_EES1_PKS1_PKT2_SA_S7_PKT4_PKT5_S5_PT6_21rocsparse_index_base_b.num_agpr, 0
	.set _ZN9rocsparseL18bsrxmvn_4x4_kernelILj128ELj64EiiiaaiEEvT3_20rocsparse_direction_NS_24const_host_device_scalarIT1_EES1_PKS1_PKT2_SA_S7_PKT4_PKT5_S5_PT6_21rocsparse_index_base_b.numbered_sgpr, 16
	.set _ZN9rocsparseL18bsrxmvn_4x4_kernelILj128ELj64EiiiaaiEEvT3_20rocsparse_direction_NS_24const_host_device_scalarIT1_EES1_PKS1_PKT2_SA_S7_PKT4_PKT5_S5_PT6_21rocsparse_index_base_b.num_named_barrier, 0
	.set _ZN9rocsparseL18bsrxmvn_4x4_kernelILj128ELj64EiiiaaiEEvT3_20rocsparse_direction_NS_24const_host_device_scalarIT1_EES1_PKS1_PKT2_SA_S7_PKT4_PKT5_S5_PT6_21rocsparse_index_base_b.private_seg_size, 0
	.set _ZN9rocsparseL18bsrxmvn_4x4_kernelILj128ELj64EiiiaaiEEvT3_20rocsparse_direction_NS_24const_host_device_scalarIT1_EES1_PKS1_PKT2_SA_S7_PKT4_PKT5_S5_PT6_21rocsparse_index_base_b.uses_vcc, 1
	.set _ZN9rocsparseL18bsrxmvn_4x4_kernelILj128ELj64EiiiaaiEEvT3_20rocsparse_direction_NS_24const_host_device_scalarIT1_EES1_PKS1_PKT2_SA_S7_PKT4_PKT5_S5_PT6_21rocsparse_index_base_b.uses_flat_scratch, 0
	.set _ZN9rocsparseL18bsrxmvn_4x4_kernelILj128ELj64EiiiaaiEEvT3_20rocsparse_direction_NS_24const_host_device_scalarIT1_EES1_PKS1_PKT2_SA_S7_PKT4_PKT5_S5_PT6_21rocsparse_index_base_b.has_dyn_sized_stack, 0
	.set _ZN9rocsparseL18bsrxmvn_4x4_kernelILj128ELj64EiiiaaiEEvT3_20rocsparse_direction_NS_24const_host_device_scalarIT1_EES1_PKS1_PKT2_SA_S7_PKT4_PKT5_S5_PT6_21rocsparse_index_base_b.has_recursion, 0
	.set _ZN9rocsparseL18bsrxmvn_4x4_kernelILj128ELj64EiiiaaiEEvT3_20rocsparse_direction_NS_24const_host_device_scalarIT1_EES1_PKS1_PKT2_SA_S7_PKT4_PKT5_S5_PT6_21rocsparse_index_base_b.has_indirect_call, 0
	.section	.AMDGPU.csdata,"",@progbits
; Kernel info:
; codeLenInByte = 3896
; TotalNumSgprs: 18
; NumVgprs: 48
; ScratchSize: 0
; MemoryBound: 0
; FloatMode: 240
; IeeeMode: 1
; LDSByteSize: 0 bytes/workgroup (compile time only)
; SGPRBlocks: 0
; VGPRBlocks: 5
; NumSGPRsForWavesPerEU: 18
; NumVGPRsForWavesPerEU: 48
; Occupancy: 16
; WaveLimiterHint : 1
; COMPUTE_PGM_RSRC2:SCRATCH_EN: 0
; COMPUTE_PGM_RSRC2:USER_SGPR: 2
; COMPUTE_PGM_RSRC2:TRAP_HANDLER: 0
; COMPUTE_PGM_RSRC2:TGID_X_EN: 1
; COMPUTE_PGM_RSRC2:TGID_Y_EN: 0
; COMPUTE_PGM_RSRC2:TGID_Z_EN: 0
; COMPUTE_PGM_RSRC2:TIDIG_COMP_CNT: 0
	.section	.text._ZN9rocsparseL18bsrxmvn_4x4_kernelILj128ELj4EiliaaiEEvT3_20rocsparse_direction_NS_24const_host_device_scalarIT1_EES1_PKS1_PKT2_SA_S7_PKT4_PKT5_S5_PT6_21rocsparse_index_base_b,"axG",@progbits,_ZN9rocsparseL18bsrxmvn_4x4_kernelILj128ELj4EiliaaiEEvT3_20rocsparse_direction_NS_24const_host_device_scalarIT1_EES1_PKS1_PKT2_SA_S7_PKT4_PKT5_S5_PT6_21rocsparse_index_base_b,comdat
	.globl	_ZN9rocsparseL18bsrxmvn_4x4_kernelILj128ELj4EiliaaiEEvT3_20rocsparse_direction_NS_24const_host_device_scalarIT1_EES1_PKS1_PKT2_SA_S7_PKT4_PKT5_S5_PT6_21rocsparse_index_base_b ; -- Begin function _ZN9rocsparseL18bsrxmvn_4x4_kernelILj128ELj4EiliaaiEEvT3_20rocsparse_direction_NS_24const_host_device_scalarIT1_EES1_PKS1_PKT2_SA_S7_PKT4_PKT5_S5_PT6_21rocsparse_index_base_b
	.p2align	8
	.type	_ZN9rocsparseL18bsrxmvn_4x4_kernelILj128ELj4EiliaaiEEvT3_20rocsparse_direction_NS_24const_host_device_scalarIT1_EES1_PKS1_PKT2_SA_S7_PKT4_PKT5_S5_PT6_21rocsparse_index_base_b,@function
_ZN9rocsparseL18bsrxmvn_4x4_kernelILj128ELj4EiliaaiEEvT3_20rocsparse_direction_NS_24const_host_device_scalarIT1_EES1_PKS1_PKT2_SA_S7_PKT4_PKT5_S5_PT6_21rocsparse_index_base_b: ; @_ZN9rocsparseL18bsrxmvn_4x4_kernelILj128ELj4EiliaaiEEvT3_20rocsparse_direction_NS_24const_host_device_scalarIT1_EES1_PKS1_PKT2_SA_S7_PKT4_PKT5_S5_PT6_21rocsparse_index_base_b
; %bb.0:
	s_clause 0x1
	s_load_b64 s[12:13], s[0:1], 0x58
	s_load_b64 s[4:5], s[0:1], 0x8
	s_mov_b32 s7, -1
	s_wait_kmcnt 0x0
	s_bitcmp1_b32 s13, 0
                                        ; implicit-def: $sgpr13
	s_cselect_b32 s2, -1, 0
	s_delay_alu instid0(SALU_CYCLE_1) | instskip(NEXT) | instid1(SALU_CYCLE_1)
	s_xor_b32 s6, s2, -1
	s_and_b32 vcc_lo, exec_lo, s6
	s_cbranch_vccnz .LBB65_4
; %bb.1:
	s_load_b64 s[2:3], s[0:1], 0x48
	s_and_not1_b32 vcc_lo, exec_lo, s7
	s_cbranch_vccz .LBB65_5
.LBB65_2:
	s_and_b32 vcc_lo, exec_lo, s6
	s_cbranch_vccz .LBB65_6
.LBB65_3:
	s_wait_kmcnt 0x0
	s_load_b32 s14, s[2:3], 0x0
	s_cbranch_execz .LBB65_7
	s_branch .LBB65_8
.LBB65_4:
	s_load_b32 s13, s[4:5], 0x0
	s_load_b64 s[2:3], s[0:1], 0x48
	s_cbranch_execnz .LBB65_2
.LBB65_5:
	s_wait_kmcnt 0x0
	s_mov_b32 s13, s4
	s_and_b32 vcc_lo, exec_lo, s6
	s_cbranch_vccnz .LBB65_3
.LBB65_6:
	s_wait_kmcnt 0x0
                                        ; implicit-def: $sgpr14
.LBB65_7:
	s_wait_kmcnt 0x0
	s_mov_b32 s14, s2
.LBB65_8:
	s_cmp_lg_u32 s13, 0
	s_mov_b32 s6, 0
	s_cselect_b32 s2, -1, 0
	s_wait_kmcnt 0x0
	s_cmp_lg_u32 s14, 1
	s_cselect_b32 s3, -1, 0
	s_delay_alu instid0(SALU_CYCLE_1) | instskip(NEXT) | instid1(SALU_CYCLE_1)
	s_or_b32 s2, s2, s3
	s_and_not1_b32 vcc_lo, exec_lo, s2
	s_cbranch_vccnz .LBB65_14
; %bb.9:
	s_clause 0x1
	s_load_b64 s[4:5], s[0:1], 0x18
	s_load_b64 s[2:3], s[0:1], 0x0
	v_lshrrev_b32_e32 v1, 2, v0
	s_delay_alu instid0(VALU_DEP_1)
	v_lshl_or_b32 v8, ttmp9, 5, v1
	s_wait_kmcnt 0x0
	s_cmp_lg_u64 s[4:5], 0
	s_cbranch_scc0 .LBB65_15
; %bb.10:
	s_load_b32 s6, s[0:1], 0x10
	s_mov_b32 s7, 0
                                        ; implicit-def: $vgpr1
	s_wait_kmcnt 0x0
	v_cmp_gt_i32_e32 vcc_lo, s6, v8
	s_mov_b32 s6, 0
	s_and_saveexec_b32 s8, vcc_lo
	s_delay_alu instid0(SALU_CYCLE_1)
	s_xor_b32 s8, exec_lo, s8
	s_cbranch_execz .LBB65_12
; %bb.11:
	v_ashrrev_i32_e32 v9, 31, v8
	s_mov_b32 s6, exec_lo
	s_delay_alu instid0(VALU_DEP_1) | instskip(NEXT) | instid1(VALU_DEP_1)
	v_lshlrev_b64_e32 v[1:2], 2, v[8:9]
	v_add_co_u32 v1, vcc_lo, s4, v1
	s_delay_alu instid0(VALU_DEP_1)
	v_add_co_ci_u32_e64 v2, null, s5, v2, vcc_lo
	global_load_b32 v1, v[1:2], off
	s_wait_loadcnt 0x0
	v_subrev_nc_u32_e32 v1, s12, v1
.LBB65_12:
	s_or_b32 exec_lo, exec_lo, s8
	s_delay_alu instid0(SALU_CYCLE_1)
	s_and_b32 vcc_lo, exec_lo, s7
	s_wait_alu 0xfffe
	s_cbranch_vccz .LBB65_16
.LBB65_13:
	v_cmp_gt_i32_e32 vcc_lo, s2, v8
	s_and_not1_b32 s2, s6, exec_lo
	s_and_b32 s4, vcc_lo, exec_lo
	s_wait_alu 0xfffe
	s_or_b32 s6, s2, s4
	s_wait_alu 0xfffe
	s_and_saveexec_b32 s2, s6
	s_cbranch_execnz .LBB65_17
.LBB65_14:
	s_endpgm
.LBB65_15:
                                        ; implicit-def: $vgpr1
	s_cbranch_execnz .LBB65_13
.LBB65_16:
	v_mov_b32_e32 v8, v1
	s_and_saveexec_b32 s2, s6
	s_cbranch_execz .LBB65_14
.LBB65_17:
	s_load_b256 s[4:11], s[0:1], 0x20
	s_delay_alu instid0(VALU_DEP_1) | instskip(SKIP_1) | instid1(VALU_DEP_2)
	v_ashrrev_i32_e32 v9, 31, v8
	v_and_b32_e32 v23, 3, v0
	v_lshlrev_b64_e32 v[1:2], 3, v[8:9]
	s_wait_kmcnt 0x0
	s_delay_alu instid0(VALU_DEP_1) | instskip(SKIP_1) | instid1(VALU_DEP_2)
	v_add_co_u32 v3, vcc_lo, s4, v1
	s_wait_alu 0xfffd
	v_add_co_ci_u32_e64 v4, null, s5, v2, vcc_lo
	v_add_co_u32 v1, vcc_lo, s6, v1
	s_wait_alu 0xfffd
	v_add_co_ci_u32_e64 v2, null, s7, v2, vcc_lo
	v_add_co_u32 v5, vcc_lo, v3, 8
	global_load_b64 v[13:14], v[3:4], off
	s_wait_alu 0xfffd
	v_add_co_ci_u32_e64 v6, null, 0, v4, vcc_lo
	s_cmp_eq_u64 s[6:7], 0
	s_load_b64 s[6:7], s[0:1], 0x40
	s_cselect_b32 vcc_lo, -1, 0
	v_mov_b32_e32 v4, 0
	s_wait_alu 0xfffe
	v_dual_cndmask_b32 v2, v2, v6 :: v_dual_cndmask_b32 v1, v1, v5
	s_cmp_eq_u32 s3, 1
	global_load_b64 v[1:2], v[1:2], off
	s_wait_loadcnt 0x1
	v_sub_co_u32 v0, vcc_lo, v13, s12
	s_wait_alu 0xfffd
	v_subrev_co_ci_u32_e64 v3, null, 0, v14, vcc_lo
	s_delay_alu instid0(VALU_DEP_2) | instskip(SKIP_1) | instid1(VALU_DEP_2)
	v_add_co_u32 v11, vcc_lo, v0, v23
	s_wait_alu 0xfffd
	v_add_co_ci_u32_e64 v12, null, 0, v3, vcc_lo
	s_wait_loadcnt 0x0
	v_sub_co_u32 v15, vcc_lo, v1, s12
	s_delay_alu instid0(VALU_DEP_2) | instskip(SKIP_2) | instid1(VALU_DEP_2)
	v_lshlrev_b64_e32 v[0:1], 4, v[11:12]
	s_wait_alu 0xfffd
	v_subrev_co_ci_u32_e64 v16, null, 0, v2, vcc_lo
	v_add_co_u32 v9, vcc_lo, s10, v0
	s_delay_alu instid0(VALU_DEP_2)
	v_cmp_lt_i64_e64 s2, v[11:12], v[15:16]
	s_wait_alu 0xfffd
	v_add_co_ci_u32_e64 v10, null, s11, v1, vcc_lo
	s_cbranch_scc1 .LBB65_29
; %bb.18:
	v_dual_mov_b32 v2, 0 :: v_dual_mov_b32 v1, 0
	v_mov_b32_e32 v0, 0
	s_and_saveexec_b32 s5, s2
	s_cbranch_execz .LBB65_28
; %bb.19:
	v_or_b32_e32 v0, 4, v23
	v_not_b32_e32 v3, v13
	v_not_b32_e32 v2, v14
	s_mov_b32 s11, 0
	s_delay_alu instid0(VALU_DEP_3) | instskip(SKIP_3) | instid1(VALU_DEP_3)
	v_sub_co_u32 v0, s3, v0, s12
	s_wait_alu 0xf1ff
	v_sub_co_ci_u32_e64 v1, null, 0, 0, s3
	v_sub_co_u32 v4, s3, s12, v23
	v_add_co_u32 v0, vcc_lo, v0, v13
	s_wait_alu 0xfffd
	s_delay_alu instid0(VALU_DEP_3) | instskip(SKIP_2) | instid1(VALU_DEP_2)
	v_add_co_ci_u32_e64 v1, null, v1, v14, vcc_lo
	s_wait_alu 0xf1ff
	v_sub_co_ci_u32_e64 v5, null, 0, 0, s3
	v_cmp_gt_i64_e32 vcc_lo, v[0:1], v[15:16]
	s_wait_alu 0xfffd
	v_dual_cndmask_b32 v1, v16, v1 :: v_dual_cndmask_b32 v0, v15, v0
	v_add_co_u32 v3, vcc_lo, v4, v3
	s_wait_alu 0xfffd
	v_add_co_ci_u32_e64 v2, null, v5, v2, vcc_lo
	v_mov_b32_e32 v4, 0
	s_delay_alu instid0(VALU_DEP_3) | instskip(SKIP_1) | instid1(VALU_DEP_3)
	v_add_co_u32 v19, vcc_lo, v3, v0
	s_wait_alu 0xfffd
	v_add_co_ci_u32_e64 v20, null, v2, v1, vcc_lo
	v_dual_mov_b32 v18, v12 :: v_dual_mov_b32 v17, v11
	v_dual_mov_b32 v5, v4 :: v_dual_mov_b32 v6, v4
	s_delay_alu instid0(VALU_DEP_3) | instskip(SKIP_1) | instid1(VALU_DEP_3)
	v_lshrrev_b64 v[21:22], 2, v[19:20]
	v_mov_b32_e32 v7, v4
	v_dual_mov_b32 v0, v4 :: v_dual_mov_b32 v1, v5
	s_delay_alu instid0(VALU_DEP_4) | instskip(SKIP_1) | instid1(VALU_DEP_4)
	v_mov_b32_e32 v2, v6
	v_cmp_lt_u64_e32 vcc_lo, 11, v[19:20]
	v_mov_b32_e32 v3, v7
	v_add_co_u32 v7, s3, v21, 1
	v_mov_b32_e32 v5, v9
	s_wait_alu 0xf1ff
	v_add_co_ci_u32_e64 v20, null, 0, v22, s3
	v_mov_b32_e32 v6, v10
	s_and_saveexec_b32 s10, vcc_lo
	s_cbranch_execz .LBB65_23
; %bb.20:
	v_lshlrev_b64_e32 v[0:1], 2, v[11:12]
	v_dual_mov_b32 v2, 0 :: v_dual_and_b32 v19, -4, v7
	v_dual_mov_b32 v5, v9 :: v_dual_mov_b32 v6, v10
	v_dual_mov_b32 v18, v12 :: v_dual_mov_b32 v17, v11
	s_delay_alu instid0(VALU_DEP_4) | instskip(SKIP_3) | instid1(VALU_DEP_3)
	v_add_co_u32 v0, vcc_lo, s8, v0
	s_wait_alu 0xfffd
	v_add_co_ci_u32_e64 v3, null, s9, v1, vcc_lo
	v_mov_b32_e32 v1, 0
	v_add_co_u32 v21, vcc_lo, v0, 32
	s_wait_alu 0xfffd
	s_delay_alu instid0(VALU_DEP_3)
	v_add_co_ci_u32_e64 v22, null, 0, v3, vcc_lo
	v_mov_b32_e32 v0, 0
.LBB65_21:                              ; =>This Inner Loop Header: Depth=1
	s_clause 0x3
	global_load_b32 v3, v[21:22], off offset:-32
	global_load_b32 v36, v[21:22], off offset:-16
	global_load_b32 v37, v[21:22], off
	global_load_b32 v42, v[21:22], off offset:16
	s_clause 0x2
	global_load_b128 v[24:27], v[5:6], off
	global_load_b128 v[28:31], v[5:6], off offset:64
	global_load_b128 v[32:35], v[5:6], off offset:128
	s_wait_loadcnt 0x6
	v_subrev_nc_u32_e32 v3, s12, v3
	s_wait_loadcnt 0x5
	v_subrev_nc_u32_e32 v36, s12, v36
	;; [unrolled: 2-line block ×3, first 2 shown]
	s_wait_loadcnt 0x2
	v_bfe_i32 v45, v27, 0, 8
	v_lshlrev_b32_e32 v3, 2, v3
	v_lshlrev_b32_e32 v36, 2, v36
	v_lshlrev_b32_e32 v37, 2, v37
	s_wait_loadcnt 0x1
	v_lshrrev_b16 v46, 8, v31
	v_ashrrev_i32_e32 v47, 24, v31
	v_ashrrev_i32_e32 v39, 31, v3
	;; [unrolled: 1-line block ×4, first 2 shown]
	s_wait_kmcnt 0x0
	v_add_co_u32 v40, s4, s6, v3
	v_add_co_u32 v36, vcc_lo, s6, v36
	v_add_co_u32 v38, s3, s6, v37
	s_wait_alu 0xf1ff
	v_add_co_ci_u32_e64 v41, null, s7, v39, s4
	s_wait_alu 0xfffd
	v_add_co_ci_u32_e64 v37, null, s7, v43, vcc_lo
	v_add_co_ci_u32_e64 v39, null, s7, v44, s3
	s_clause 0x2
	global_load_b32 v3, v[40:41], off
	global_load_b32 v43, v[36:37], off
	global_load_b32 v44, v[38:39], off
	v_subrev_nc_u32_e32 v36, s12, v42
	v_ashrrev_i32_e32 v42, 24, v27
	v_bfe_i32 v48, v31, 16, 8
	v_bfe_i32 v31, v31, 0, 8
	;; [unrolled: 1-line block ×3, first 2 shown]
	v_lshlrev_b32_e32 v36, 2, v36
	s_wait_loadcnt 0x3
	v_bfe_i32 v51, v35, 16, 8
	v_bfe_i32 v49, v35, 0, 8
	;; [unrolled: 1-line block ×3, first 2 shown]
	v_ashrrev_i32_e32 v35, 24, v35
	v_ashrrev_i32_e32 v37, 31, v36
	v_add_co_u32 v40, vcc_lo, s6, v36
	s_wait_alu 0xfffd
	s_delay_alu instid0(VALU_DEP_2)
	v_add_co_ci_u32_e64 v41, null, s7, v37, vcc_lo
	global_load_b128 v[36:39], v[5:6], off offset:192
	global_load_b32 v40, v[40:41], off
	v_lshrrev_b16 v41, 8, v27
	v_bfe_i32 v27, v27, 16, 8
	v_add_co_u32 v5, vcc_lo, 0x100, v5
	s_wait_alu 0xfffd
	v_add_co_ci_u32_e64 v6, null, 0, v6, vcc_lo
	v_bfe_i32 v41, v41, 0, 8
	v_add_co_u32 v17, vcc_lo, v17, 16
	s_wait_alu 0xfffd
	v_add_co_ci_u32_e64 v18, null, 0, v18, vcc_lo
	v_add_co_u32 v19, vcc_lo, v19, -4
	s_wait_alu 0xfffd
	v_add_co_ci_u32_e64 v20, null, -1, v20, vcc_lo
	v_add_co_u32 v21, vcc_lo, v21, 64
	s_wait_alu 0xfffd
	v_add_co_ci_u32_e64 v22, null, 0, v22, vcc_lo
	s_delay_alu instid0(VALU_DEP_3)
	v_cmp_eq_u64_e32 vcc_lo, 0, v[19:20]
	s_wait_alu 0xfffe
	s_or_b32 s11, vcc_lo, s11
	s_wait_loadcnt 0x4
	v_lshrrev_b16 v52, 8, v3
	v_ashrrev_i32_e32 v53, 24, v3
	v_bfe_i32 v54, v3, 0, 8
	v_bfe_i32 v55, v3, 16, 8
	v_dot4_i32_iu8 v0, v3, v24, v0 neg_lo:[1,1,0]
	v_dot4_i32_iu8 v1, v3, v25, v1 neg_lo:[1,1,0]
	v_dot4_i32_iu8 v2, v3, v26, v2 neg_lo:[1,1,0]
	s_wait_loadcnt 0x3
	v_lshrrev_b16 v3, 8, v43
	v_ashrrev_i32_e32 v24, 24, v43
	v_bfe_i32 v25, v43, 16, 8
	v_bfe_i32 v26, v43, 0, 8
	;; [unrolled: 1-line block ×4, first 2 shown]
	v_mul_i32_i24_e32 v24, v47, v24
	s_wait_loadcnt 0x2
	v_bfe_i32 v56, v44, 16, 8
	v_mul_i32_i24_e32 v26, v31, v26
	v_mul_i32_i24_e32 v25, v48, v25
	v_mul_i32_i24_e32 v31, v41, v52
	v_mul_i32_i24_e32 v3, v46, v3
	v_mad_i32_i24 v24, v42, v53, v24
	v_bfe_i32 v58, v44, 8, 8
	v_bfe_i32 v59, v44, 0, 8
	v_mul_i32_i24_e32 v41, v51, v56
	v_mad_i32_i24 v25, v27, v55, v25
	v_mad_i32_i24 v26, v45, v54, v26
	v_add3_u32 v3, v31, v3, v24
	v_ashrrev_i32_e32 v57, 24, v44
	v_mul_i32_i24_e32 v24, v59, v49
	v_mad_i32_i24 v27, v58, v50, v41
	v_dot4_i32_iu8 v0, v43, v28, v0 neg_lo:[1,1,0]
	v_add3_u32 v3, v26, v25, v3
	v_dot4_i32_iu8 v1, v43, v29, v1 neg_lo:[1,1,0]
	v_dot4_i32_iu8 v2, v43, v30, v2 neg_lo:[1,1,0]
	v_mul_i32_i24_e32 v25, v35, v57
	v_dot4_i32_iu8 v0, v44, v32, v0 neg_lo:[1,1,0]
	v_add3_u32 v3, v3, v24, v27
	v_dot4_i32_iu8 v1, v33, v44, v1 neg_lo:[1,1,0]
	v_dot4_i32_iu8 v2, v34, v44, v2 neg_lo:[1,1,0]
	s_wait_loadcnt 0x0
	v_dot4_i32_iu8 v0, v40, v36, v0 neg_lo:[1,1,0]
	v_add3_u32 v3, v3, v4, v25
	v_dot4_i32_iu8 v1, v40, v37, v1 neg_lo:[1,1,0]
	v_dot4_i32_iu8 v2, v40, v38, v2 neg_lo:[1,1,0]
	s_delay_alu instid0(VALU_DEP_3)
	v_dot4_i32_iu8 v4, v40, v39, v3 neg_lo:[1,1,0]
	s_wait_alu 0xfffe
	s_and_not1_b32 exec_lo, exec_lo, s11
	s_cbranch_execnz .LBB65_21
; %bb.22:
	s_or_b32 exec_lo, exec_lo, s11
	v_mov_b32_e32 v3, v4
.LBB65_23:
	s_wait_alu 0xfffe
	s_or_b32 exec_lo, exec_lo, s10
	v_dual_mov_b32 v20, 0 :: v_dual_and_b32 v19, 3, v7
	s_mov_b32 s3, exec_lo
	s_delay_alu instid0(VALU_DEP_1)
	v_cmpx_ne_u64_e32 0, v[19:20]
	s_cbranch_execz .LBB65_27
; %bb.24:
	v_lshlrev_b64_e32 v[17:18], 2, v[17:18]
	v_lshlrev_b32_e32 v19, 2, v19
	s_mov_b32 s4, 0
	s_delay_alu instid0(VALU_DEP_2) | instskip(SKIP_1) | instid1(VALU_DEP_3)
	v_add_co_u32 v17, vcc_lo, s8, v17
	s_wait_alu 0xfffd
	v_add_co_ci_u32_e64 v18, null, s9, v18, vcc_lo
.LBB65_25:                              ; =>This Inner Loop Header: Depth=1
	global_load_b32 v4, v[17:18], off
	s_wait_loadcnt 0x0
	v_subrev_nc_u32_e32 v4, s12, v4
	s_delay_alu instid0(VALU_DEP_1) | instskip(NEXT) | instid1(VALU_DEP_1)
	v_lshlrev_b32_e32 v4, 2, v4
	v_ashrrev_i32_e32 v7, 31, v4
	s_wait_kmcnt 0x0
	v_add_co_u32 v21, vcc_lo, s6, v4
	s_wait_alu 0xfffd
	s_delay_alu instid0(VALU_DEP_2)
	v_add_co_ci_u32_e64 v22, null, s7, v7, vcc_lo
	global_load_b128 v[24:27], v[5:6], off
	global_load_b32 v4, v[21:22], off
	v_add_co_u32 v5, vcc_lo, v5, 64
	s_wait_alu 0xfffd
	v_add_co_ci_u32_e64 v6, null, 0, v6, vcc_lo
	v_add_co_u32 v19, vcc_lo, v19, -4
	s_wait_alu 0xfffd
	v_add_co_ci_u32_e64 v20, null, -1, v20, vcc_lo
	v_add_co_u32 v17, vcc_lo, v17, 16
	s_wait_alu 0xfffd
	v_add_co_ci_u32_e64 v18, null, 0, v18, vcc_lo
	s_delay_alu instid0(VALU_DEP_3)
	v_cmp_eq_u64_e32 vcc_lo, 0, v[19:20]
	s_wait_alu 0xfffe
	s_or_b32 s4, vcc_lo, s4
	s_wait_loadcnt 0x0
	v_dot4_i32_iu8 v3, v4, v27, v3 neg_lo:[1,1,0]
	v_dot4_i32_iu8 v2, v4, v26, v2 neg_lo:[1,1,0]
	;; [unrolled: 1-line block ×4, first 2 shown]
	s_wait_alu 0xfffe
	s_and_not1_b32 exec_lo, exec_lo, s4
	s_cbranch_execnz .LBB65_25
; %bb.26:
	s_or_b32 exec_lo, exec_lo, s4
	v_mov_b32_e32 v4, v3
.LBB65_27:
	s_wait_alu 0xfffe
	s_or_b32 exec_lo, exec_lo, s3
.LBB65_28:
	s_wait_alu 0xfffe
	s_or_b32 exec_lo, exec_lo, s5
	s_cbranch_execz .LBB65_30
	s_branch .LBB65_41
.LBB65_29:
                                        ; implicit-def: $vgpr4
                                        ; implicit-def: $vgpr2
.LBB65_30:
	v_dual_mov_b32 v4, 0 :: v_dual_mov_b32 v1, 0
	v_mov_b32_e32 v2, 0
	v_mov_b32_e32 v0, 0
	s_and_saveexec_b32 s4, s2
	s_cbranch_execz .LBB65_40
; %bb.31:
	v_or_b32_e32 v0, 4, v23
	v_not_b32_e32 v3, v13
	v_not_b32_e32 v2, v14
	s_mov_b32 s10, 0
	s_delay_alu instid0(VALU_DEP_3) | instskip(SKIP_3) | instid1(VALU_DEP_3)
	v_sub_co_u32 v0, s2, v0, s12
	s_wait_alu 0xf1ff
	v_sub_co_ci_u32_e64 v1, null, 0, 0, s2
	v_sub_co_u32 v4, s2, s12, v23
	v_add_co_u32 v0, vcc_lo, v0, v13
	s_wait_alu 0xfffd
	s_delay_alu instid0(VALU_DEP_3) | instskip(SKIP_2) | instid1(VALU_DEP_2)
	v_add_co_ci_u32_e64 v1, null, v1, v14, vcc_lo
	s_wait_alu 0xf1ff
	v_sub_co_ci_u32_e64 v5, null, 0, 0, s2
	v_cmp_gt_i64_e32 vcc_lo, v[0:1], v[15:16]
	s_wait_alu 0xfffd
	v_dual_cndmask_b32 v1, v16, v1 :: v_dual_cndmask_b32 v0, v15, v0
	v_add_co_u32 v3, vcc_lo, v4, v3
	s_wait_alu 0xfffd
	v_add_co_ci_u32_e64 v2, null, v5, v2, vcc_lo
	v_mov_b32_e32 v4, 0
	s_delay_alu instid0(VALU_DEP_3) | instskip(SKIP_1) | instid1(VALU_DEP_3)
	v_add_co_u32 v0, vcc_lo, v3, v0
	s_wait_alu 0xfffd
	v_add_co_ci_u32_e64 v1, null, v2, v1, vcc_lo
	s_delay_alu instid0(VALU_DEP_3) | instskip(SKIP_1) | instid1(VALU_DEP_3)
	v_dual_mov_b32 v5, v4 :: v_dual_mov_b32 v6, v4
	v_mov_b32_e32 v7, v4
	v_lshrrev_b64 v[2:3], 2, v[0:1]
	v_cmp_lt_u64_e32 vcc_lo, 11, v[0:1]
	s_delay_alu instid0(VALU_DEP_2) | instskip(SKIP_1) | instid1(VALU_DEP_3)
	v_add_co_u32 v15, s2, v2, 1
	s_wait_alu 0xf1ff
	v_add_co_ci_u32_e64 v14, null, 0, v3, s2
	v_dual_mov_b32 v0, v4 :: v_dual_mov_b32 v1, v5
	v_dual_mov_b32 v2, v6 :: v_dual_mov_b32 v3, v7
	s_and_saveexec_b32 s5, vcc_lo
	s_cbranch_execz .LBB65_35
; %bb.32:
	v_lshlrev_b64_e32 v[0:1], 2, v[11:12]
	v_dual_mov_b32 v2, 0 :: v_dual_and_b32 v13, -4, v15
	s_delay_alu instid0(VALU_DEP_2) | instskip(SKIP_1) | instid1(VALU_DEP_3)
	v_add_co_u32 v0, vcc_lo, s8, v0
	s_wait_alu 0xfffd
	v_add_co_ci_u32_e64 v3, null, s9, v1, vcc_lo
	v_mov_b32_e32 v1, 0
	s_delay_alu instid0(VALU_DEP_3) | instskip(SKIP_1) | instid1(VALU_DEP_3)
	v_add_co_u32 v5, vcc_lo, v0, 32
	s_wait_alu 0xfffd
	v_add_co_ci_u32_e64 v6, null, 0, v3, vcc_lo
	v_mov_b32_e32 v0, 0
.LBB65_33:                              ; =>This Inner Loop Header: Depth=1
	s_clause 0x3
	global_load_b32 v3, v[5:6], off offset:-32
	global_load_b32 v7, v[5:6], off offset:-16
	global_load_b32 v20, v[5:6], off
	global_load_b32 v21, v[5:6], off offset:16
	s_clause 0x2
	global_load_b128 v[16:19], v[9:10], off
	global_load_b128 v[24:27], v[9:10], off offset:64
	global_load_b128 v[28:31], v[9:10], off offset:128
	s_wait_loadcnt 0x6
	v_subrev_nc_u32_e32 v3, s12, v3
	s_wait_loadcnt 0x5
	v_subrev_nc_u32_e32 v7, s12, v7
	;; [unrolled: 2-line block ×4, first 2 shown]
	s_wait_loadcnt 0x2
	v_perm_b32 v37, v18, v17, 0xc05010c
	v_lshlrev_b32_e32 v3, 2, v3
	v_lshlrev_b32_e32 v7, 2, v7
	;; [unrolled: 1-line block ×4, first 2 shown]
	v_perm_b32 v39, v18, v17, 0xc06020c
	v_ashrrev_i32_e32 v21, 31, v3
	v_ashrrev_i32_e32 v33, 31, v7
	s_wait_kmcnt 0x0
	v_add_co_u32 v20, vcc_lo, s6, v7
	v_ashrrev_i32_e32 v7, 31, v22
	v_add_co_u32 v34, s3, s6, v3
	v_add_co_u32 v32, s2, s6, v22
	s_wait_alu 0xf1ff
	v_add_co_ci_u32_e64 v35, null, s7, v21, s3
	s_wait_alu 0xfffd
	v_add_co_ci_u32_e64 v21, null, s7, v33, vcc_lo
	v_add_co_ci_u32_e64 v33, null, s7, v7, s2
	s_clause 0x2
	global_load_b32 v3, v[34:35], off
	global_load_b32 v7, v[20:21], off
	;; [unrolled: 1-line block ×3, first 2 shown]
	global_load_b128 v[32:35], v[9:10], off offset:192
	v_ashrrev_i32_e32 v21, 31, v36
	v_add_co_u32 v20, vcc_lo, s6, v36
	s_wait_loadcnt 0x5
	v_perm_b32 v41, v26, v25, 0x4000c0c
	v_perm_b32 v42, v24, v19, 0xc0c0501
	s_wait_alu 0xfffd
	v_add_co_ci_u32_e64 v21, null, s7, v21, vcc_lo
	v_perm_b32 v43, v26, v25, 0x5010c0c
	v_perm_b32 v44, v24, v19, 0xc0c0602
	v_perm_b32 v45, v26, v25, 0x6020c0c
	global_load_b32 v20, v[20:21], off
	v_perm_b32 v21, v18, v17, 0xc04000c
	v_perm_b32 v17, v18, v17, 0xc07030c
	;; [unrolled: 1-line block ×5, first 2 shown]
	s_wait_loadcnt 0x5
	v_lshrrev_b32_e32 v25, 16, v31
	v_perm_b32 v26, v28, v27, 0xc0c0400
	v_perm_b32 v47, v28, v27, 0xc0c0501
	;; [unrolled: 1-line block ×9, first 2 shown]
	v_or_b32_e32 v27, v28, v27
	v_ashrrev_i16 v28, 8, v25
	v_bfe_i32 v25, v25, 0, 8
	v_perm_b32 v46, v30, v29, 0x4000c0c
	v_perm_b32 v48, v30, v29, 0x5010c0c
	;; [unrolled: 1-line block ×3, first 2 shown]
	v_ashrrev_i16 v29, 8, v31
	v_bfe_i32 v30, v31, 0, 8
	v_or_b32_e32 v21, v21, v36
	v_or_b32_e32 v16, v17, v16
	v_perm_b32 v25, v28, v25, 0x5040100
	v_or_b32_e32 v17, v41, v18
	v_or_b32_e32 v18, v43, v42
	;; [unrolled: 1-line block ×4, first 2 shown]
	v_perm_b32 v29, v29, v30, 0x5040100
	v_or_b32_e32 v24, v46, v26
	v_or_b32_e32 v26, v48, v47
	v_add_co_u32 v9, vcc_lo, 0x100, v9
	s_wait_alu 0xfffd
	v_add_co_ci_u32_e64 v10, null, 0, v10, vcc_lo
	v_add_co_u32 v11, vcc_lo, v11, 16
	s_wait_alu 0xfffd
	v_add_co_ci_u32_e64 v12, null, 0, v12, vcc_lo
	v_add_co_u32 v13, vcc_lo, v13, -4
	s_wait_alu 0xfffd
	v_add_co_ci_u32_e64 v14, null, -1, v14, vcc_lo
	v_add_co_u32 v5, vcc_lo, v5, 64
	s_wait_alu 0xfffd
	v_add_co_ci_u32_e64 v6, null, 0, v6, vcc_lo
	s_delay_alu instid0(VALU_DEP_3)
	v_cmp_eq_u64_e32 vcc_lo, 0, v[13:14]
	s_wait_alu 0xfffe
	s_or_b32 s10, vcc_lo, s10
	s_wait_loadcnt 0x4
	v_perm_b32 v28, v3, v3, 0xc020100
	s_wait_loadcnt 0x3
	v_perm_b32 v3, v7, v3, 0x6050403
	;; [unrolled: 2-line block ×4, first 2 shown]
	v_perm_b32 v51, v35, v34, 0x7030c0c
	v_perm_b32 v52, v33, v32, 0xc0c0602
	;; [unrolled: 1-line block ×7, first 2 shown]
	v_or_b32_e32 v34, v37, v38
	v_or_b32_e32 v35, v39, v40
	v_lshrrev_b32_e32 v39, 24, v22
	v_dot4_i32_iu8 v0, v28, v21, v0 neg_lo:[1,1,0]
	v_dot4_i32_iu8 v4, v16, v28, v4 neg_lo:[1,1,0]
	;; [unrolled: 1-line block ×4, first 2 shown]
	v_bfe_i32 v16, v39, 0, 8
	v_or_b32_e32 v37, v50, v49
	v_dot4_i32_iu8 v0, v3, v17, v0 neg_lo:[1,1,0]
	v_dot4_i32_iu8 v1, v18, v3, v1 neg_lo:[1,1,0]
	;; [unrolled: 1-line block ×4, first 2 shown]
	v_pk_mul_lo_u16 v4, v16, v25 op_sel_hi:[0,1]
	v_pk_mul_lo_u16 v16, v16, v29 op_sel_hi:[0,1]
	v_dot4_i32_iu8 v0, v7, v24, v0 neg_lo:[1,1,0]
	v_dot4_i32_iu8 v1, v26, v7, v1 neg_lo:[1,1,0]
	;; [unrolled: 1-line block ×4, first 2 shown]
	v_ashrrev_i32_e32 v7, 16, v4
	v_bfe_i32 v4, v4, 0, 16
	v_ashrrev_i32_e32 v17, 16, v16
	v_bfe_i32 v16, v16, 0, 16
	v_or_b32_e32 v30, v51, v31
	v_or_b32_e32 v31, v53, v52
	;; [unrolled: 1-line block ×4, first 2 shown]
	v_add_nc_u32_e32 v3, v3, v7
	v_add_nc_u32_e32 v2, v2, v4
	;; [unrolled: 1-line block ×4, first 2 shown]
	s_wait_loadcnt 0x0
	v_dot4_i32_iu8 v4, v20, v30, v3 neg_lo:[1,1,0]
	v_dot4_i32_iu8 v2, v20, v31, v2 neg_lo:[1,1,0]
	;; [unrolled: 1-line block ×4, first 2 shown]
	s_wait_alu 0xfffe
	s_and_not1_b32 exec_lo, exec_lo, s10
	s_cbranch_execnz .LBB65_33
; %bb.34:
	s_or_b32 exec_lo, exec_lo, s10
	v_mov_b32_e32 v3, v4
.LBB65_35:
	s_wait_alu 0xfffe
	s_or_b32 exec_lo, exec_lo, s5
	v_dual_mov_b32 v6, 0 :: v_dual_and_b32 v5, 3, v15
	s_mov_b32 s2, exec_lo
	s_delay_alu instid0(VALU_DEP_1)
	v_cmpx_ne_u64_e32 0, v[5:6]
	s_cbranch_execz .LBB65_39
; %bb.36:
	v_lshlrev_b64_e32 v[11:12], 2, v[11:12]
	v_lshlrev_b32_e32 v5, 2, v5
	s_mov_b32 s3, 0
	s_delay_alu instid0(VALU_DEP_2) | instskip(SKIP_1) | instid1(VALU_DEP_3)
	v_add_co_u32 v11, vcc_lo, s8, v11
	s_wait_alu 0xfffd
	v_add_co_ci_u32_e64 v12, null, s9, v12, vcc_lo
.LBB65_37:                              ; =>This Inner Loop Header: Depth=1
	global_load_b32 v4, v[11:12], off
	global_load_b128 v[13:16], v[9:10], off
	s_wait_loadcnt 0x1
	v_subrev_nc_u32_e32 v4, s12, v4
	s_wait_loadcnt 0x0
	v_perm_b32 v19, v16, v15, 0x6020c0c
	v_perm_b32 v20, v14, v13, 0xc0c0501
	v_perm_b32 v21, v16, v15, 0x5010c0c
	v_lshlrev_b32_e32 v4, 2, v4
	s_delay_alu instid0(VALU_DEP_1) | instskip(SKIP_3) | instid1(VALU_DEP_2)
	v_ashrrev_i32_e32 v7, 31, v4
	s_wait_kmcnt 0x0
	v_add_co_u32 v17, vcc_lo, s6, v4
	s_wait_alu 0xfffd
	v_add_co_ci_u32_e64 v18, null, s7, v7, vcc_lo
	v_add_co_u32 v9, vcc_lo, v9, 64
	s_wait_alu 0xfffd
	v_add_co_ci_u32_e64 v10, null, 0, v10, vcc_lo
	global_load_b32 v4, v[17:18], off
	v_add_co_u32 v11, vcc_lo, v11, 16
	s_wait_alu 0xfffd
	v_add_co_ci_u32_e64 v12, null, 0, v12, vcc_lo
	v_add_co_u32 v5, vcc_lo, v5, -4
	v_perm_b32 v7, v14, v13, 0xc0c0703
	v_perm_b32 v17, v16, v15, 0x7030c0c
	;; [unrolled: 1-line block ×5, first 2 shown]
	s_wait_alu 0xfffd
	v_add_co_ci_u32_e64 v6, null, -1, v6, vcc_lo
	v_or_b32_e32 v7, v17, v7
	v_or_b32_e32 v15, v19, v18
	v_or_b32_e32 v16, v21, v20
	v_or_b32_e32 v13, v14, v13
	v_cmp_eq_u64_e32 vcc_lo, 0, v[5:6]
	s_wait_alu 0xfffe
	s_or_b32 s3, vcc_lo, s3
	s_wait_loadcnt 0x0
	v_dot4_i32_iu8 v3, v4, v7, v3 neg_lo:[1,1,0]
	v_dot4_i32_iu8 v2, v4, v15, v2 neg_lo:[1,1,0]
	;; [unrolled: 1-line block ×4, first 2 shown]
	s_wait_alu 0xfffe
	s_and_not1_b32 exec_lo, exec_lo, s3
	s_cbranch_execnz .LBB65_37
; %bb.38:
	s_or_b32 exec_lo, exec_lo, s3
	v_mov_b32_e32 v4, v3
.LBB65_39:
	s_wait_alu 0xfffe
	s_or_b32 exec_lo, exec_lo, s2
.LBB65_40:
	s_wait_alu 0xfffe
	s_or_b32 exec_lo, exec_lo, s4
.LBB65_41:
	v_mbcnt_lo_u32_b32 v3, -1, 0
	s_mov_b32 s2, -1
	s_delay_alu instid0(VALU_DEP_1) | instskip(SKIP_1) | instid1(VALU_DEP_2)
	v_xor_b32_e32 v5, 2, v3
	v_xor_b32_e32 v10, 1, v3
	v_cmp_gt_i32_e32 vcc_lo, 32, v5
	s_wait_alu 0xfffd
	v_cndmask_b32_e32 v5, v3, v5, vcc_lo
	s_delay_alu instid0(VALU_DEP_3) | instskip(SKIP_3) | instid1(VALU_DEP_2)
	v_cmp_gt_i32_e32 vcc_lo, 32, v10
	s_wait_alu 0xfffd
	v_cndmask_b32_e32 v3, v3, v10, vcc_lo
	v_cmp_eq_u32_e32 vcc_lo, 3, v23
	v_lshlrev_b32_e32 v10, 2, v3
	v_lshlrev_b32_e32 v5, 2, v5
	ds_bpermute_b32 v6, v5, v0
	ds_bpermute_b32 v7, v5, v1
	ds_bpermute_b32 v9, v5, v2
	ds_bpermute_b32 v5, v5, v4
	s_wait_dscnt 0x3
	v_add_nc_u32_e32 v0, v6, v0
	s_wait_dscnt 0x2
	v_add_nc_u32_e32 v1, v7, v1
	;; [unrolled: 2-line block ×4, first 2 shown]
	ds_bpermute_b32 v4, v10, v0
	ds_bpermute_b32 v5, v10, v1
	;; [unrolled: 1-line block ×4, first 2 shown]
	s_and_b32 exec_lo, exec_lo, vcc_lo
	s_cbranch_execz .LBB65_14
; %bb.42:
	s_load_b64 s[0:1], s[0:1], 0x50
	s_wait_dscnt 0x3
	v_add_nc_u32_e32 v0, v4, v0
	s_wait_dscnt 0x2
	v_add_nc_u32_e32 v1, v5, v1
	;; [unrolled: 2-line block ×4, first 2 shown]
	v_lshlrev_b32_e32 v4, 2, v8
	v_mul_lo_u32 v0, v0, s13
	v_mul_lo_u32 v1, v1, s13
	;; [unrolled: 1-line block ×4, first 2 shown]
	s_cmp_eq_u32 s14, 0
	s_cbranch_scc1 .LBB65_44
; %bb.43:
	v_ashrrev_i32_e32 v5, 31, v4
	s_mov_b32 s2, 0
	s_delay_alu instid0(VALU_DEP_1) | instskip(SKIP_1) | instid1(VALU_DEP_1)
	v_lshlrev_b64_e32 v[5:6], 2, v[4:5]
	s_wait_kmcnt 0x0
	v_add_co_u32 v12, vcc_lo, s0, v5
	s_wait_alu 0xfffd
	s_delay_alu instid0(VALU_DEP_2)
	v_add_co_ci_u32_e64 v13, null, s1, v6, vcc_lo
	global_load_b128 v[5:8], v[12:13], off
	s_wait_loadcnt 0x0
	v_mad_co_u64_u32 v[14:15], null, v8, s14, v[3:4]
	v_mad_co_u64_u32 v[8:9], null, v5, s14, v[0:1]
	;; [unrolled: 1-line block ×4, first 2 shown]
	s_delay_alu instid0(VALU_DEP_4)
	v_mov_b32_e32 v11, v14
	global_store_b128 v[12:13], v[8:11], off
.LBB65_44:
	s_wait_alu 0xfffe
	s_and_not1_b32 vcc_lo, exec_lo, s2
	s_wait_alu 0xfffe
	s_cbranch_vccnz .LBB65_14
; %bb.45:
	v_ashrrev_i32_e32 v5, 31, v4
	s_delay_alu instid0(VALU_DEP_1) | instskip(SKIP_1) | instid1(VALU_DEP_1)
	v_lshlrev_b64_e32 v[4:5], 2, v[4:5]
	s_wait_kmcnt 0x0
	v_add_co_u32 v4, vcc_lo, s0, v4
	s_wait_alu 0xfffd
	s_delay_alu instid0(VALU_DEP_2)
	v_add_co_ci_u32_e64 v5, null, s1, v5, vcc_lo
	global_store_b128 v[4:5], v[0:3], off
	s_endpgm
	.section	.rodata,"a",@progbits
	.p2align	6, 0x0
	.amdhsa_kernel _ZN9rocsparseL18bsrxmvn_4x4_kernelILj128ELj4EiliaaiEEvT3_20rocsparse_direction_NS_24const_host_device_scalarIT1_EES1_PKS1_PKT2_SA_S7_PKT4_PKT5_S5_PT6_21rocsparse_index_base_b
		.amdhsa_group_segment_fixed_size 0
		.amdhsa_private_segment_fixed_size 0
		.amdhsa_kernarg_size 96
		.amdhsa_user_sgpr_count 2
		.amdhsa_user_sgpr_dispatch_ptr 0
		.amdhsa_user_sgpr_queue_ptr 0
		.amdhsa_user_sgpr_kernarg_segment_ptr 1
		.amdhsa_user_sgpr_dispatch_id 0
		.amdhsa_user_sgpr_private_segment_size 0
		.amdhsa_wavefront_size32 1
		.amdhsa_uses_dynamic_stack 0
		.amdhsa_enable_private_segment 0
		.amdhsa_system_sgpr_workgroup_id_x 1
		.amdhsa_system_sgpr_workgroup_id_y 0
		.amdhsa_system_sgpr_workgroup_id_z 0
		.amdhsa_system_sgpr_workgroup_info 0
		.amdhsa_system_vgpr_workitem_id 0
		.amdhsa_next_free_vgpr 60
		.amdhsa_next_free_sgpr 15
		.amdhsa_reserve_vcc 1
		.amdhsa_float_round_mode_32 0
		.amdhsa_float_round_mode_16_64 0
		.amdhsa_float_denorm_mode_32 3
		.amdhsa_float_denorm_mode_16_64 3
		.amdhsa_fp16_overflow 0
		.amdhsa_workgroup_processor_mode 1
		.amdhsa_memory_ordered 1
		.amdhsa_forward_progress 1
		.amdhsa_inst_pref_size 36
		.amdhsa_round_robin_scheduling 0
		.amdhsa_exception_fp_ieee_invalid_op 0
		.amdhsa_exception_fp_denorm_src 0
		.amdhsa_exception_fp_ieee_div_zero 0
		.amdhsa_exception_fp_ieee_overflow 0
		.amdhsa_exception_fp_ieee_underflow 0
		.amdhsa_exception_fp_ieee_inexact 0
		.amdhsa_exception_int_div_zero 0
	.end_amdhsa_kernel
	.section	.text._ZN9rocsparseL18bsrxmvn_4x4_kernelILj128ELj4EiliaaiEEvT3_20rocsparse_direction_NS_24const_host_device_scalarIT1_EES1_PKS1_PKT2_SA_S7_PKT4_PKT5_S5_PT6_21rocsparse_index_base_b,"axG",@progbits,_ZN9rocsparseL18bsrxmvn_4x4_kernelILj128ELj4EiliaaiEEvT3_20rocsparse_direction_NS_24const_host_device_scalarIT1_EES1_PKS1_PKT2_SA_S7_PKT4_PKT5_S5_PT6_21rocsparse_index_base_b,comdat
.Lfunc_end65:
	.size	_ZN9rocsparseL18bsrxmvn_4x4_kernelILj128ELj4EiliaaiEEvT3_20rocsparse_direction_NS_24const_host_device_scalarIT1_EES1_PKS1_PKT2_SA_S7_PKT4_PKT5_S5_PT6_21rocsparse_index_base_b, .Lfunc_end65-_ZN9rocsparseL18bsrxmvn_4x4_kernelILj128ELj4EiliaaiEEvT3_20rocsparse_direction_NS_24const_host_device_scalarIT1_EES1_PKS1_PKT2_SA_S7_PKT4_PKT5_S5_PT6_21rocsparse_index_base_b
                                        ; -- End function
	.set _ZN9rocsparseL18bsrxmvn_4x4_kernelILj128ELj4EiliaaiEEvT3_20rocsparse_direction_NS_24const_host_device_scalarIT1_EES1_PKS1_PKT2_SA_S7_PKT4_PKT5_S5_PT6_21rocsparse_index_base_b.num_vgpr, 60
	.set _ZN9rocsparseL18bsrxmvn_4x4_kernelILj128ELj4EiliaaiEEvT3_20rocsparse_direction_NS_24const_host_device_scalarIT1_EES1_PKS1_PKT2_SA_S7_PKT4_PKT5_S5_PT6_21rocsparse_index_base_b.num_agpr, 0
	.set _ZN9rocsparseL18bsrxmvn_4x4_kernelILj128ELj4EiliaaiEEvT3_20rocsparse_direction_NS_24const_host_device_scalarIT1_EES1_PKS1_PKT2_SA_S7_PKT4_PKT5_S5_PT6_21rocsparse_index_base_b.numbered_sgpr, 15
	.set _ZN9rocsparseL18bsrxmvn_4x4_kernelILj128ELj4EiliaaiEEvT3_20rocsparse_direction_NS_24const_host_device_scalarIT1_EES1_PKS1_PKT2_SA_S7_PKT4_PKT5_S5_PT6_21rocsparse_index_base_b.num_named_barrier, 0
	.set _ZN9rocsparseL18bsrxmvn_4x4_kernelILj128ELj4EiliaaiEEvT3_20rocsparse_direction_NS_24const_host_device_scalarIT1_EES1_PKS1_PKT2_SA_S7_PKT4_PKT5_S5_PT6_21rocsparse_index_base_b.private_seg_size, 0
	.set _ZN9rocsparseL18bsrxmvn_4x4_kernelILj128ELj4EiliaaiEEvT3_20rocsparse_direction_NS_24const_host_device_scalarIT1_EES1_PKS1_PKT2_SA_S7_PKT4_PKT5_S5_PT6_21rocsparse_index_base_b.uses_vcc, 1
	.set _ZN9rocsparseL18bsrxmvn_4x4_kernelILj128ELj4EiliaaiEEvT3_20rocsparse_direction_NS_24const_host_device_scalarIT1_EES1_PKS1_PKT2_SA_S7_PKT4_PKT5_S5_PT6_21rocsparse_index_base_b.uses_flat_scratch, 0
	.set _ZN9rocsparseL18bsrxmvn_4x4_kernelILj128ELj4EiliaaiEEvT3_20rocsparse_direction_NS_24const_host_device_scalarIT1_EES1_PKS1_PKT2_SA_S7_PKT4_PKT5_S5_PT6_21rocsparse_index_base_b.has_dyn_sized_stack, 0
	.set _ZN9rocsparseL18bsrxmvn_4x4_kernelILj128ELj4EiliaaiEEvT3_20rocsparse_direction_NS_24const_host_device_scalarIT1_EES1_PKS1_PKT2_SA_S7_PKT4_PKT5_S5_PT6_21rocsparse_index_base_b.has_recursion, 0
	.set _ZN9rocsparseL18bsrxmvn_4x4_kernelILj128ELj4EiliaaiEEvT3_20rocsparse_direction_NS_24const_host_device_scalarIT1_EES1_PKS1_PKT2_SA_S7_PKT4_PKT5_S5_PT6_21rocsparse_index_base_b.has_indirect_call, 0
	.section	.AMDGPU.csdata,"",@progbits
; Kernel info:
; codeLenInByte = 4524
; TotalNumSgprs: 17
; NumVgprs: 60
; ScratchSize: 0
; MemoryBound: 0
; FloatMode: 240
; IeeeMode: 1
; LDSByteSize: 0 bytes/workgroup (compile time only)
; SGPRBlocks: 0
; VGPRBlocks: 7
; NumSGPRsForWavesPerEU: 17
; NumVGPRsForWavesPerEU: 60
; Occupancy: 16
; WaveLimiterHint : 1
; COMPUTE_PGM_RSRC2:SCRATCH_EN: 0
; COMPUTE_PGM_RSRC2:USER_SGPR: 2
; COMPUTE_PGM_RSRC2:TRAP_HANDLER: 0
; COMPUTE_PGM_RSRC2:TGID_X_EN: 1
; COMPUTE_PGM_RSRC2:TGID_Y_EN: 0
; COMPUTE_PGM_RSRC2:TGID_Z_EN: 0
; COMPUTE_PGM_RSRC2:TIDIG_COMP_CNT: 0
	.section	.text._ZN9rocsparseL18bsrxmvn_4x4_kernelILj128ELj8EiliaaiEEvT3_20rocsparse_direction_NS_24const_host_device_scalarIT1_EES1_PKS1_PKT2_SA_S7_PKT4_PKT5_S5_PT6_21rocsparse_index_base_b,"axG",@progbits,_ZN9rocsparseL18bsrxmvn_4x4_kernelILj128ELj8EiliaaiEEvT3_20rocsparse_direction_NS_24const_host_device_scalarIT1_EES1_PKS1_PKT2_SA_S7_PKT4_PKT5_S5_PT6_21rocsparse_index_base_b,comdat
	.globl	_ZN9rocsparseL18bsrxmvn_4x4_kernelILj128ELj8EiliaaiEEvT3_20rocsparse_direction_NS_24const_host_device_scalarIT1_EES1_PKS1_PKT2_SA_S7_PKT4_PKT5_S5_PT6_21rocsparse_index_base_b ; -- Begin function _ZN9rocsparseL18bsrxmvn_4x4_kernelILj128ELj8EiliaaiEEvT3_20rocsparse_direction_NS_24const_host_device_scalarIT1_EES1_PKS1_PKT2_SA_S7_PKT4_PKT5_S5_PT6_21rocsparse_index_base_b
	.p2align	8
	.type	_ZN9rocsparseL18bsrxmvn_4x4_kernelILj128ELj8EiliaaiEEvT3_20rocsparse_direction_NS_24const_host_device_scalarIT1_EES1_PKS1_PKT2_SA_S7_PKT4_PKT5_S5_PT6_21rocsparse_index_base_b,@function
_ZN9rocsparseL18bsrxmvn_4x4_kernelILj128ELj8EiliaaiEEvT3_20rocsparse_direction_NS_24const_host_device_scalarIT1_EES1_PKS1_PKT2_SA_S7_PKT4_PKT5_S5_PT6_21rocsparse_index_base_b: ; @_ZN9rocsparseL18bsrxmvn_4x4_kernelILj128ELj8EiliaaiEEvT3_20rocsparse_direction_NS_24const_host_device_scalarIT1_EES1_PKS1_PKT2_SA_S7_PKT4_PKT5_S5_PT6_21rocsparse_index_base_b
; %bb.0:
	s_clause 0x1
	s_load_b64 s[12:13], s[0:1], 0x58
	s_load_b64 s[4:5], s[0:1], 0x8
	s_mov_b32 s7, -1
	s_wait_kmcnt 0x0
	s_bitcmp1_b32 s13, 0
                                        ; implicit-def: $sgpr13
	s_cselect_b32 s2, -1, 0
	s_delay_alu instid0(SALU_CYCLE_1) | instskip(NEXT) | instid1(SALU_CYCLE_1)
	s_xor_b32 s6, s2, -1
	s_and_b32 vcc_lo, exec_lo, s6
	s_cbranch_vccnz .LBB66_4
; %bb.1:
	s_load_b64 s[2:3], s[0:1], 0x48
	s_and_not1_b32 vcc_lo, exec_lo, s7
	s_cbranch_vccz .LBB66_5
.LBB66_2:
	s_and_b32 vcc_lo, exec_lo, s6
	s_cbranch_vccz .LBB66_6
.LBB66_3:
	s_wait_kmcnt 0x0
	s_load_b32 s14, s[2:3], 0x0
	s_cbranch_execz .LBB66_7
	s_branch .LBB66_8
.LBB66_4:
	s_load_b32 s13, s[4:5], 0x0
	s_load_b64 s[2:3], s[0:1], 0x48
	s_cbranch_execnz .LBB66_2
.LBB66_5:
	s_wait_kmcnt 0x0
	s_mov_b32 s13, s4
	s_and_b32 vcc_lo, exec_lo, s6
	s_cbranch_vccnz .LBB66_3
.LBB66_6:
	s_wait_kmcnt 0x0
                                        ; implicit-def: $sgpr14
.LBB66_7:
	s_wait_kmcnt 0x0
	s_mov_b32 s14, s2
.LBB66_8:
	s_cmp_lg_u32 s13, 0
	s_mov_b32 s6, 0
	s_cselect_b32 s2, -1, 0
	s_wait_kmcnt 0x0
	s_cmp_lg_u32 s14, 1
	s_cselect_b32 s3, -1, 0
	s_delay_alu instid0(SALU_CYCLE_1) | instskip(NEXT) | instid1(SALU_CYCLE_1)
	s_or_b32 s2, s2, s3
	s_and_not1_b32 vcc_lo, exec_lo, s2
	s_cbranch_vccnz .LBB66_14
; %bb.9:
	s_clause 0x1
	s_load_b64 s[4:5], s[0:1], 0x18
	s_load_b64 s[2:3], s[0:1], 0x0
	v_lshrrev_b32_e32 v1, 3, v0
	s_delay_alu instid0(VALU_DEP_1)
	v_lshl_or_b32 v8, ttmp9, 4, v1
	s_wait_kmcnt 0x0
	s_cmp_lg_u64 s[4:5], 0
	s_cbranch_scc0 .LBB66_15
; %bb.10:
	s_load_b32 s6, s[0:1], 0x10
	s_mov_b32 s7, 0
                                        ; implicit-def: $vgpr1
	s_wait_kmcnt 0x0
	v_cmp_gt_i32_e32 vcc_lo, s6, v8
	s_mov_b32 s6, 0
	s_and_saveexec_b32 s8, vcc_lo
	s_delay_alu instid0(SALU_CYCLE_1)
	s_xor_b32 s8, exec_lo, s8
	s_cbranch_execz .LBB66_12
; %bb.11:
	v_ashrrev_i32_e32 v9, 31, v8
	s_mov_b32 s6, exec_lo
	s_delay_alu instid0(VALU_DEP_1) | instskip(NEXT) | instid1(VALU_DEP_1)
	v_lshlrev_b64_e32 v[1:2], 2, v[8:9]
	v_add_co_u32 v1, vcc_lo, s4, v1
	s_delay_alu instid0(VALU_DEP_1)
	v_add_co_ci_u32_e64 v2, null, s5, v2, vcc_lo
	global_load_b32 v1, v[1:2], off
	s_wait_loadcnt 0x0
	v_subrev_nc_u32_e32 v1, s12, v1
.LBB66_12:
	s_or_b32 exec_lo, exec_lo, s8
	s_delay_alu instid0(SALU_CYCLE_1)
	s_and_b32 vcc_lo, exec_lo, s7
	s_wait_alu 0xfffe
	s_cbranch_vccz .LBB66_16
.LBB66_13:
	v_cmp_gt_i32_e32 vcc_lo, s2, v8
	s_and_not1_b32 s2, s6, exec_lo
	s_and_b32 s4, vcc_lo, exec_lo
	s_wait_alu 0xfffe
	s_or_b32 s6, s2, s4
	s_wait_alu 0xfffe
	s_and_saveexec_b32 s2, s6
	s_cbranch_execnz .LBB66_17
.LBB66_14:
	s_endpgm
.LBB66_15:
                                        ; implicit-def: $vgpr1
	s_cbranch_execnz .LBB66_13
.LBB66_16:
	v_mov_b32_e32 v8, v1
	s_and_saveexec_b32 s2, s6
	s_cbranch_execz .LBB66_14
.LBB66_17:
	s_load_b256 s[4:11], s[0:1], 0x20
	s_delay_alu instid0(VALU_DEP_1) | instskip(SKIP_1) | instid1(VALU_DEP_2)
	v_ashrrev_i32_e32 v9, 31, v8
	v_and_b32_e32 v23, 7, v0
	v_lshlrev_b64_e32 v[1:2], 3, v[8:9]
	s_wait_kmcnt 0x0
	s_delay_alu instid0(VALU_DEP_1) | instskip(SKIP_1) | instid1(VALU_DEP_2)
	v_add_co_u32 v3, vcc_lo, s4, v1
	s_wait_alu 0xfffd
	v_add_co_ci_u32_e64 v4, null, s5, v2, vcc_lo
	v_add_co_u32 v1, vcc_lo, s6, v1
	s_wait_alu 0xfffd
	v_add_co_ci_u32_e64 v2, null, s7, v2, vcc_lo
	v_add_co_u32 v5, vcc_lo, v3, 8
	global_load_b64 v[13:14], v[3:4], off
	s_wait_alu 0xfffd
	v_add_co_ci_u32_e64 v6, null, 0, v4, vcc_lo
	s_cmp_eq_u64 s[6:7], 0
	s_load_b64 s[6:7], s[0:1], 0x40
	s_cselect_b32 vcc_lo, -1, 0
	v_mov_b32_e32 v4, 0
	s_wait_alu 0xfffe
	v_dual_cndmask_b32 v2, v2, v6 :: v_dual_cndmask_b32 v1, v1, v5
	s_cmp_eq_u32 s3, 1
	global_load_b64 v[1:2], v[1:2], off
	s_wait_loadcnt 0x1
	v_sub_co_u32 v0, vcc_lo, v13, s12
	s_wait_alu 0xfffd
	v_subrev_co_ci_u32_e64 v3, null, 0, v14, vcc_lo
	s_delay_alu instid0(VALU_DEP_2) | instskip(SKIP_1) | instid1(VALU_DEP_2)
	v_add_co_u32 v11, vcc_lo, v0, v23
	s_wait_alu 0xfffd
	v_add_co_ci_u32_e64 v12, null, 0, v3, vcc_lo
	s_wait_loadcnt 0x0
	v_sub_co_u32 v15, vcc_lo, v1, s12
	s_delay_alu instid0(VALU_DEP_2) | instskip(SKIP_2) | instid1(VALU_DEP_2)
	v_lshlrev_b64_e32 v[0:1], 4, v[11:12]
	s_wait_alu 0xfffd
	v_subrev_co_ci_u32_e64 v16, null, 0, v2, vcc_lo
	v_add_co_u32 v9, vcc_lo, s10, v0
	s_delay_alu instid0(VALU_DEP_2)
	v_cmp_lt_i64_e64 s2, v[11:12], v[15:16]
	s_wait_alu 0xfffd
	v_add_co_ci_u32_e64 v10, null, s11, v1, vcc_lo
	s_cbranch_scc1 .LBB66_29
; %bb.18:
	v_dual_mov_b32 v2, 0 :: v_dual_mov_b32 v1, 0
	v_mov_b32_e32 v0, 0
	s_and_saveexec_b32 s5, s2
	s_cbranch_execz .LBB66_28
; %bb.19:
	v_or_b32_e32 v0, 8, v23
	v_not_b32_e32 v3, v13
	v_not_b32_e32 v2, v14
	s_mov_b32 s11, 0
	s_delay_alu instid0(VALU_DEP_3) | instskip(SKIP_3) | instid1(VALU_DEP_3)
	v_sub_co_u32 v0, s3, v0, s12
	s_wait_alu 0xf1ff
	v_sub_co_ci_u32_e64 v1, null, 0, 0, s3
	v_sub_co_u32 v4, s3, s12, v23
	v_add_co_u32 v0, vcc_lo, v0, v13
	s_wait_alu 0xfffd
	s_delay_alu instid0(VALU_DEP_3) | instskip(SKIP_2) | instid1(VALU_DEP_2)
	v_add_co_ci_u32_e64 v1, null, v1, v14, vcc_lo
	s_wait_alu 0xf1ff
	v_sub_co_ci_u32_e64 v5, null, 0, 0, s3
	v_cmp_gt_i64_e32 vcc_lo, v[0:1], v[15:16]
	s_wait_alu 0xfffd
	v_dual_cndmask_b32 v1, v16, v1 :: v_dual_cndmask_b32 v0, v15, v0
	v_add_co_u32 v3, vcc_lo, v4, v3
	s_wait_alu 0xfffd
	v_add_co_ci_u32_e64 v2, null, v5, v2, vcc_lo
	v_mov_b32_e32 v4, 0
	s_delay_alu instid0(VALU_DEP_3) | instskip(SKIP_1) | instid1(VALU_DEP_3)
	v_add_co_u32 v19, vcc_lo, v3, v0
	s_wait_alu 0xfffd
	v_add_co_ci_u32_e64 v20, null, v2, v1, vcc_lo
	v_dual_mov_b32 v18, v12 :: v_dual_mov_b32 v17, v11
	v_dual_mov_b32 v5, v4 :: v_dual_mov_b32 v6, v4
	s_delay_alu instid0(VALU_DEP_3) | instskip(SKIP_1) | instid1(VALU_DEP_3)
	v_lshrrev_b64 v[21:22], 3, v[19:20]
	v_mov_b32_e32 v7, v4
	v_dual_mov_b32 v0, v4 :: v_dual_mov_b32 v1, v5
	s_delay_alu instid0(VALU_DEP_4) | instskip(SKIP_1) | instid1(VALU_DEP_4)
	v_mov_b32_e32 v2, v6
	v_cmp_lt_u64_e32 vcc_lo, 23, v[19:20]
	v_mov_b32_e32 v3, v7
	v_add_co_u32 v7, s3, v21, 1
	v_mov_b32_e32 v5, v9
	s_wait_alu 0xf1ff
	v_add_co_ci_u32_e64 v20, null, 0, v22, s3
	v_mov_b32_e32 v6, v10
	s_and_saveexec_b32 s10, vcc_lo
	s_cbranch_execz .LBB66_23
; %bb.20:
	v_lshlrev_b64_e32 v[0:1], 2, v[11:12]
	v_dual_mov_b32 v2, 0 :: v_dual_and_b32 v19, -4, v7
	v_dual_mov_b32 v5, v9 :: v_dual_mov_b32 v6, v10
	v_dual_mov_b32 v18, v12 :: v_dual_mov_b32 v17, v11
	s_delay_alu instid0(VALU_DEP_4) | instskip(SKIP_3) | instid1(VALU_DEP_3)
	v_add_co_u32 v0, vcc_lo, s8, v0
	s_wait_alu 0xfffd
	v_add_co_ci_u32_e64 v3, null, s9, v1, vcc_lo
	v_mov_b32_e32 v1, 0
	v_add_co_u32 v21, vcc_lo, v0, 64
	s_wait_alu 0xfffd
	s_delay_alu instid0(VALU_DEP_3)
	v_add_co_ci_u32_e64 v22, null, 0, v3, vcc_lo
	v_mov_b32_e32 v0, 0
.LBB66_21:                              ; =>This Inner Loop Header: Depth=1
	s_clause 0x3
	global_load_b32 v3, v[21:22], off offset:-64
	global_load_b32 v36, v[21:22], off offset:-32
	global_load_b32 v37, v[21:22], off
	global_load_b32 v42, v[21:22], off offset:32
	s_clause 0x2
	global_load_b128 v[24:27], v[5:6], off
	global_load_b128 v[28:31], v[5:6], off offset:128
	global_load_b128 v[32:35], v[5:6], off offset:256
	s_wait_loadcnt 0x6
	v_subrev_nc_u32_e32 v3, s12, v3
	s_wait_loadcnt 0x5
	v_subrev_nc_u32_e32 v36, s12, v36
	;; [unrolled: 2-line block ×3, first 2 shown]
	s_wait_loadcnt 0x2
	v_bfe_i32 v45, v27, 0, 8
	v_lshlrev_b32_e32 v3, 2, v3
	v_lshlrev_b32_e32 v36, 2, v36
	;; [unrolled: 1-line block ×3, first 2 shown]
	s_wait_loadcnt 0x1
	v_lshrrev_b16 v46, 8, v31
	v_ashrrev_i32_e32 v47, 24, v31
	v_ashrrev_i32_e32 v39, 31, v3
	;; [unrolled: 1-line block ×4, first 2 shown]
	s_wait_kmcnt 0x0
	v_add_co_u32 v40, s4, s6, v3
	v_add_co_u32 v36, vcc_lo, s6, v36
	v_add_co_u32 v38, s3, s6, v37
	s_wait_alu 0xf1ff
	v_add_co_ci_u32_e64 v41, null, s7, v39, s4
	s_wait_alu 0xfffd
	v_add_co_ci_u32_e64 v37, null, s7, v43, vcc_lo
	v_add_co_ci_u32_e64 v39, null, s7, v44, s3
	s_clause 0x2
	global_load_b32 v3, v[40:41], off
	global_load_b32 v43, v[36:37], off
	;; [unrolled: 1-line block ×3, first 2 shown]
	v_subrev_nc_u32_e32 v36, s12, v42
	v_ashrrev_i32_e32 v42, 24, v27
	v_bfe_i32 v48, v31, 16, 8
	v_bfe_i32 v31, v31, 0, 8
	;; [unrolled: 1-line block ×3, first 2 shown]
	v_lshlrev_b32_e32 v36, 2, v36
	s_wait_loadcnt 0x3
	v_bfe_i32 v51, v35, 16, 8
	v_bfe_i32 v49, v35, 0, 8
	;; [unrolled: 1-line block ×3, first 2 shown]
	v_ashrrev_i32_e32 v35, 24, v35
	v_ashrrev_i32_e32 v37, 31, v36
	v_add_co_u32 v40, vcc_lo, s6, v36
	s_wait_alu 0xfffd
	s_delay_alu instid0(VALU_DEP_2)
	v_add_co_ci_u32_e64 v41, null, s7, v37, vcc_lo
	global_load_b128 v[36:39], v[5:6], off offset:384
	global_load_b32 v40, v[40:41], off
	v_lshrrev_b16 v41, 8, v27
	v_bfe_i32 v27, v27, 16, 8
	v_add_co_u32 v5, vcc_lo, 0x200, v5
	s_wait_alu 0xfffd
	v_add_co_ci_u32_e64 v6, null, 0, v6, vcc_lo
	v_bfe_i32 v41, v41, 0, 8
	v_add_co_u32 v17, vcc_lo, v17, 32
	s_wait_alu 0xfffd
	v_add_co_ci_u32_e64 v18, null, 0, v18, vcc_lo
	v_add_co_u32 v19, vcc_lo, v19, -4
	s_wait_alu 0xfffd
	v_add_co_ci_u32_e64 v20, null, -1, v20, vcc_lo
	v_add_co_u32 v21, vcc_lo, 0x80, v21
	s_wait_alu 0xfffd
	v_add_co_ci_u32_e64 v22, null, 0, v22, vcc_lo
	s_delay_alu instid0(VALU_DEP_3)
	v_cmp_eq_u64_e32 vcc_lo, 0, v[19:20]
	s_wait_alu 0xfffe
	s_or_b32 s11, vcc_lo, s11
	s_wait_loadcnt 0x4
	v_lshrrev_b16 v52, 8, v3
	v_ashrrev_i32_e32 v53, 24, v3
	v_bfe_i32 v54, v3, 0, 8
	v_bfe_i32 v55, v3, 16, 8
	v_dot4_i32_iu8 v0, v3, v24, v0 neg_lo:[1,1,0]
	v_dot4_i32_iu8 v1, v3, v25, v1 neg_lo:[1,1,0]
	;; [unrolled: 1-line block ×3, first 2 shown]
	s_wait_loadcnt 0x3
	v_lshrrev_b16 v3, 8, v43
	v_ashrrev_i32_e32 v24, 24, v43
	v_bfe_i32 v25, v43, 16, 8
	v_bfe_i32 v26, v43, 0, 8
	;; [unrolled: 1-line block ×4, first 2 shown]
	v_mul_i32_i24_e32 v24, v47, v24
	s_wait_loadcnt 0x2
	v_bfe_i32 v56, v44, 16, 8
	v_mul_i32_i24_e32 v26, v31, v26
	v_mul_i32_i24_e32 v25, v48, v25
	;; [unrolled: 1-line block ×4, first 2 shown]
	v_mad_i32_i24 v24, v42, v53, v24
	v_bfe_i32 v58, v44, 8, 8
	v_bfe_i32 v59, v44, 0, 8
	v_mul_i32_i24_e32 v41, v51, v56
	v_mad_i32_i24 v25, v27, v55, v25
	v_mad_i32_i24 v26, v45, v54, v26
	v_add3_u32 v3, v31, v3, v24
	v_ashrrev_i32_e32 v57, 24, v44
	v_mul_i32_i24_e32 v24, v59, v49
	v_mad_i32_i24 v27, v58, v50, v41
	v_dot4_i32_iu8 v0, v43, v28, v0 neg_lo:[1,1,0]
	v_add3_u32 v3, v26, v25, v3
	v_dot4_i32_iu8 v1, v43, v29, v1 neg_lo:[1,1,0]
	v_dot4_i32_iu8 v2, v43, v30, v2 neg_lo:[1,1,0]
	v_mul_i32_i24_e32 v25, v35, v57
	v_dot4_i32_iu8 v0, v44, v32, v0 neg_lo:[1,1,0]
	v_add3_u32 v3, v3, v24, v27
	v_dot4_i32_iu8 v1, v33, v44, v1 neg_lo:[1,1,0]
	v_dot4_i32_iu8 v2, v34, v44, v2 neg_lo:[1,1,0]
	s_wait_loadcnt 0x0
	v_dot4_i32_iu8 v0, v40, v36, v0 neg_lo:[1,1,0]
	v_add3_u32 v3, v3, v4, v25
	v_dot4_i32_iu8 v1, v40, v37, v1 neg_lo:[1,1,0]
	v_dot4_i32_iu8 v2, v40, v38, v2 neg_lo:[1,1,0]
	s_delay_alu instid0(VALU_DEP_3)
	v_dot4_i32_iu8 v4, v40, v39, v3 neg_lo:[1,1,0]
	s_wait_alu 0xfffe
	s_and_not1_b32 exec_lo, exec_lo, s11
	s_cbranch_execnz .LBB66_21
; %bb.22:
	s_or_b32 exec_lo, exec_lo, s11
	v_mov_b32_e32 v3, v4
.LBB66_23:
	s_wait_alu 0xfffe
	s_or_b32 exec_lo, exec_lo, s10
	v_dual_mov_b32 v20, 0 :: v_dual_and_b32 v19, 3, v7
	s_mov_b32 s3, exec_lo
	s_delay_alu instid0(VALU_DEP_1)
	v_cmpx_ne_u64_e32 0, v[19:20]
	s_cbranch_execz .LBB66_27
; %bb.24:
	v_lshlrev_b64_e32 v[17:18], 2, v[17:18]
	v_lshlrev_b32_e32 v19, 2, v19
	s_mov_b32 s4, 0
	s_delay_alu instid0(VALU_DEP_2) | instskip(SKIP_1) | instid1(VALU_DEP_3)
	v_add_co_u32 v17, vcc_lo, s8, v17
	s_wait_alu 0xfffd
	v_add_co_ci_u32_e64 v18, null, s9, v18, vcc_lo
.LBB66_25:                              ; =>This Inner Loop Header: Depth=1
	global_load_b32 v4, v[17:18], off
	s_wait_loadcnt 0x0
	v_subrev_nc_u32_e32 v4, s12, v4
	s_delay_alu instid0(VALU_DEP_1) | instskip(NEXT) | instid1(VALU_DEP_1)
	v_lshlrev_b32_e32 v4, 2, v4
	v_ashrrev_i32_e32 v7, 31, v4
	s_wait_kmcnt 0x0
	v_add_co_u32 v21, vcc_lo, s6, v4
	s_wait_alu 0xfffd
	s_delay_alu instid0(VALU_DEP_2)
	v_add_co_ci_u32_e64 v22, null, s7, v7, vcc_lo
	global_load_b128 v[24:27], v[5:6], off
	global_load_b32 v4, v[21:22], off
	v_add_co_u32 v5, vcc_lo, 0x80, v5
	s_wait_alu 0xfffd
	v_add_co_ci_u32_e64 v6, null, 0, v6, vcc_lo
	v_add_co_u32 v19, vcc_lo, v19, -4
	s_wait_alu 0xfffd
	v_add_co_ci_u32_e64 v20, null, -1, v20, vcc_lo
	v_add_co_u32 v17, vcc_lo, v17, 32
	s_wait_alu 0xfffd
	v_add_co_ci_u32_e64 v18, null, 0, v18, vcc_lo
	s_delay_alu instid0(VALU_DEP_3)
	v_cmp_eq_u64_e32 vcc_lo, 0, v[19:20]
	s_wait_alu 0xfffe
	s_or_b32 s4, vcc_lo, s4
	s_wait_loadcnt 0x0
	v_dot4_i32_iu8 v3, v4, v27, v3 neg_lo:[1,1,0]
	v_dot4_i32_iu8 v2, v4, v26, v2 neg_lo:[1,1,0]
	;; [unrolled: 1-line block ×4, first 2 shown]
	s_wait_alu 0xfffe
	s_and_not1_b32 exec_lo, exec_lo, s4
	s_cbranch_execnz .LBB66_25
; %bb.26:
	s_or_b32 exec_lo, exec_lo, s4
	v_mov_b32_e32 v4, v3
.LBB66_27:
	s_wait_alu 0xfffe
	s_or_b32 exec_lo, exec_lo, s3
.LBB66_28:
	s_wait_alu 0xfffe
	s_or_b32 exec_lo, exec_lo, s5
	s_cbranch_execz .LBB66_30
	s_branch .LBB66_41
.LBB66_29:
                                        ; implicit-def: $vgpr4
                                        ; implicit-def: $vgpr2
.LBB66_30:
	v_dual_mov_b32 v4, 0 :: v_dual_mov_b32 v1, 0
	v_mov_b32_e32 v2, 0
	v_mov_b32_e32 v0, 0
	s_and_saveexec_b32 s4, s2
	s_cbranch_execz .LBB66_40
; %bb.31:
	v_or_b32_e32 v0, 8, v23
	v_not_b32_e32 v3, v13
	v_not_b32_e32 v2, v14
	s_mov_b32 s10, 0
	s_delay_alu instid0(VALU_DEP_3) | instskip(SKIP_3) | instid1(VALU_DEP_3)
	v_sub_co_u32 v0, s2, v0, s12
	s_wait_alu 0xf1ff
	v_sub_co_ci_u32_e64 v1, null, 0, 0, s2
	v_sub_co_u32 v4, s2, s12, v23
	v_add_co_u32 v0, vcc_lo, v0, v13
	s_wait_alu 0xfffd
	s_delay_alu instid0(VALU_DEP_3) | instskip(SKIP_2) | instid1(VALU_DEP_2)
	v_add_co_ci_u32_e64 v1, null, v1, v14, vcc_lo
	s_wait_alu 0xf1ff
	v_sub_co_ci_u32_e64 v5, null, 0, 0, s2
	v_cmp_gt_i64_e32 vcc_lo, v[0:1], v[15:16]
	s_wait_alu 0xfffd
	v_dual_cndmask_b32 v1, v16, v1 :: v_dual_cndmask_b32 v0, v15, v0
	v_add_co_u32 v3, vcc_lo, v4, v3
	s_wait_alu 0xfffd
	v_add_co_ci_u32_e64 v2, null, v5, v2, vcc_lo
	v_mov_b32_e32 v4, 0
	s_delay_alu instid0(VALU_DEP_3) | instskip(SKIP_1) | instid1(VALU_DEP_3)
	v_add_co_u32 v0, vcc_lo, v3, v0
	s_wait_alu 0xfffd
	v_add_co_ci_u32_e64 v1, null, v2, v1, vcc_lo
	s_delay_alu instid0(VALU_DEP_3) | instskip(SKIP_1) | instid1(VALU_DEP_3)
	v_dual_mov_b32 v5, v4 :: v_dual_mov_b32 v6, v4
	v_mov_b32_e32 v7, v4
	v_lshrrev_b64 v[2:3], 3, v[0:1]
	v_cmp_lt_u64_e32 vcc_lo, 23, v[0:1]
	s_delay_alu instid0(VALU_DEP_2) | instskip(SKIP_1) | instid1(VALU_DEP_3)
	v_add_co_u32 v15, s2, v2, 1
	s_wait_alu 0xf1ff
	v_add_co_ci_u32_e64 v14, null, 0, v3, s2
	v_dual_mov_b32 v0, v4 :: v_dual_mov_b32 v1, v5
	v_dual_mov_b32 v2, v6 :: v_dual_mov_b32 v3, v7
	s_and_saveexec_b32 s5, vcc_lo
	s_cbranch_execz .LBB66_35
; %bb.32:
	v_lshlrev_b64_e32 v[0:1], 2, v[11:12]
	v_dual_mov_b32 v2, 0 :: v_dual_and_b32 v13, -4, v15
	s_delay_alu instid0(VALU_DEP_2) | instskip(SKIP_1) | instid1(VALU_DEP_3)
	v_add_co_u32 v0, vcc_lo, s8, v0
	s_wait_alu 0xfffd
	v_add_co_ci_u32_e64 v3, null, s9, v1, vcc_lo
	v_mov_b32_e32 v1, 0
	s_delay_alu instid0(VALU_DEP_3) | instskip(SKIP_1) | instid1(VALU_DEP_3)
	v_add_co_u32 v5, vcc_lo, v0, 64
	s_wait_alu 0xfffd
	v_add_co_ci_u32_e64 v6, null, 0, v3, vcc_lo
	v_mov_b32_e32 v0, 0
.LBB66_33:                              ; =>This Inner Loop Header: Depth=1
	s_clause 0x3
	global_load_b32 v3, v[5:6], off offset:-64
	global_load_b32 v7, v[5:6], off offset:-32
	global_load_b32 v20, v[5:6], off
	global_load_b32 v21, v[5:6], off offset:32
	s_clause 0x2
	global_load_b128 v[16:19], v[9:10], off
	global_load_b128 v[24:27], v[9:10], off offset:128
	global_load_b128 v[28:31], v[9:10], off offset:256
	s_wait_loadcnt 0x6
	v_subrev_nc_u32_e32 v3, s12, v3
	s_wait_loadcnt 0x5
	v_subrev_nc_u32_e32 v7, s12, v7
	;; [unrolled: 2-line block ×4, first 2 shown]
	s_wait_loadcnt 0x2
	v_perm_b32 v37, v18, v17, 0xc05010c
	v_lshlrev_b32_e32 v3, 2, v3
	v_lshlrev_b32_e32 v7, 2, v7
	;; [unrolled: 1-line block ×4, first 2 shown]
	v_perm_b32 v39, v18, v17, 0xc06020c
	v_ashrrev_i32_e32 v21, 31, v3
	v_ashrrev_i32_e32 v33, 31, v7
	s_wait_kmcnt 0x0
	v_add_co_u32 v20, vcc_lo, s6, v7
	v_ashrrev_i32_e32 v7, 31, v22
	v_add_co_u32 v34, s3, s6, v3
	v_add_co_u32 v32, s2, s6, v22
	s_wait_alu 0xf1ff
	v_add_co_ci_u32_e64 v35, null, s7, v21, s3
	s_wait_alu 0xfffd
	v_add_co_ci_u32_e64 v21, null, s7, v33, vcc_lo
	v_add_co_ci_u32_e64 v33, null, s7, v7, s2
	s_clause 0x2
	global_load_b32 v3, v[34:35], off
	global_load_b32 v7, v[20:21], off
	;; [unrolled: 1-line block ×3, first 2 shown]
	global_load_b128 v[32:35], v[9:10], off offset:384
	v_ashrrev_i32_e32 v21, 31, v36
	v_add_co_u32 v20, vcc_lo, s6, v36
	s_wait_loadcnt 0x5
	v_perm_b32 v41, v26, v25, 0x4000c0c
	v_perm_b32 v42, v24, v19, 0xc0c0501
	s_wait_alu 0xfffd
	v_add_co_ci_u32_e64 v21, null, s7, v21, vcc_lo
	v_perm_b32 v43, v26, v25, 0x5010c0c
	v_perm_b32 v44, v24, v19, 0xc0c0602
	;; [unrolled: 1-line block ×3, first 2 shown]
	global_load_b32 v20, v[20:21], off
	v_perm_b32 v21, v18, v17, 0xc04000c
	v_perm_b32 v17, v18, v17, 0xc07030c
	;; [unrolled: 1-line block ×5, first 2 shown]
	s_wait_loadcnt 0x5
	v_lshrrev_b32_e32 v25, 16, v31
	v_perm_b32 v26, v28, v27, 0xc0c0400
	v_perm_b32 v47, v28, v27, 0xc0c0501
	;; [unrolled: 1-line block ×9, first 2 shown]
	v_or_b32_e32 v27, v28, v27
	v_ashrrev_i16 v28, 8, v25
	v_bfe_i32 v25, v25, 0, 8
	v_perm_b32 v46, v30, v29, 0x4000c0c
	v_perm_b32 v48, v30, v29, 0x5010c0c
	;; [unrolled: 1-line block ×3, first 2 shown]
	v_ashrrev_i16 v29, 8, v31
	v_bfe_i32 v30, v31, 0, 8
	v_or_b32_e32 v21, v21, v36
	v_or_b32_e32 v16, v17, v16
	v_perm_b32 v25, v28, v25, 0x5040100
	v_or_b32_e32 v17, v41, v18
	v_or_b32_e32 v18, v43, v42
	;; [unrolled: 1-line block ×4, first 2 shown]
	v_perm_b32 v29, v29, v30, 0x5040100
	v_or_b32_e32 v24, v46, v26
	v_or_b32_e32 v26, v48, v47
	v_add_co_u32 v9, vcc_lo, 0x200, v9
	s_wait_alu 0xfffd
	v_add_co_ci_u32_e64 v10, null, 0, v10, vcc_lo
	v_add_co_u32 v11, vcc_lo, v11, 32
	s_wait_alu 0xfffd
	v_add_co_ci_u32_e64 v12, null, 0, v12, vcc_lo
	v_add_co_u32 v13, vcc_lo, v13, -4
	s_wait_alu 0xfffd
	v_add_co_ci_u32_e64 v14, null, -1, v14, vcc_lo
	v_add_co_u32 v5, vcc_lo, 0x80, v5
	s_wait_alu 0xfffd
	v_add_co_ci_u32_e64 v6, null, 0, v6, vcc_lo
	s_delay_alu instid0(VALU_DEP_3)
	v_cmp_eq_u64_e32 vcc_lo, 0, v[13:14]
	s_wait_alu 0xfffe
	s_or_b32 s10, vcc_lo, s10
	s_wait_loadcnt 0x4
	v_perm_b32 v28, v3, v3, 0xc020100
	s_wait_loadcnt 0x3
	v_perm_b32 v3, v7, v3, 0x6050403
	;; [unrolled: 2-line block ×4, first 2 shown]
	v_perm_b32 v51, v35, v34, 0x7030c0c
	v_perm_b32 v52, v33, v32, 0xc0c0602
	;; [unrolled: 1-line block ×7, first 2 shown]
	v_or_b32_e32 v34, v37, v38
	v_or_b32_e32 v35, v39, v40
	v_lshrrev_b32_e32 v39, 24, v22
	v_dot4_i32_iu8 v0, v28, v21, v0 neg_lo:[1,1,0]
	v_dot4_i32_iu8 v4, v16, v28, v4 neg_lo:[1,1,0]
	v_dot4_i32_iu8 v1, v34, v28, v1 neg_lo:[1,1,0]
	v_dot4_i32_iu8 v2, v35, v28, v2 neg_lo:[1,1,0]
	v_bfe_i32 v16, v39, 0, 8
	v_or_b32_e32 v37, v50, v49
	v_dot4_i32_iu8 v0, v3, v17, v0 neg_lo:[1,1,0]
	v_dot4_i32_iu8 v1, v18, v3, v1 neg_lo:[1,1,0]
	;; [unrolled: 1-line block ×4, first 2 shown]
	v_pk_mul_lo_u16 v4, v16, v25 op_sel_hi:[0,1]
	v_pk_mul_lo_u16 v16, v16, v29 op_sel_hi:[0,1]
	v_dot4_i32_iu8 v0, v7, v24, v0 neg_lo:[1,1,0]
	v_dot4_i32_iu8 v1, v26, v7, v1 neg_lo:[1,1,0]
	;; [unrolled: 1-line block ×4, first 2 shown]
	v_ashrrev_i32_e32 v7, 16, v4
	v_bfe_i32 v4, v4, 0, 16
	v_ashrrev_i32_e32 v17, 16, v16
	v_bfe_i32 v16, v16, 0, 16
	v_or_b32_e32 v30, v51, v31
	v_or_b32_e32 v31, v53, v52
	;; [unrolled: 1-line block ×4, first 2 shown]
	v_add_nc_u32_e32 v3, v3, v7
	v_add_nc_u32_e32 v2, v2, v4
	;; [unrolled: 1-line block ×4, first 2 shown]
	s_wait_loadcnt 0x0
	v_dot4_i32_iu8 v4, v20, v30, v3 neg_lo:[1,1,0]
	v_dot4_i32_iu8 v2, v20, v31, v2 neg_lo:[1,1,0]
	v_dot4_i32_iu8 v1, v20, v38, v1 neg_lo:[1,1,0]
	v_dot4_i32_iu8 v0, v20, v18, v0 neg_lo:[1,1,0]
	s_wait_alu 0xfffe
	s_and_not1_b32 exec_lo, exec_lo, s10
	s_cbranch_execnz .LBB66_33
; %bb.34:
	s_or_b32 exec_lo, exec_lo, s10
	v_mov_b32_e32 v3, v4
.LBB66_35:
	s_wait_alu 0xfffe
	s_or_b32 exec_lo, exec_lo, s5
	v_dual_mov_b32 v6, 0 :: v_dual_and_b32 v5, 3, v15
	s_mov_b32 s2, exec_lo
	s_delay_alu instid0(VALU_DEP_1)
	v_cmpx_ne_u64_e32 0, v[5:6]
	s_cbranch_execz .LBB66_39
; %bb.36:
	v_lshlrev_b64_e32 v[11:12], 2, v[11:12]
	v_lshlrev_b32_e32 v5, 2, v5
	s_mov_b32 s3, 0
	s_delay_alu instid0(VALU_DEP_2) | instskip(SKIP_1) | instid1(VALU_DEP_3)
	v_add_co_u32 v11, vcc_lo, s8, v11
	s_wait_alu 0xfffd
	v_add_co_ci_u32_e64 v12, null, s9, v12, vcc_lo
.LBB66_37:                              ; =>This Inner Loop Header: Depth=1
	global_load_b32 v4, v[11:12], off
	global_load_b128 v[13:16], v[9:10], off
	s_wait_loadcnt 0x1
	v_subrev_nc_u32_e32 v4, s12, v4
	s_wait_loadcnt 0x0
	v_perm_b32 v19, v16, v15, 0x6020c0c
	v_perm_b32 v20, v14, v13, 0xc0c0501
	;; [unrolled: 1-line block ×3, first 2 shown]
	v_lshlrev_b32_e32 v4, 2, v4
	s_delay_alu instid0(VALU_DEP_1) | instskip(SKIP_3) | instid1(VALU_DEP_2)
	v_ashrrev_i32_e32 v7, 31, v4
	s_wait_kmcnt 0x0
	v_add_co_u32 v17, vcc_lo, s6, v4
	s_wait_alu 0xfffd
	v_add_co_ci_u32_e64 v18, null, s7, v7, vcc_lo
	v_add_co_u32 v9, vcc_lo, 0x80, v9
	s_wait_alu 0xfffd
	v_add_co_ci_u32_e64 v10, null, 0, v10, vcc_lo
	global_load_b32 v4, v[17:18], off
	v_add_co_u32 v11, vcc_lo, v11, 32
	s_wait_alu 0xfffd
	v_add_co_ci_u32_e64 v12, null, 0, v12, vcc_lo
	v_add_co_u32 v5, vcc_lo, v5, -4
	v_perm_b32 v7, v14, v13, 0xc0c0703
	v_perm_b32 v17, v16, v15, 0x7030c0c
	;; [unrolled: 1-line block ×5, first 2 shown]
	s_wait_alu 0xfffd
	v_add_co_ci_u32_e64 v6, null, -1, v6, vcc_lo
	v_or_b32_e32 v7, v17, v7
	v_or_b32_e32 v15, v19, v18
	;; [unrolled: 1-line block ×4, first 2 shown]
	v_cmp_eq_u64_e32 vcc_lo, 0, v[5:6]
	s_wait_alu 0xfffe
	s_or_b32 s3, vcc_lo, s3
	s_wait_loadcnt 0x0
	v_dot4_i32_iu8 v3, v4, v7, v3 neg_lo:[1,1,0]
	v_dot4_i32_iu8 v2, v4, v15, v2 neg_lo:[1,1,0]
	;; [unrolled: 1-line block ×4, first 2 shown]
	s_wait_alu 0xfffe
	s_and_not1_b32 exec_lo, exec_lo, s3
	s_cbranch_execnz .LBB66_37
; %bb.38:
	s_or_b32 exec_lo, exec_lo, s3
	v_mov_b32_e32 v4, v3
.LBB66_39:
	s_wait_alu 0xfffe
	s_or_b32 exec_lo, exec_lo, s2
.LBB66_40:
	s_wait_alu 0xfffe
	s_or_b32 exec_lo, exec_lo, s4
.LBB66_41:
	v_mbcnt_lo_u32_b32 v3, -1, 0
	s_mov_b32 s2, -1
	s_delay_alu instid0(VALU_DEP_1) | instskip(SKIP_1) | instid1(VALU_DEP_2)
	v_xor_b32_e32 v5, 4, v3
	v_xor_b32_e32 v10, 2, v3
	v_cmp_gt_i32_e32 vcc_lo, 32, v5
	s_wait_alu 0xfffd
	v_cndmask_b32_e32 v5, v3, v5, vcc_lo
	s_delay_alu instid0(VALU_DEP_3) | instskip(SKIP_2) | instid1(VALU_DEP_1)
	v_cmp_gt_i32_e32 vcc_lo, 32, v10
	s_wait_alu 0xfffd
	v_cndmask_b32_e32 v10, v3, v10, vcc_lo
	v_lshlrev_b32_e32 v10, 2, v10
	v_lshlrev_b32_e32 v5, 2, v5
	ds_bpermute_b32 v6, v5, v0
	ds_bpermute_b32 v7, v5, v1
	;; [unrolled: 1-line block ×4, first 2 shown]
	s_wait_dscnt 0x3
	v_add_nc_u32_e32 v0, v6, v0
	s_wait_dscnt 0x2
	v_add_nc_u32_e32 v1, v7, v1
	;; [unrolled: 2-line block ×4, first 2 shown]
	ds_bpermute_b32 v5, v10, v0
	ds_bpermute_b32 v6, v10, v1
	;; [unrolled: 1-line block ×4, first 2 shown]
	v_xor_b32_e32 v10, 1, v3
	s_delay_alu instid0(VALU_DEP_1) | instskip(SKIP_3) | instid1(VALU_DEP_2)
	v_cmp_gt_i32_e32 vcc_lo, 32, v10
	s_wait_alu 0xfffd
	v_cndmask_b32_e32 v3, v3, v10, vcc_lo
	v_cmp_eq_u32_e32 vcc_lo, 7, v23
	v_lshlrev_b32_e32 v10, 2, v3
	s_wait_dscnt 0x3
	v_add_nc_u32_e32 v0, v5, v0
	s_wait_dscnt 0x2
	v_add_nc_u32_e32 v1, v6, v1
	;; [unrolled: 2-line block ×4, first 2 shown]
	ds_bpermute_b32 v4, v10, v0
	ds_bpermute_b32 v5, v10, v1
	;; [unrolled: 1-line block ×4, first 2 shown]
	s_and_b32 exec_lo, exec_lo, vcc_lo
	s_cbranch_execz .LBB66_14
; %bb.42:
	s_load_b64 s[0:1], s[0:1], 0x50
	s_wait_dscnt 0x3
	v_add_nc_u32_e32 v0, v4, v0
	s_wait_dscnt 0x2
	v_add_nc_u32_e32 v1, v5, v1
	;; [unrolled: 2-line block ×4, first 2 shown]
	v_lshlrev_b32_e32 v4, 2, v8
	v_mul_lo_u32 v0, v0, s13
	v_mul_lo_u32 v1, v1, s13
	;; [unrolled: 1-line block ×4, first 2 shown]
	s_cmp_eq_u32 s14, 0
	s_cbranch_scc1 .LBB66_44
; %bb.43:
	v_ashrrev_i32_e32 v5, 31, v4
	s_mov_b32 s2, 0
	s_delay_alu instid0(VALU_DEP_1) | instskip(SKIP_1) | instid1(VALU_DEP_1)
	v_lshlrev_b64_e32 v[5:6], 2, v[4:5]
	s_wait_kmcnt 0x0
	v_add_co_u32 v12, vcc_lo, s0, v5
	s_wait_alu 0xfffd
	s_delay_alu instid0(VALU_DEP_2)
	v_add_co_ci_u32_e64 v13, null, s1, v6, vcc_lo
	global_load_b128 v[5:8], v[12:13], off
	s_wait_loadcnt 0x0
	v_mad_co_u64_u32 v[14:15], null, v8, s14, v[3:4]
	v_mad_co_u64_u32 v[8:9], null, v5, s14, v[0:1]
	;; [unrolled: 1-line block ×4, first 2 shown]
	s_delay_alu instid0(VALU_DEP_4)
	v_mov_b32_e32 v11, v14
	global_store_b128 v[12:13], v[8:11], off
.LBB66_44:
	s_wait_alu 0xfffe
	s_and_not1_b32 vcc_lo, exec_lo, s2
	s_wait_alu 0xfffe
	s_cbranch_vccnz .LBB66_14
; %bb.45:
	v_ashrrev_i32_e32 v5, 31, v4
	s_delay_alu instid0(VALU_DEP_1) | instskip(SKIP_1) | instid1(VALU_DEP_1)
	v_lshlrev_b64_e32 v[4:5], 2, v[4:5]
	s_wait_kmcnt 0x0
	v_add_co_u32 v4, vcc_lo, s0, v4
	s_wait_alu 0xfffd
	s_delay_alu instid0(VALU_DEP_2)
	v_add_co_ci_u32_e64 v5, null, s1, v5, vcc_lo
	global_store_b128 v[4:5], v[0:3], off
	s_endpgm
	.section	.rodata,"a",@progbits
	.p2align	6, 0x0
	.amdhsa_kernel _ZN9rocsparseL18bsrxmvn_4x4_kernelILj128ELj8EiliaaiEEvT3_20rocsparse_direction_NS_24const_host_device_scalarIT1_EES1_PKS1_PKT2_SA_S7_PKT4_PKT5_S5_PT6_21rocsparse_index_base_b
		.amdhsa_group_segment_fixed_size 0
		.amdhsa_private_segment_fixed_size 0
		.amdhsa_kernarg_size 96
		.amdhsa_user_sgpr_count 2
		.amdhsa_user_sgpr_dispatch_ptr 0
		.amdhsa_user_sgpr_queue_ptr 0
		.amdhsa_user_sgpr_kernarg_segment_ptr 1
		.amdhsa_user_sgpr_dispatch_id 0
		.amdhsa_user_sgpr_private_segment_size 0
		.amdhsa_wavefront_size32 1
		.amdhsa_uses_dynamic_stack 0
		.amdhsa_enable_private_segment 0
		.amdhsa_system_sgpr_workgroup_id_x 1
		.amdhsa_system_sgpr_workgroup_id_y 0
		.amdhsa_system_sgpr_workgroup_id_z 0
		.amdhsa_system_sgpr_workgroup_info 0
		.amdhsa_system_vgpr_workitem_id 0
		.amdhsa_next_free_vgpr 60
		.amdhsa_next_free_sgpr 15
		.amdhsa_reserve_vcc 1
		.amdhsa_float_round_mode_32 0
		.amdhsa_float_round_mode_16_64 0
		.amdhsa_float_denorm_mode_32 3
		.amdhsa_float_denorm_mode_16_64 3
		.amdhsa_fp16_overflow 0
		.amdhsa_workgroup_processor_mode 1
		.amdhsa_memory_ordered 1
		.amdhsa_forward_progress 1
		.amdhsa_inst_pref_size 37
		.amdhsa_round_robin_scheduling 0
		.amdhsa_exception_fp_ieee_invalid_op 0
		.amdhsa_exception_fp_denorm_src 0
		.amdhsa_exception_fp_ieee_div_zero 0
		.amdhsa_exception_fp_ieee_overflow 0
		.amdhsa_exception_fp_ieee_underflow 0
		.amdhsa_exception_fp_ieee_inexact 0
		.amdhsa_exception_int_div_zero 0
	.end_amdhsa_kernel
	.section	.text._ZN9rocsparseL18bsrxmvn_4x4_kernelILj128ELj8EiliaaiEEvT3_20rocsparse_direction_NS_24const_host_device_scalarIT1_EES1_PKS1_PKT2_SA_S7_PKT4_PKT5_S5_PT6_21rocsparse_index_base_b,"axG",@progbits,_ZN9rocsparseL18bsrxmvn_4x4_kernelILj128ELj8EiliaaiEEvT3_20rocsparse_direction_NS_24const_host_device_scalarIT1_EES1_PKS1_PKT2_SA_S7_PKT4_PKT5_S5_PT6_21rocsparse_index_base_b,comdat
.Lfunc_end66:
	.size	_ZN9rocsparseL18bsrxmvn_4x4_kernelILj128ELj8EiliaaiEEvT3_20rocsparse_direction_NS_24const_host_device_scalarIT1_EES1_PKS1_PKT2_SA_S7_PKT4_PKT5_S5_PT6_21rocsparse_index_base_b, .Lfunc_end66-_ZN9rocsparseL18bsrxmvn_4x4_kernelILj128ELj8EiliaaiEEvT3_20rocsparse_direction_NS_24const_host_device_scalarIT1_EES1_PKS1_PKT2_SA_S7_PKT4_PKT5_S5_PT6_21rocsparse_index_base_b
                                        ; -- End function
	.set _ZN9rocsparseL18bsrxmvn_4x4_kernelILj128ELj8EiliaaiEEvT3_20rocsparse_direction_NS_24const_host_device_scalarIT1_EES1_PKS1_PKT2_SA_S7_PKT4_PKT5_S5_PT6_21rocsparse_index_base_b.num_vgpr, 60
	.set _ZN9rocsparseL18bsrxmvn_4x4_kernelILj128ELj8EiliaaiEEvT3_20rocsparse_direction_NS_24const_host_device_scalarIT1_EES1_PKS1_PKT2_SA_S7_PKT4_PKT5_S5_PT6_21rocsparse_index_base_b.num_agpr, 0
	.set _ZN9rocsparseL18bsrxmvn_4x4_kernelILj128ELj8EiliaaiEEvT3_20rocsparse_direction_NS_24const_host_device_scalarIT1_EES1_PKS1_PKT2_SA_S7_PKT4_PKT5_S5_PT6_21rocsparse_index_base_b.numbered_sgpr, 15
	.set _ZN9rocsparseL18bsrxmvn_4x4_kernelILj128ELj8EiliaaiEEvT3_20rocsparse_direction_NS_24const_host_device_scalarIT1_EES1_PKS1_PKT2_SA_S7_PKT4_PKT5_S5_PT6_21rocsparse_index_base_b.num_named_barrier, 0
	.set _ZN9rocsparseL18bsrxmvn_4x4_kernelILj128ELj8EiliaaiEEvT3_20rocsparse_direction_NS_24const_host_device_scalarIT1_EES1_PKS1_PKT2_SA_S7_PKT4_PKT5_S5_PT6_21rocsparse_index_base_b.private_seg_size, 0
	.set _ZN9rocsparseL18bsrxmvn_4x4_kernelILj128ELj8EiliaaiEEvT3_20rocsparse_direction_NS_24const_host_device_scalarIT1_EES1_PKS1_PKT2_SA_S7_PKT4_PKT5_S5_PT6_21rocsparse_index_base_b.uses_vcc, 1
	.set _ZN9rocsparseL18bsrxmvn_4x4_kernelILj128ELj8EiliaaiEEvT3_20rocsparse_direction_NS_24const_host_device_scalarIT1_EES1_PKS1_PKT2_SA_S7_PKT4_PKT5_S5_PT6_21rocsparse_index_base_b.uses_flat_scratch, 0
	.set _ZN9rocsparseL18bsrxmvn_4x4_kernelILj128ELj8EiliaaiEEvT3_20rocsparse_direction_NS_24const_host_device_scalarIT1_EES1_PKS1_PKT2_SA_S7_PKT4_PKT5_S5_PT6_21rocsparse_index_base_b.has_dyn_sized_stack, 0
	.set _ZN9rocsparseL18bsrxmvn_4x4_kernelILj128ELj8EiliaaiEEvT3_20rocsparse_direction_NS_24const_host_device_scalarIT1_EES1_PKS1_PKT2_SA_S7_PKT4_PKT5_S5_PT6_21rocsparse_index_base_b.has_recursion, 0
	.set _ZN9rocsparseL18bsrxmvn_4x4_kernelILj128ELj8EiliaaiEEvT3_20rocsparse_direction_NS_24const_host_device_scalarIT1_EES1_PKS1_PKT2_SA_S7_PKT4_PKT5_S5_PT6_21rocsparse_index_base_b.has_indirect_call, 0
	.section	.AMDGPU.csdata,"",@progbits
; Kernel info:
; codeLenInByte = 4628
; TotalNumSgprs: 17
; NumVgprs: 60
; ScratchSize: 0
; MemoryBound: 0
; FloatMode: 240
; IeeeMode: 1
; LDSByteSize: 0 bytes/workgroup (compile time only)
; SGPRBlocks: 0
; VGPRBlocks: 7
; NumSGPRsForWavesPerEU: 17
; NumVGPRsForWavesPerEU: 60
; Occupancy: 16
; WaveLimiterHint : 1
; COMPUTE_PGM_RSRC2:SCRATCH_EN: 0
; COMPUTE_PGM_RSRC2:USER_SGPR: 2
; COMPUTE_PGM_RSRC2:TRAP_HANDLER: 0
; COMPUTE_PGM_RSRC2:TGID_X_EN: 1
; COMPUTE_PGM_RSRC2:TGID_Y_EN: 0
; COMPUTE_PGM_RSRC2:TGID_Z_EN: 0
; COMPUTE_PGM_RSRC2:TIDIG_COMP_CNT: 0
	.section	.text._ZN9rocsparseL18bsrxmvn_4x4_kernelILj128ELj16EiliaaiEEvT3_20rocsparse_direction_NS_24const_host_device_scalarIT1_EES1_PKS1_PKT2_SA_S7_PKT4_PKT5_S5_PT6_21rocsparse_index_base_b,"axG",@progbits,_ZN9rocsparseL18bsrxmvn_4x4_kernelILj128ELj16EiliaaiEEvT3_20rocsparse_direction_NS_24const_host_device_scalarIT1_EES1_PKS1_PKT2_SA_S7_PKT4_PKT5_S5_PT6_21rocsparse_index_base_b,comdat
	.globl	_ZN9rocsparseL18bsrxmvn_4x4_kernelILj128ELj16EiliaaiEEvT3_20rocsparse_direction_NS_24const_host_device_scalarIT1_EES1_PKS1_PKT2_SA_S7_PKT4_PKT5_S5_PT6_21rocsparse_index_base_b ; -- Begin function _ZN9rocsparseL18bsrxmvn_4x4_kernelILj128ELj16EiliaaiEEvT3_20rocsparse_direction_NS_24const_host_device_scalarIT1_EES1_PKS1_PKT2_SA_S7_PKT4_PKT5_S5_PT6_21rocsparse_index_base_b
	.p2align	8
	.type	_ZN9rocsparseL18bsrxmvn_4x4_kernelILj128ELj16EiliaaiEEvT3_20rocsparse_direction_NS_24const_host_device_scalarIT1_EES1_PKS1_PKT2_SA_S7_PKT4_PKT5_S5_PT6_21rocsparse_index_base_b,@function
_ZN9rocsparseL18bsrxmvn_4x4_kernelILj128ELj16EiliaaiEEvT3_20rocsparse_direction_NS_24const_host_device_scalarIT1_EES1_PKS1_PKT2_SA_S7_PKT4_PKT5_S5_PT6_21rocsparse_index_base_b: ; @_ZN9rocsparseL18bsrxmvn_4x4_kernelILj128ELj16EiliaaiEEvT3_20rocsparse_direction_NS_24const_host_device_scalarIT1_EES1_PKS1_PKT2_SA_S7_PKT4_PKT5_S5_PT6_21rocsparse_index_base_b
; %bb.0:
	s_clause 0x1
	s_load_b64 s[12:13], s[0:1], 0x58
	s_load_b64 s[4:5], s[0:1], 0x8
	s_mov_b32 s7, -1
	s_wait_kmcnt 0x0
	s_bitcmp1_b32 s13, 0
                                        ; implicit-def: $sgpr13
	s_cselect_b32 s2, -1, 0
	s_delay_alu instid0(SALU_CYCLE_1) | instskip(NEXT) | instid1(SALU_CYCLE_1)
	s_xor_b32 s6, s2, -1
	s_and_b32 vcc_lo, exec_lo, s6
	s_cbranch_vccnz .LBB67_4
; %bb.1:
	s_load_b64 s[2:3], s[0:1], 0x48
	s_and_not1_b32 vcc_lo, exec_lo, s7
	s_cbranch_vccz .LBB67_5
.LBB67_2:
	s_and_b32 vcc_lo, exec_lo, s6
	s_cbranch_vccz .LBB67_6
.LBB67_3:
	s_wait_kmcnt 0x0
	s_load_b32 s14, s[2:3], 0x0
	s_cbranch_execz .LBB67_7
	s_branch .LBB67_8
.LBB67_4:
	s_load_b32 s13, s[4:5], 0x0
	s_load_b64 s[2:3], s[0:1], 0x48
	s_cbranch_execnz .LBB67_2
.LBB67_5:
	s_wait_kmcnt 0x0
	s_mov_b32 s13, s4
	s_and_b32 vcc_lo, exec_lo, s6
	s_cbranch_vccnz .LBB67_3
.LBB67_6:
	s_wait_kmcnt 0x0
                                        ; implicit-def: $sgpr14
.LBB67_7:
	s_wait_kmcnt 0x0
	s_mov_b32 s14, s2
.LBB67_8:
	s_cmp_lg_u32 s13, 0
	s_mov_b32 s6, 0
	s_cselect_b32 s2, -1, 0
	s_wait_kmcnt 0x0
	s_cmp_lg_u32 s14, 1
	s_cselect_b32 s3, -1, 0
	s_delay_alu instid0(SALU_CYCLE_1) | instskip(NEXT) | instid1(SALU_CYCLE_1)
	s_or_b32 s2, s2, s3
	s_and_not1_b32 vcc_lo, exec_lo, s2
	s_cbranch_vccnz .LBB67_14
; %bb.9:
	s_clause 0x1
	s_load_b64 s[4:5], s[0:1], 0x18
	s_load_b64 s[2:3], s[0:1], 0x0
	v_lshrrev_b32_e32 v1, 4, v0
	s_delay_alu instid0(VALU_DEP_1)
	v_lshl_or_b32 v8, ttmp9, 3, v1
	s_wait_kmcnt 0x0
	s_cmp_lg_u64 s[4:5], 0
	s_cbranch_scc0 .LBB67_15
; %bb.10:
	s_load_b32 s6, s[0:1], 0x10
	s_mov_b32 s7, 0
                                        ; implicit-def: $vgpr1
	s_wait_kmcnt 0x0
	v_cmp_gt_i32_e32 vcc_lo, s6, v8
	s_mov_b32 s6, 0
	s_and_saveexec_b32 s8, vcc_lo
	s_delay_alu instid0(SALU_CYCLE_1)
	s_xor_b32 s8, exec_lo, s8
	s_cbranch_execz .LBB67_12
; %bb.11:
	v_ashrrev_i32_e32 v9, 31, v8
	s_mov_b32 s6, exec_lo
	s_delay_alu instid0(VALU_DEP_1) | instskip(NEXT) | instid1(VALU_DEP_1)
	v_lshlrev_b64_e32 v[1:2], 2, v[8:9]
	v_add_co_u32 v1, vcc_lo, s4, v1
	s_delay_alu instid0(VALU_DEP_1)
	v_add_co_ci_u32_e64 v2, null, s5, v2, vcc_lo
	global_load_b32 v1, v[1:2], off
	s_wait_loadcnt 0x0
	v_subrev_nc_u32_e32 v1, s12, v1
.LBB67_12:
	s_or_b32 exec_lo, exec_lo, s8
	s_delay_alu instid0(SALU_CYCLE_1)
	s_and_b32 vcc_lo, exec_lo, s7
	s_wait_alu 0xfffe
	s_cbranch_vccz .LBB67_16
.LBB67_13:
	v_cmp_gt_i32_e32 vcc_lo, s2, v8
	s_and_not1_b32 s2, s6, exec_lo
	s_and_b32 s4, vcc_lo, exec_lo
	s_wait_alu 0xfffe
	s_or_b32 s6, s2, s4
	s_wait_alu 0xfffe
	s_and_saveexec_b32 s2, s6
	s_cbranch_execnz .LBB67_17
.LBB67_14:
	s_endpgm
.LBB67_15:
                                        ; implicit-def: $vgpr1
	s_cbranch_execnz .LBB67_13
.LBB67_16:
	v_mov_b32_e32 v8, v1
	s_and_saveexec_b32 s2, s6
	s_cbranch_execz .LBB67_14
.LBB67_17:
	s_load_b256 s[4:11], s[0:1], 0x20
	s_delay_alu instid0(VALU_DEP_1) | instskip(SKIP_1) | instid1(VALU_DEP_2)
	v_ashrrev_i32_e32 v9, 31, v8
	v_and_b32_e32 v23, 15, v0
	v_lshlrev_b64_e32 v[1:2], 3, v[8:9]
	s_wait_kmcnt 0x0
	s_delay_alu instid0(VALU_DEP_1) | instskip(SKIP_1) | instid1(VALU_DEP_2)
	v_add_co_u32 v3, vcc_lo, s4, v1
	s_wait_alu 0xfffd
	v_add_co_ci_u32_e64 v4, null, s5, v2, vcc_lo
	v_add_co_u32 v1, vcc_lo, s6, v1
	s_wait_alu 0xfffd
	v_add_co_ci_u32_e64 v2, null, s7, v2, vcc_lo
	v_add_co_u32 v5, vcc_lo, v3, 8
	global_load_b64 v[13:14], v[3:4], off
	s_wait_alu 0xfffd
	v_add_co_ci_u32_e64 v6, null, 0, v4, vcc_lo
	s_cmp_eq_u64 s[6:7], 0
	s_load_b64 s[6:7], s[0:1], 0x40
	s_cselect_b32 vcc_lo, -1, 0
	v_mov_b32_e32 v4, 0
	s_wait_alu 0xfffe
	v_dual_cndmask_b32 v2, v2, v6 :: v_dual_cndmask_b32 v1, v1, v5
	s_cmp_eq_u32 s3, 1
	global_load_b64 v[1:2], v[1:2], off
	s_wait_loadcnt 0x1
	v_sub_co_u32 v0, vcc_lo, v13, s12
	s_wait_alu 0xfffd
	v_subrev_co_ci_u32_e64 v3, null, 0, v14, vcc_lo
	s_delay_alu instid0(VALU_DEP_2) | instskip(SKIP_1) | instid1(VALU_DEP_2)
	v_add_co_u32 v11, vcc_lo, v0, v23
	s_wait_alu 0xfffd
	v_add_co_ci_u32_e64 v12, null, 0, v3, vcc_lo
	s_wait_loadcnt 0x0
	v_sub_co_u32 v15, vcc_lo, v1, s12
	s_delay_alu instid0(VALU_DEP_2) | instskip(SKIP_2) | instid1(VALU_DEP_2)
	v_lshlrev_b64_e32 v[0:1], 4, v[11:12]
	s_wait_alu 0xfffd
	v_subrev_co_ci_u32_e64 v16, null, 0, v2, vcc_lo
	v_add_co_u32 v9, vcc_lo, s10, v0
	s_delay_alu instid0(VALU_DEP_2)
	v_cmp_lt_i64_e64 s2, v[11:12], v[15:16]
	s_wait_alu 0xfffd
	v_add_co_ci_u32_e64 v10, null, s11, v1, vcc_lo
	s_cbranch_scc1 .LBB67_29
; %bb.18:
	v_dual_mov_b32 v2, 0 :: v_dual_mov_b32 v1, 0
	v_mov_b32_e32 v0, 0
	s_and_saveexec_b32 s5, s2
	s_cbranch_execz .LBB67_28
; %bb.19:
	v_or_b32_e32 v0, 16, v23
	v_not_b32_e32 v3, v13
	v_not_b32_e32 v2, v14
	s_mov_b32 s11, 0
	s_delay_alu instid0(VALU_DEP_3) | instskip(SKIP_3) | instid1(VALU_DEP_3)
	v_sub_co_u32 v0, s3, v0, s12
	s_wait_alu 0xf1ff
	v_sub_co_ci_u32_e64 v1, null, 0, 0, s3
	v_sub_co_u32 v4, s3, s12, v23
	v_add_co_u32 v0, vcc_lo, v0, v13
	s_wait_alu 0xfffd
	s_delay_alu instid0(VALU_DEP_3) | instskip(SKIP_2) | instid1(VALU_DEP_2)
	v_add_co_ci_u32_e64 v1, null, v1, v14, vcc_lo
	s_wait_alu 0xf1ff
	v_sub_co_ci_u32_e64 v5, null, 0, 0, s3
	v_cmp_gt_i64_e32 vcc_lo, v[0:1], v[15:16]
	s_wait_alu 0xfffd
	v_dual_cndmask_b32 v1, v16, v1 :: v_dual_cndmask_b32 v0, v15, v0
	v_add_co_u32 v3, vcc_lo, v4, v3
	s_wait_alu 0xfffd
	v_add_co_ci_u32_e64 v2, null, v5, v2, vcc_lo
	v_mov_b32_e32 v4, 0
	s_delay_alu instid0(VALU_DEP_3) | instskip(SKIP_1) | instid1(VALU_DEP_3)
	v_add_co_u32 v19, vcc_lo, v3, v0
	s_wait_alu 0xfffd
	v_add_co_ci_u32_e64 v20, null, v2, v1, vcc_lo
	v_dual_mov_b32 v18, v12 :: v_dual_mov_b32 v17, v11
	v_dual_mov_b32 v5, v4 :: v_dual_mov_b32 v6, v4
	s_delay_alu instid0(VALU_DEP_3) | instskip(SKIP_1) | instid1(VALU_DEP_3)
	v_lshrrev_b64 v[21:22], 4, v[19:20]
	v_mov_b32_e32 v7, v4
	v_dual_mov_b32 v0, v4 :: v_dual_mov_b32 v1, v5
	s_delay_alu instid0(VALU_DEP_4) | instskip(SKIP_1) | instid1(VALU_DEP_4)
	v_mov_b32_e32 v2, v6
	v_cmp_lt_u64_e32 vcc_lo, 47, v[19:20]
	v_mov_b32_e32 v3, v7
	v_add_co_u32 v7, s3, v21, 1
	v_mov_b32_e32 v5, v9
	s_wait_alu 0xf1ff
	v_add_co_ci_u32_e64 v20, null, 0, v22, s3
	v_mov_b32_e32 v6, v10
	s_and_saveexec_b32 s10, vcc_lo
	s_cbranch_execz .LBB67_23
; %bb.20:
	v_lshlrev_b64_e32 v[0:1], 2, v[11:12]
	v_dual_mov_b32 v2, 0 :: v_dual_and_b32 v19, -4, v7
	v_dual_mov_b32 v5, v9 :: v_dual_mov_b32 v6, v10
	v_dual_mov_b32 v18, v12 :: v_dual_mov_b32 v17, v11
	s_delay_alu instid0(VALU_DEP_4) | instskip(SKIP_3) | instid1(VALU_DEP_3)
	v_add_co_u32 v0, vcc_lo, s8, v0
	s_wait_alu 0xfffd
	v_add_co_ci_u32_e64 v3, null, s9, v1, vcc_lo
	v_mov_b32_e32 v1, 0
	v_add_co_u32 v21, vcc_lo, 0x80, v0
	s_wait_alu 0xfffd
	s_delay_alu instid0(VALU_DEP_3)
	v_add_co_ci_u32_e64 v22, null, 0, v3, vcc_lo
	v_mov_b32_e32 v0, 0
.LBB67_21:                              ; =>This Inner Loop Header: Depth=1
	s_clause 0x3
	global_load_b32 v3, v[21:22], off offset:-128
	global_load_b32 v36, v[21:22], off offset:-64
	global_load_b32 v37, v[21:22], off
	global_load_b32 v42, v[21:22], off offset:64
	s_clause 0x2
	global_load_b128 v[24:27], v[5:6], off
	global_load_b128 v[28:31], v[5:6], off offset:256
	global_load_b128 v[32:35], v[5:6], off offset:512
	s_wait_loadcnt 0x6
	v_subrev_nc_u32_e32 v3, s12, v3
	s_wait_loadcnt 0x5
	v_subrev_nc_u32_e32 v36, s12, v36
	;; [unrolled: 2-line block ×3, first 2 shown]
	s_wait_loadcnt 0x2
	v_bfe_i32 v45, v27, 0, 8
	v_lshlrev_b32_e32 v3, 2, v3
	v_lshlrev_b32_e32 v36, 2, v36
	;; [unrolled: 1-line block ×3, first 2 shown]
	s_wait_loadcnt 0x1
	v_lshrrev_b16 v46, 8, v31
	v_ashrrev_i32_e32 v47, 24, v31
	v_ashrrev_i32_e32 v39, 31, v3
	;; [unrolled: 1-line block ×4, first 2 shown]
	s_wait_kmcnt 0x0
	v_add_co_u32 v40, s4, s6, v3
	v_add_co_u32 v36, vcc_lo, s6, v36
	v_add_co_u32 v38, s3, s6, v37
	s_wait_alu 0xf1ff
	v_add_co_ci_u32_e64 v41, null, s7, v39, s4
	s_wait_alu 0xfffd
	v_add_co_ci_u32_e64 v37, null, s7, v43, vcc_lo
	v_add_co_ci_u32_e64 v39, null, s7, v44, s3
	s_clause 0x2
	global_load_b32 v3, v[40:41], off
	global_load_b32 v43, v[36:37], off
	;; [unrolled: 1-line block ×3, first 2 shown]
	v_subrev_nc_u32_e32 v36, s12, v42
	v_ashrrev_i32_e32 v42, 24, v27
	v_bfe_i32 v48, v31, 16, 8
	v_bfe_i32 v31, v31, 0, 8
	v_bfe_i32 v46, v46, 0, 8
	v_lshlrev_b32_e32 v36, 2, v36
	s_wait_loadcnt 0x3
	v_bfe_i32 v51, v35, 16, 8
	v_bfe_i32 v49, v35, 0, 8
	;; [unrolled: 1-line block ×3, first 2 shown]
	v_ashrrev_i32_e32 v35, 24, v35
	v_ashrrev_i32_e32 v37, 31, v36
	v_add_co_u32 v40, vcc_lo, s6, v36
	s_wait_alu 0xfffd
	s_delay_alu instid0(VALU_DEP_2)
	v_add_co_ci_u32_e64 v41, null, s7, v37, vcc_lo
	global_load_b128 v[36:39], v[5:6], off offset:768
	global_load_b32 v40, v[40:41], off
	v_lshrrev_b16 v41, 8, v27
	v_bfe_i32 v27, v27, 16, 8
	v_add_co_u32 v5, vcc_lo, 0x400, v5
	s_wait_alu 0xfffd
	v_add_co_ci_u32_e64 v6, null, 0, v6, vcc_lo
	v_bfe_i32 v41, v41, 0, 8
	v_add_co_u32 v17, vcc_lo, v17, 64
	s_wait_alu 0xfffd
	v_add_co_ci_u32_e64 v18, null, 0, v18, vcc_lo
	v_add_co_u32 v19, vcc_lo, v19, -4
	s_wait_alu 0xfffd
	v_add_co_ci_u32_e64 v20, null, -1, v20, vcc_lo
	v_add_co_u32 v21, vcc_lo, 0x100, v21
	s_wait_alu 0xfffd
	v_add_co_ci_u32_e64 v22, null, 0, v22, vcc_lo
	s_delay_alu instid0(VALU_DEP_3)
	v_cmp_eq_u64_e32 vcc_lo, 0, v[19:20]
	s_wait_alu 0xfffe
	s_or_b32 s11, vcc_lo, s11
	s_wait_loadcnt 0x4
	v_lshrrev_b16 v52, 8, v3
	v_ashrrev_i32_e32 v53, 24, v3
	v_bfe_i32 v54, v3, 0, 8
	v_bfe_i32 v55, v3, 16, 8
	v_dot4_i32_iu8 v0, v3, v24, v0 neg_lo:[1,1,0]
	v_dot4_i32_iu8 v1, v3, v25, v1 neg_lo:[1,1,0]
	;; [unrolled: 1-line block ×3, first 2 shown]
	s_wait_loadcnt 0x3
	v_lshrrev_b16 v3, 8, v43
	v_ashrrev_i32_e32 v24, 24, v43
	v_bfe_i32 v25, v43, 16, 8
	v_bfe_i32 v26, v43, 0, 8
	;; [unrolled: 1-line block ×4, first 2 shown]
	v_mul_i32_i24_e32 v24, v47, v24
	s_wait_loadcnt 0x2
	v_bfe_i32 v56, v44, 16, 8
	v_mul_i32_i24_e32 v26, v31, v26
	v_mul_i32_i24_e32 v25, v48, v25
	v_mul_i32_i24_e32 v31, v41, v52
	v_mul_i32_i24_e32 v3, v46, v3
	v_mad_i32_i24 v24, v42, v53, v24
	v_bfe_i32 v58, v44, 8, 8
	v_bfe_i32 v59, v44, 0, 8
	v_mul_i32_i24_e32 v41, v51, v56
	v_mad_i32_i24 v25, v27, v55, v25
	v_mad_i32_i24 v26, v45, v54, v26
	v_add3_u32 v3, v31, v3, v24
	v_ashrrev_i32_e32 v57, 24, v44
	v_mul_i32_i24_e32 v24, v59, v49
	v_mad_i32_i24 v27, v58, v50, v41
	v_dot4_i32_iu8 v0, v43, v28, v0 neg_lo:[1,1,0]
	v_add3_u32 v3, v26, v25, v3
	v_dot4_i32_iu8 v1, v43, v29, v1 neg_lo:[1,1,0]
	v_dot4_i32_iu8 v2, v43, v30, v2 neg_lo:[1,1,0]
	v_mul_i32_i24_e32 v25, v35, v57
	v_dot4_i32_iu8 v0, v44, v32, v0 neg_lo:[1,1,0]
	v_add3_u32 v3, v3, v24, v27
	v_dot4_i32_iu8 v1, v33, v44, v1 neg_lo:[1,1,0]
	v_dot4_i32_iu8 v2, v34, v44, v2 neg_lo:[1,1,0]
	s_wait_loadcnt 0x0
	v_dot4_i32_iu8 v0, v40, v36, v0 neg_lo:[1,1,0]
	v_add3_u32 v3, v3, v4, v25
	v_dot4_i32_iu8 v1, v40, v37, v1 neg_lo:[1,1,0]
	v_dot4_i32_iu8 v2, v40, v38, v2 neg_lo:[1,1,0]
	s_delay_alu instid0(VALU_DEP_3)
	v_dot4_i32_iu8 v4, v40, v39, v3 neg_lo:[1,1,0]
	s_wait_alu 0xfffe
	s_and_not1_b32 exec_lo, exec_lo, s11
	s_cbranch_execnz .LBB67_21
; %bb.22:
	s_or_b32 exec_lo, exec_lo, s11
	v_mov_b32_e32 v3, v4
.LBB67_23:
	s_wait_alu 0xfffe
	s_or_b32 exec_lo, exec_lo, s10
	v_dual_mov_b32 v20, 0 :: v_dual_and_b32 v19, 3, v7
	s_mov_b32 s3, exec_lo
	s_delay_alu instid0(VALU_DEP_1)
	v_cmpx_ne_u64_e32 0, v[19:20]
	s_cbranch_execz .LBB67_27
; %bb.24:
	v_lshlrev_b64_e32 v[17:18], 2, v[17:18]
	v_lshlrev_b32_e32 v19, 2, v19
	s_mov_b32 s4, 0
	s_delay_alu instid0(VALU_DEP_2) | instskip(SKIP_1) | instid1(VALU_DEP_3)
	v_add_co_u32 v17, vcc_lo, s8, v17
	s_wait_alu 0xfffd
	v_add_co_ci_u32_e64 v18, null, s9, v18, vcc_lo
.LBB67_25:                              ; =>This Inner Loop Header: Depth=1
	global_load_b32 v4, v[17:18], off
	s_wait_loadcnt 0x0
	v_subrev_nc_u32_e32 v4, s12, v4
	s_delay_alu instid0(VALU_DEP_1) | instskip(NEXT) | instid1(VALU_DEP_1)
	v_lshlrev_b32_e32 v4, 2, v4
	v_ashrrev_i32_e32 v7, 31, v4
	s_wait_kmcnt 0x0
	v_add_co_u32 v21, vcc_lo, s6, v4
	s_wait_alu 0xfffd
	s_delay_alu instid0(VALU_DEP_2)
	v_add_co_ci_u32_e64 v22, null, s7, v7, vcc_lo
	global_load_b128 v[24:27], v[5:6], off
	global_load_b32 v4, v[21:22], off
	v_add_co_u32 v5, vcc_lo, 0x100, v5
	s_wait_alu 0xfffd
	v_add_co_ci_u32_e64 v6, null, 0, v6, vcc_lo
	v_add_co_u32 v19, vcc_lo, v19, -4
	s_wait_alu 0xfffd
	v_add_co_ci_u32_e64 v20, null, -1, v20, vcc_lo
	v_add_co_u32 v17, vcc_lo, v17, 64
	s_wait_alu 0xfffd
	v_add_co_ci_u32_e64 v18, null, 0, v18, vcc_lo
	s_delay_alu instid0(VALU_DEP_3)
	v_cmp_eq_u64_e32 vcc_lo, 0, v[19:20]
	s_wait_alu 0xfffe
	s_or_b32 s4, vcc_lo, s4
	s_wait_loadcnt 0x0
	v_dot4_i32_iu8 v3, v4, v27, v3 neg_lo:[1,1,0]
	v_dot4_i32_iu8 v2, v4, v26, v2 neg_lo:[1,1,0]
	;; [unrolled: 1-line block ×4, first 2 shown]
	s_wait_alu 0xfffe
	s_and_not1_b32 exec_lo, exec_lo, s4
	s_cbranch_execnz .LBB67_25
; %bb.26:
	s_or_b32 exec_lo, exec_lo, s4
	v_mov_b32_e32 v4, v3
.LBB67_27:
	s_wait_alu 0xfffe
	s_or_b32 exec_lo, exec_lo, s3
.LBB67_28:
	s_wait_alu 0xfffe
	s_or_b32 exec_lo, exec_lo, s5
	s_cbranch_execz .LBB67_30
	s_branch .LBB67_41
.LBB67_29:
                                        ; implicit-def: $vgpr4
                                        ; implicit-def: $vgpr2
.LBB67_30:
	v_dual_mov_b32 v4, 0 :: v_dual_mov_b32 v1, 0
	v_mov_b32_e32 v2, 0
	v_mov_b32_e32 v0, 0
	s_and_saveexec_b32 s4, s2
	s_cbranch_execz .LBB67_40
; %bb.31:
	v_or_b32_e32 v0, 16, v23
	v_not_b32_e32 v3, v13
	v_not_b32_e32 v2, v14
	s_mov_b32 s10, 0
	s_delay_alu instid0(VALU_DEP_3) | instskip(SKIP_3) | instid1(VALU_DEP_3)
	v_sub_co_u32 v0, s2, v0, s12
	s_wait_alu 0xf1ff
	v_sub_co_ci_u32_e64 v1, null, 0, 0, s2
	v_sub_co_u32 v4, s2, s12, v23
	v_add_co_u32 v0, vcc_lo, v0, v13
	s_wait_alu 0xfffd
	s_delay_alu instid0(VALU_DEP_3) | instskip(SKIP_2) | instid1(VALU_DEP_2)
	v_add_co_ci_u32_e64 v1, null, v1, v14, vcc_lo
	s_wait_alu 0xf1ff
	v_sub_co_ci_u32_e64 v5, null, 0, 0, s2
	v_cmp_gt_i64_e32 vcc_lo, v[0:1], v[15:16]
	s_wait_alu 0xfffd
	v_dual_cndmask_b32 v1, v16, v1 :: v_dual_cndmask_b32 v0, v15, v0
	v_add_co_u32 v3, vcc_lo, v4, v3
	s_wait_alu 0xfffd
	v_add_co_ci_u32_e64 v2, null, v5, v2, vcc_lo
	v_mov_b32_e32 v4, 0
	s_delay_alu instid0(VALU_DEP_3) | instskip(SKIP_1) | instid1(VALU_DEP_3)
	v_add_co_u32 v0, vcc_lo, v3, v0
	s_wait_alu 0xfffd
	v_add_co_ci_u32_e64 v1, null, v2, v1, vcc_lo
	s_delay_alu instid0(VALU_DEP_3) | instskip(SKIP_1) | instid1(VALU_DEP_3)
	v_dual_mov_b32 v5, v4 :: v_dual_mov_b32 v6, v4
	v_mov_b32_e32 v7, v4
	v_lshrrev_b64 v[2:3], 4, v[0:1]
	v_cmp_lt_u64_e32 vcc_lo, 47, v[0:1]
	s_delay_alu instid0(VALU_DEP_2) | instskip(SKIP_1) | instid1(VALU_DEP_3)
	v_add_co_u32 v15, s2, v2, 1
	s_wait_alu 0xf1ff
	v_add_co_ci_u32_e64 v14, null, 0, v3, s2
	v_dual_mov_b32 v0, v4 :: v_dual_mov_b32 v1, v5
	v_dual_mov_b32 v2, v6 :: v_dual_mov_b32 v3, v7
	s_and_saveexec_b32 s5, vcc_lo
	s_cbranch_execz .LBB67_35
; %bb.32:
	v_lshlrev_b64_e32 v[0:1], 2, v[11:12]
	v_dual_mov_b32 v2, 0 :: v_dual_and_b32 v13, -4, v15
	s_delay_alu instid0(VALU_DEP_2) | instskip(SKIP_1) | instid1(VALU_DEP_3)
	v_add_co_u32 v0, vcc_lo, s8, v0
	s_wait_alu 0xfffd
	v_add_co_ci_u32_e64 v3, null, s9, v1, vcc_lo
	v_mov_b32_e32 v1, 0
	s_delay_alu instid0(VALU_DEP_3) | instskip(SKIP_1) | instid1(VALU_DEP_3)
	v_add_co_u32 v5, vcc_lo, 0x80, v0
	s_wait_alu 0xfffd
	v_add_co_ci_u32_e64 v6, null, 0, v3, vcc_lo
	v_mov_b32_e32 v0, 0
.LBB67_33:                              ; =>This Inner Loop Header: Depth=1
	s_clause 0x3
	global_load_b32 v3, v[5:6], off offset:-128
	global_load_b32 v7, v[5:6], off offset:-64
	global_load_b32 v20, v[5:6], off
	global_load_b32 v21, v[5:6], off offset:64
	s_clause 0x2
	global_load_b128 v[16:19], v[9:10], off
	global_load_b128 v[24:27], v[9:10], off offset:256
	global_load_b128 v[28:31], v[9:10], off offset:512
	s_wait_loadcnt 0x6
	v_subrev_nc_u32_e32 v3, s12, v3
	s_wait_loadcnt 0x5
	v_subrev_nc_u32_e32 v7, s12, v7
	;; [unrolled: 2-line block ×4, first 2 shown]
	s_wait_loadcnt 0x2
	v_perm_b32 v37, v18, v17, 0xc05010c
	v_lshlrev_b32_e32 v3, 2, v3
	v_lshlrev_b32_e32 v7, 2, v7
	;; [unrolled: 1-line block ×4, first 2 shown]
	v_perm_b32 v39, v18, v17, 0xc06020c
	v_ashrrev_i32_e32 v21, 31, v3
	v_ashrrev_i32_e32 v33, 31, v7
	s_wait_kmcnt 0x0
	v_add_co_u32 v20, vcc_lo, s6, v7
	v_ashrrev_i32_e32 v7, 31, v22
	v_add_co_u32 v34, s3, s6, v3
	v_add_co_u32 v32, s2, s6, v22
	s_wait_alu 0xf1ff
	v_add_co_ci_u32_e64 v35, null, s7, v21, s3
	s_wait_alu 0xfffd
	v_add_co_ci_u32_e64 v21, null, s7, v33, vcc_lo
	v_add_co_ci_u32_e64 v33, null, s7, v7, s2
	s_clause 0x2
	global_load_b32 v3, v[34:35], off
	global_load_b32 v7, v[20:21], off
	;; [unrolled: 1-line block ×3, first 2 shown]
	global_load_b128 v[32:35], v[9:10], off offset:768
	v_ashrrev_i32_e32 v21, 31, v36
	v_add_co_u32 v20, vcc_lo, s6, v36
	s_wait_loadcnt 0x5
	v_perm_b32 v41, v26, v25, 0x4000c0c
	v_perm_b32 v42, v24, v19, 0xc0c0501
	s_wait_alu 0xfffd
	v_add_co_ci_u32_e64 v21, null, s7, v21, vcc_lo
	v_perm_b32 v43, v26, v25, 0x5010c0c
	v_perm_b32 v44, v24, v19, 0xc0c0602
	;; [unrolled: 1-line block ×3, first 2 shown]
	global_load_b32 v20, v[20:21], off
	v_perm_b32 v21, v18, v17, 0xc04000c
	v_perm_b32 v17, v18, v17, 0xc07030c
	;; [unrolled: 1-line block ×5, first 2 shown]
	s_wait_loadcnt 0x5
	v_lshrrev_b32_e32 v25, 16, v31
	v_perm_b32 v26, v28, v27, 0xc0c0400
	v_perm_b32 v47, v28, v27, 0xc0c0501
	;; [unrolled: 1-line block ×9, first 2 shown]
	v_or_b32_e32 v27, v28, v27
	v_ashrrev_i16 v28, 8, v25
	v_bfe_i32 v25, v25, 0, 8
	v_perm_b32 v46, v30, v29, 0x4000c0c
	v_perm_b32 v48, v30, v29, 0x5010c0c
	;; [unrolled: 1-line block ×3, first 2 shown]
	v_ashrrev_i16 v29, 8, v31
	v_bfe_i32 v30, v31, 0, 8
	v_or_b32_e32 v21, v21, v36
	v_or_b32_e32 v16, v17, v16
	v_perm_b32 v25, v28, v25, 0x5040100
	v_or_b32_e32 v17, v41, v18
	v_or_b32_e32 v18, v43, v42
	;; [unrolled: 1-line block ×4, first 2 shown]
	v_perm_b32 v29, v29, v30, 0x5040100
	v_or_b32_e32 v24, v46, v26
	v_or_b32_e32 v26, v48, v47
	v_add_co_u32 v9, vcc_lo, 0x400, v9
	s_wait_alu 0xfffd
	v_add_co_ci_u32_e64 v10, null, 0, v10, vcc_lo
	v_add_co_u32 v11, vcc_lo, v11, 64
	s_wait_alu 0xfffd
	v_add_co_ci_u32_e64 v12, null, 0, v12, vcc_lo
	v_add_co_u32 v13, vcc_lo, v13, -4
	s_wait_alu 0xfffd
	v_add_co_ci_u32_e64 v14, null, -1, v14, vcc_lo
	v_add_co_u32 v5, vcc_lo, 0x100, v5
	s_wait_alu 0xfffd
	v_add_co_ci_u32_e64 v6, null, 0, v6, vcc_lo
	s_delay_alu instid0(VALU_DEP_3)
	v_cmp_eq_u64_e32 vcc_lo, 0, v[13:14]
	s_wait_alu 0xfffe
	s_or_b32 s10, vcc_lo, s10
	s_wait_loadcnt 0x4
	v_perm_b32 v28, v3, v3, 0xc020100
	s_wait_loadcnt 0x3
	v_perm_b32 v3, v7, v3, 0x6050403
	;; [unrolled: 2-line block ×4, first 2 shown]
	v_perm_b32 v51, v35, v34, 0x7030c0c
	v_perm_b32 v52, v33, v32, 0xc0c0602
	;; [unrolled: 1-line block ×7, first 2 shown]
	v_or_b32_e32 v34, v37, v38
	v_or_b32_e32 v35, v39, v40
	v_lshrrev_b32_e32 v39, 24, v22
	v_dot4_i32_iu8 v0, v28, v21, v0 neg_lo:[1,1,0]
	v_dot4_i32_iu8 v4, v16, v28, v4 neg_lo:[1,1,0]
	v_dot4_i32_iu8 v1, v34, v28, v1 neg_lo:[1,1,0]
	v_dot4_i32_iu8 v2, v35, v28, v2 neg_lo:[1,1,0]
	v_bfe_i32 v16, v39, 0, 8
	v_or_b32_e32 v37, v50, v49
	v_dot4_i32_iu8 v0, v3, v17, v0 neg_lo:[1,1,0]
	v_dot4_i32_iu8 v1, v18, v3, v1 neg_lo:[1,1,0]
	;; [unrolled: 1-line block ×4, first 2 shown]
	v_pk_mul_lo_u16 v4, v16, v25 op_sel_hi:[0,1]
	v_pk_mul_lo_u16 v16, v16, v29 op_sel_hi:[0,1]
	v_dot4_i32_iu8 v0, v7, v24, v0 neg_lo:[1,1,0]
	v_dot4_i32_iu8 v1, v26, v7, v1 neg_lo:[1,1,0]
	;; [unrolled: 1-line block ×4, first 2 shown]
	v_ashrrev_i32_e32 v7, 16, v4
	v_bfe_i32 v4, v4, 0, 16
	v_ashrrev_i32_e32 v17, 16, v16
	v_bfe_i32 v16, v16, 0, 16
	v_or_b32_e32 v30, v51, v31
	v_or_b32_e32 v31, v53, v52
	;; [unrolled: 1-line block ×4, first 2 shown]
	v_add_nc_u32_e32 v3, v3, v7
	v_add_nc_u32_e32 v2, v2, v4
	;; [unrolled: 1-line block ×4, first 2 shown]
	s_wait_loadcnt 0x0
	v_dot4_i32_iu8 v4, v20, v30, v3 neg_lo:[1,1,0]
	v_dot4_i32_iu8 v2, v20, v31, v2 neg_lo:[1,1,0]
	;; [unrolled: 1-line block ×4, first 2 shown]
	s_wait_alu 0xfffe
	s_and_not1_b32 exec_lo, exec_lo, s10
	s_cbranch_execnz .LBB67_33
; %bb.34:
	s_or_b32 exec_lo, exec_lo, s10
	v_mov_b32_e32 v3, v4
.LBB67_35:
	s_wait_alu 0xfffe
	s_or_b32 exec_lo, exec_lo, s5
	v_dual_mov_b32 v6, 0 :: v_dual_and_b32 v5, 3, v15
	s_mov_b32 s2, exec_lo
	s_delay_alu instid0(VALU_DEP_1)
	v_cmpx_ne_u64_e32 0, v[5:6]
	s_cbranch_execz .LBB67_39
; %bb.36:
	v_lshlrev_b64_e32 v[11:12], 2, v[11:12]
	v_lshlrev_b32_e32 v5, 2, v5
	s_mov_b32 s3, 0
	s_delay_alu instid0(VALU_DEP_2) | instskip(SKIP_1) | instid1(VALU_DEP_3)
	v_add_co_u32 v11, vcc_lo, s8, v11
	s_wait_alu 0xfffd
	v_add_co_ci_u32_e64 v12, null, s9, v12, vcc_lo
.LBB67_37:                              ; =>This Inner Loop Header: Depth=1
	global_load_b32 v4, v[11:12], off
	global_load_b128 v[13:16], v[9:10], off
	s_wait_loadcnt 0x1
	v_subrev_nc_u32_e32 v4, s12, v4
	s_wait_loadcnt 0x0
	v_perm_b32 v19, v16, v15, 0x6020c0c
	v_perm_b32 v20, v14, v13, 0xc0c0501
	v_perm_b32 v21, v16, v15, 0x5010c0c
	v_lshlrev_b32_e32 v4, 2, v4
	s_delay_alu instid0(VALU_DEP_1) | instskip(SKIP_3) | instid1(VALU_DEP_2)
	v_ashrrev_i32_e32 v7, 31, v4
	s_wait_kmcnt 0x0
	v_add_co_u32 v17, vcc_lo, s6, v4
	s_wait_alu 0xfffd
	v_add_co_ci_u32_e64 v18, null, s7, v7, vcc_lo
	v_add_co_u32 v9, vcc_lo, 0x100, v9
	s_wait_alu 0xfffd
	v_add_co_ci_u32_e64 v10, null, 0, v10, vcc_lo
	global_load_b32 v4, v[17:18], off
	v_add_co_u32 v11, vcc_lo, v11, 64
	s_wait_alu 0xfffd
	v_add_co_ci_u32_e64 v12, null, 0, v12, vcc_lo
	v_add_co_u32 v5, vcc_lo, v5, -4
	v_perm_b32 v7, v14, v13, 0xc0c0703
	v_perm_b32 v17, v16, v15, 0x7030c0c
	;; [unrolled: 1-line block ×5, first 2 shown]
	s_wait_alu 0xfffd
	v_add_co_ci_u32_e64 v6, null, -1, v6, vcc_lo
	v_or_b32_e32 v7, v17, v7
	v_or_b32_e32 v15, v19, v18
	;; [unrolled: 1-line block ×4, first 2 shown]
	v_cmp_eq_u64_e32 vcc_lo, 0, v[5:6]
	s_wait_alu 0xfffe
	s_or_b32 s3, vcc_lo, s3
	s_wait_loadcnt 0x0
	v_dot4_i32_iu8 v3, v4, v7, v3 neg_lo:[1,1,0]
	v_dot4_i32_iu8 v2, v4, v15, v2 neg_lo:[1,1,0]
	;; [unrolled: 1-line block ×4, first 2 shown]
	s_wait_alu 0xfffe
	s_and_not1_b32 exec_lo, exec_lo, s3
	s_cbranch_execnz .LBB67_37
; %bb.38:
	s_or_b32 exec_lo, exec_lo, s3
	v_mov_b32_e32 v4, v3
.LBB67_39:
	s_wait_alu 0xfffe
	s_or_b32 exec_lo, exec_lo, s2
.LBB67_40:
	s_wait_alu 0xfffe
	s_or_b32 exec_lo, exec_lo, s4
.LBB67_41:
	v_mbcnt_lo_u32_b32 v3, -1, 0
	s_mov_b32 s2, -1
	s_delay_alu instid0(VALU_DEP_1) | instskip(SKIP_1) | instid1(VALU_DEP_2)
	v_xor_b32_e32 v5, 8, v3
	v_xor_b32_e32 v10, 4, v3
	v_cmp_gt_i32_e32 vcc_lo, 32, v5
	s_wait_alu 0xfffd
	v_cndmask_b32_e32 v5, v3, v5, vcc_lo
	s_delay_alu instid0(VALU_DEP_3) | instskip(SKIP_2) | instid1(VALU_DEP_1)
	v_cmp_gt_i32_e32 vcc_lo, 32, v10
	s_wait_alu 0xfffd
	v_cndmask_b32_e32 v10, v3, v10, vcc_lo
	v_lshlrev_b32_e32 v10, 2, v10
	v_lshlrev_b32_e32 v5, 2, v5
	ds_bpermute_b32 v6, v5, v0
	ds_bpermute_b32 v7, v5, v1
	;; [unrolled: 1-line block ×4, first 2 shown]
	s_wait_dscnt 0x3
	v_add_nc_u32_e32 v0, v6, v0
	s_wait_dscnt 0x2
	v_add_nc_u32_e32 v1, v7, v1
	;; [unrolled: 2-line block ×4, first 2 shown]
	ds_bpermute_b32 v5, v10, v0
	ds_bpermute_b32 v6, v10, v1
	;; [unrolled: 1-line block ×4, first 2 shown]
	v_xor_b32_e32 v10, 2, v3
	s_delay_alu instid0(VALU_DEP_1) | instskip(SKIP_2) | instid1(VALU_DEP_1)
	v_cmp_gt_i32_e32 vcc_lo, 32, v10
	s_wait_alu 0xfffd
	v_cndmask_b32_e32 v10, v3, v10, vcc_lo
	v_lshlrev_b32_e32 v10, 2, v10
	s_wait_dscnt 0x3
	v_add_nc_u32_e32 v0, v5, v0
	s_wait_dscnt 0x2
	v_add_nc_u32_e32 v1, v6, v1
	;; [unrolled: 2-line block ×4, first 2 shown]
	ds_bpermute_b32 v5, v10, v0
	ds_bpermute_b32 v6, v10, v1
	;; [unrolled: 1-line block ×4, first 2 shown]
	v_xor_b32_e32 v10, 1, v3
	s_delay_alu instid0(VALU_DEP_1) | instskip(SKIP_3) | instid1(VALU_DEP_2)
	v_cmp_gt_i32_e32 vcc_lo, 32, v10
	s_wait_alu 0xfffd
	v_cndmask_b32_e32 v3, v3, v10, vcc_lo
	v_cmp_eq_u32_e32 vcc_lo, 15, v23
	v_lshlrev_b32_e32 v10, 2, v3
	s_wait_dscnt 0x3
	v_add_nc_u32_e32 v0, v5, v0
	s_wait_dscnt 0x2
	v_add_nc_u32_e32 v1, v6, v1
	s_wait_dscnt 0x1
	v_add_nc_u32_e32 v2, v7, v2
	s_wait_dscnt 0x0
	v_add_nc_u32_e32 v3, v9, v4
	ds_bpermute_b32 v4, v10, v0
	ds_bpermute_b32 v5, v10, v1
	;; [unrolled: 1-line block ×4, first 2 shown]
	s_and_b32 exec_lo, exec_lo, vcc_lo
	s_cbranch_execz .LBB67_14
; %bb.42:
	s_load_b64 s[0:1], s[0:1], 0x50
	s_wait_dscnt 0x3
	v_add_nc_u32_e32 v0, v4, v0
	s_wait_dscnt 0x2
	v_add_nc_u32_e32 v1, v5, v1
	s_wait_dscnt 0x1
	v_add_nc_u32_e32 v2, v6, v2
	s_wait_dscnt 0x0
	v_add_nc_u32_e32 v3, v7, v3
	v_lshlrev_b32_e32 v4, 2, v8
	v_mul_lo_u32 v0, v0, s13
	v_mul_lo_u32 v1, v1, s13
	;; [unrolled: 1-line block ×4, first 2 shown]
	s_cmp_eq_u32 s14, 0
	s_cbranch_scc1 .LBB67_44
; %bb.43:
	v_ashrrev_i32_e32 v5, 31, v4
	s_mov_b32 s2, 0
	s_delay_alu instid0(VALU_DEP_1) | instskip(SKIP_1) | instid1(VALU_DEP_1)
	v_lshlrev_b64_e32 v[5:6], 2, v[4:5]
	s_wait_kmcnt 0x0
	v_add_co_u32 v12, vcc_lo, s0, v5
	s_wait_alu 0xfffd
	s_delay_alu instid0(VALU_DEP_2)
	v_add_co_ci_u32_e64 v13, null, s1, v6, vcc_lo
	global_load_b128 v[5:8], v[12:13], off
	s_wait_loadcnt 0x0
	v_mad_co_u64_u32 v[14:15], null, v8, s14, v[3:4]
	v_mad_co_u64_u32 v[8:9], null, v5, s14, v[0:1]
	v_mad_co_u64_u32 v[9:10], null, v6, s14, v[1:2]
	v_mad_co_u64_u32 v[10:11], null, v7, s14, v[2:3]
	s_delay_alu instid0(VALU_DEP_4)
	v_mov_b32_e32 v11, v14
	global_store_b128 v[12:13], v[8:11], off
.LBB67_44:
	s_wait_alu 0xfffe
	s_and_not1_b32 vcc_lo, exec_lo, s2
	s_wait_alu 0xfffe
	s_cbranch_vccnz .LBB67_14
; %bb.45:
	v_ashrrev_i32_e32 v5, 31, v4
	s_delay_alu instid0(VALU_DEP_1) | instskip(SKIP_1) | instid1(VALU_DEP_1)
	v_lshlrev_b64_e32 v[4:5], 2, v[4:5]
	s_wait_kmcnt 0x0
	v_add_co_u32 v4, vcc_lo, s0, v4
	s_wait_alu 0xfffd
	s_delay_alu instid0(VALU_DEP_2)
	v_add_co_ci_u32_e64 v5, null, s1, v5, vcc_lo
	global_store_b128 v[4:5], v[0:3], off
	s_endpgm
	.section	.rodata,"a",@progbits
	.p2align	6, 0x0
	.amdhsa_kernel _ZN9rocsparseL18bsrxmvn_4x4_kernelILj128ELj16EiliaaiEEvT3_20rocsparse_direction_NS_24const_host_device_scalarIT1_EES1_PKS1_PKT2_SA_S7_PKT4_PKT5_S5_PT6_21rocsparse_index_base_b
		.amdhsa_group_segment_fixed_size 0
		.amdhsa_private_segment_fixed_size 0
		.amdhsa_kernarg_size 96
		.amdhsa_user_sgpr_count 2
		.amdhsa_user_sgpr_dispatch_ptr 0
		.amdhsa_user_sgpr_queue_ptr 0
		.amdhsa_user_sgpr_kernarg_segment_ptr 1
		.amdhsa_user_sgpr_dispatch_id 0
		.amdhsa_user_sgpr_private_segment_size 0
		.amdhsa_wavefront_size32 1
		.amdhsa_uses_dynamic_stack 0
		.amdhsa_enable_private_segment 0
		.amdhsa_system_sgpr_workgroup_id_x 1
		.amdhsa_system_sgpr_workgroup_id_y 0
		.amdhsa_system_sgpr_workgroup_id_z 0
		.amdhsa_system_sgpr_workgroup_info 0
		.amdhsa_system_vgpr_workitem_id 0
		.amdhsa_next_free_vgpr 60
		.amdhsa_next_free_sgpr 15
		.amdhsa_reserve_vcc 1
		.amdhsa_float_round_mode_32 0
		.amdhsa_float_round_mode_16_64 0
		.amdhsa_float_denorm_mode_32 3
		.amdhsa_float_denorm_mode_16_64 3
		.amdhsa_fp16_overflow 0
		.amdhsa_workgroup_processor_mode 1
		.amdhsa_memory_ordered 1
		.amdhsa_forward_progress 1
		.amdhsa_inst_pref_size 37
		.amdhsa_round_robin_scheduling 0
		.amdhsa_exception_fp_ieee_invalid_op 0
		.amdhsa_exception_fp_denorm_src 0
		.amdhsa_exception_fp_ieee_div_zero 0
		.amdhsa_exception_fp_ieee_overflow 0
		.amdhsa_exception_fp_ieee_underflow 0
		.amdhsa_exception_fp_ieee_inexact 0
		.amdhsa_exception_int_div_zero 0
	.end_amdhsa_kernel
	.section	.text._ZN9rocsparseL18bsrxmvn_4x4_kernelILj128ELj16EiliaaiEEvT3_20rocsparse_direction_NS_24const_host_device_scalarIT1_EES1_PKS1_PKT2_SA_S7_PKT4_PKT5_S5_PT6_21rocsparse_index_base_b,"axG",@progbits,_ZN9rocsparseL18bsrxmvn_4x4_kernelILj128ELj16EiliaaiEEvT3_20rocsparse_direction_NS_24const_host_device_scalarIT1_EES1_PKS1_PKT2_SA_S7_PKT4_PKT5_S5_PT6_21rocsparse_index_base_b,comdat
.Lfunc_end67:
	.size	_ZN9rocsparseL18bsrxmvn_4x4_kernelILj128ELj16EiliaaiEEvT3_20rocsparse_direction_NS_24const_host_device_scalarIT1_EES1_PKS1_PKT2_SA_S7_PKT4_PKT5_S5_PT6_21rocsparse_index_base_b, .Lfunc_end67-_ZN9rocsparseL18bsrxmvn_4x4_kernelILj128ELj16EiliaaiEEvT3_20rocsparse_direction_NS_24const_host_device_scalarIT1_EES1_PKS1_PKT2_SA_S7_PKT4_PKT5_S5_PT6_21rocsparse_index_base_b
                                        ; -- End function
	.set _ZN9rocsparseL18bsrxmvn_4x4_kernelILj128ELj16EiliaaiEEvT3_20rocsparse_direction_NS_24const_host_device_scalarIT1_EES1_PKS1_PKT2_SA_S7_PKT4_PKT5_S5_PT6_21rocsparse_index_base_b.num_vgpr, 60
	.set _ZN9rocsparseL18bsrxmvn_4x4_kernelILj128ELj16EiliaaiEEvT3_20rocsparse_direction_NS_24const_host_device_scalarIT1_EES1_PKS1_PKT2_SA_S7_PKT4_PKT5_S5_PT6_21rocsparse_index_base_b.num_agpr, 0
	.set _ZN9rocsparseL18bsrxmvn_4x4_kernelILj128ELj16EiliaaiEEvT3_20rocsparse_direction_NS_24const_host_device_scalarIT1_EES1_PKS1_PKT2_SA_S7_PKT4_PKT5_S5_PT6_21rocsparse_index_base_b.numbered_sgpr, 15
	.set _ZN9rocsparseL18bsrxmvn_4x4_kernelILj128ELj16EiliaaiEEvT3_20rocsparse_direction_NS_24const_host_device_scalarIT1_EES1_PKS1_PKT2_SA_S7_PKT4_PKT5_S5_PT6_21rocsparse_index_base_b.num_named_barrier, 0
	.set _ZN9rocsparseL18bsrxmvn_4x4_kernelILj128ELj16EiliaaiEEvT3_20rocsparse_direction_NS_24const_host_device_scalarIT1_EES1_PKS1_PKT2_SA_S7_PKT4_PKT5_S5_PT6_21rocsparse_index_base_b.private_seg_size, 0
	.set _ZN9rocsparseL18bsrxmvn_4x4_kernelILj128ELj16EiliaaiEEvT3_20rocsparse_direction_NS_24const_host_device_scalarIT1_EES1_PKS1_PKT2_SA_S7_PKT4_PKT5_S5_PT6_21rocsparse_index_base_b.uses_vcc, 1
	.set _ZN9rocsparseL18bsrxmvn_4x4_kernelILj128ELj16EiliaaiEEvT3_20rocsparse_direction_NS_24const_host_device_scalarIT1_EES1_PKS1_PKT2_SA_S7_PKT4_PKT5_S5_PT6_21rocsparse_index_base_b.uses_flat_scratch, 0
	.set _ZN9rocsparseL18bsrxmvn_4x4_kernelILj128ELj16EiliaaiEEvT3_20rocsparse_direction_NS_24const_host_device_scalarIT1_EES1_PKS1_PKT2_SA_S7_PKT4_PKT5_S5_PT6_21rocsparse_index_base_b.has_dyn_sized_stack, 0
	.set _ZN9rocsparseL18bsrxmvn_4x4_kernelILj128ELj16EiliaaiEEvT3_20rocsparse_direction_NS_24const_host_device_scalarIT1_EES1_PKS1_PKT2_SA_S7_PKT4_PKT5_S5_PT6_21rocsparse_index_base_b.has_recursion, 0
	.set _ZN9rocsparseL18bsrxmvn_4x4_kernelILj128ELj16EiliaaiEEvT3_20rocsparse_direction_NS_24const_host_device_scalarIT1_EES1_PKS1_PKT2_SA_S7_PKT4_PKT5_S5_PT6_21rocsparse_index_base_b.has_indirect_call, 0
	.section	.AMDGPU.csdata,"",@progbits
; Kernel info:
; codeLenInByte = 4724
; TotalNumSgprs: 17
; NumVgprs: 60
; ScratchSize: 0
; MemoryBound: 0
; FloatMode: 240
; IeeeMode: 1
; LDSByteSize: 0 bytes/workgroup (compile time only)
; SGPRBlocks: 0
; VGPRBlocks: 7
; NumSGPRsForWavesPerEU: 17
; NumVGPRsForWavesPerEU: 60
; Occupancy: 16
; WaveLimiterHint : 1
; COMPUTE_PGM_RSRC2:SCRATCH_EN: 0
; COMPUTE_PGM_RSRC2:USER_SGPR: 2
; COMPUTE_PGM_RSRC2:TRAP_HANDLER: 0
; COMPUTE_PGM_RSRC2:TGID_X_EN: 1
; COMPUTE_PGM_RSRC2:TGID_Y_EN: 0
; COMPUTE_PGM_RSRC2:TGID_Z_EN: 0
; COMPUTE_PGM_RSRC2:TIDIG_COMP_CNT: 0
	.section	.text._ZN9rocsparseL18bsrxmvn_4x4_kernelILj128ELj32EiliaaiEEvT3_20rocsparse_direction_NS_24const_host_device_scalarIT1_EES1_PKS1_PKT2_SA_S7_PKT4_PKT5_S5_PT6_21rocsparse_index_base_b,"axG",@progbits,_ZN9rocsparseL18bsrxmvn_4x4_kernelILj128ELj32EiliaaiEEvT3_20rocsparse_direction_NS_24const_host_device_scalarIT1_EES1_PKS1_PKT2_SA_S7_PKT4_PKT5_S5_PT6_21rocsparse_index_base_b,comdat
	.globl	_ZN9rocsparseL18bsrxmvn_4x4_kernelILj128ELj32EiliaaiEEvT3_20rocsparse_direction_NS_24const_host_device_scalarIT1_EES1_PKS1_PKT2_SA_S7_PKT4_PKT5_S5_PT6_21rocsparse_index_base_b ; -- Begin function _ZN9rocsparseL18bsrxmvn_4x4_kernelILj128ELj32EiliaaiEEvT3_20rocsparse_direction_NS_24const_host_device_scalarIT1_EES1_PKS1_PKT2_SA_S7_PKT4_PKT5_S5_PT6_21rocsparse_index_base_b
	.p2align	8
	.type	_ZN9rocsparseL18bsrxmvn_4x4_kernelILj128ELj32EiliaaiEEvT3_20rocsparse_direction_NS_24const_host_device_scalarIT1_EES1_PKS1_PKT2_SA_S7_PKT4_PKT5_S5_PT6_21rocsparse_index_base_b,@function
_ZN9rocsparseL18bsrxmvn_4x4_kernelILj128ELj32EiliaaiEEvT3_20rocsparse_direction_NS_24const_host_device_scalarIT1_EES1_PKS1_PKT2_SA_S7_PKT4_PKT5_S5_PT6_21rocsparse_index_base_b: ; @_ZN9rocsparseL18bsrxmvn_4x4_kernelILj128ELj32EiliaaiEEvT3_20rocsparse_direction_NS_24const_host_device_scalarIT1_EES1_PKS1_PKT2_SA_S7_PKT4_PKT5_S5_PT6_21rocsparse_index_base_b
; %bb.0:
	s_clause 0x1
	s_load_b64 s[12:13], s[0:1], 0x58
	s_load_b64 s[4:5], s[0:1], 0x8
	s_mov_b32 s7, -1
	s_wait_kmcnt 0x0
	s_bitcmp1_b32 s13, 0
                                        ; implicit-def: $sgpr13
	s_cselect_b32 s2, -1, 0
	s_delay_alu instid0(SALU_CYCLE_1) | instskip(NEXT) | instid1(SALU_CYCLE_1)
	s_xor_b32 s6, s2, -1
	s_and_b32 vcc_lo, exec_lo, s6
	s_cbranch_vccnz .LBB68_4
; %bb.1:
	s_load_b64 s[2:3], s[0:1], 0x48
	s_and_not1_b32 vcc_lo, exec_lo, s7
	s_cbranch_vccz .LBB68_5
.LBB68_2:
	s_and_b32 vcc_lo, exec_lo, s6
	s_cbranch_vccz .LBB68_6
.LBB68_3:
	s_wait_kmcnt 0x0
	s_load_b32 s14, s[2:3], 0x0
	s_cbranch_execz .LBB68_7
	s_branch .LBB68_8
.LBB68_4:
	s_load_b32 s13, s[4:5], 0x0
	s_load_b64 s[2:3], s[0:1], 0x48
	s_cbranch_execnz .LBB68_2
.LBB68_5:
	s_wait_kmcnt 0x0
	s_mov_b32 s13, s4
	s_and_b32 vcc_lo, exec_lo, s6
	s_cbranch_vccnz .LBB68_3
.LBB68_6:
	s_wait_kmcnt 0x0
                                        ; implicit-def: $sgpr14
.LBB68_7:
	s_wait_kmcnt 0x0
	s_mov_b32 s14, s2
.LBB68_8:
	s_cmp_lg_u32 s13, 0
	s_mov_b32 s6, 0
	s_cselect_b32 s2, -1, 0
	s_wait_kmcnt 0x0
	s_cmp_lg_u32 s14, 1
	s_cselect_b32 s3, -1, 0
	s_delay_alu instid0(SALU_CYCLE_1) | instskip(NEXT) | instid1(SALU_CYCLE_1)
	s_or_b32 s2, s2, s3
	s_and_not1_b32 vcc_lo, exec_lo, s2
	s_cbranch_vccnz .LBB68_14
; %bb.9:
	s_clause 0x1
	s_load_b64 s[4:5], s[0:1], 0x18
	s_load_b64 s[2:3], s[0:1], 0x0
	v_lshrrev_b32_e32 v1, 5, v0
	s_delay_alu instid0(VALU_DEP_1)
	v_lshl_or_b32 v8, ttmp9, 2, v1
	s_wait_kmcnt 0x0
	s_cmp_lg_u64 s[4:5], 0
	s_cbranch_scc0 .LBB68_15
; %bb.10:
	s_load_b32 s6, s[0:1], 0x10
	s_mov_b32 s7, 0
                                        ; implicit-def: $vgpr1
	s_wait_kmcnt 0x0
	v_cmp_gt_i32_e32 vcc_lo, s6, v8
	s_mov_b32 s6, 0
	s_and_saveexec_b32 s8, vcc_lo
	s_delay_alu instid0(SALU_CYCLE_1)
	s_xor_b32 s8, exec_lo, s8
	s_cbranch_execz .LBB68_12
; %bb.11:
	v_ashrrev_i32_e32 v9, 31, v8
	s_mov_b32 s6, exec_lo
	s_delay_alu instid0(VALU_DEP_1) | instskip(NEXT) | instid1(VALU_DEP_1)
	v_lshlrev_b64_e32 v[1:2], 2, v[8:9]
	v_add_co_u32 v1, vcc_lo, s4, v1
	s_delay_alu instid0(VALU_DEP_1)
	v_add_co_ci_u32_e64 v2, null, s5, v2, vcc_lo
	global_load_b32 v1, v[1:2], off
	s_wait_loadcnt 0x0
	v_subrev_nc_u32_e32 v1, s12, v1
.LBB68_12:
	s_or_b32 exec_lo, exec_lo, s8
	s_delay_alu instid0(SALU_CYCLE_1)
	s_and_b32 vcc_lo, exec_lo, s7
	s_wait_alu 0xfffe
	s_cbranch_vccz .LBB68_16
.LBB68_13:
	v_cmp_gt_i32_e32 vcc_lo, s2, v8
	s_and_not1_b32 s2, s6, exec_lo
	s_and_b32 s4, vcc_lo, exec_lo
	s_wait_alu 0xfffe
	s_or_b32 s6, s2, s4
	s_wait_alu 0xfffe
	s_and_saveexec_b32 s2, s6
	s_cbranch_execnz .LBB68_17
.LBB68_14:
	s_endpgm
.LBB68_15:
                                        ; implicit-def: $vgpr1
	s_cbranch_execnz .LBB68_13
.LBB68_16:
	v_mov_b32_e32 v8, v1
	s_and_saveexec_b32 s2, s6
	s_cbranch_execz .LBB68_14
.LBB68_17:
	s_load_b256 s[4:11], s[0:1], 0x20
	s_delay_alu instid0(VALU_DEP_1) | instskip(SKIP_1) | instid1(VALU_DEP_2)
	v_ashrrev_i32_e32 v9, 31, v8
	v_and_b32_e32 v23, 31, v0
	v_lshlrev_b64_e32 v[1:2], 3, v[8:9]
	s_wait_kmcnt 0x0
	s_delay_alu instid0(VALU_DEP_1) | instskip(SKIP_1) | instid1(VALU_DEP_2)
	v_add_co_u32 v3, vcc_lo, s4, v1
	s_wait_alu 0xfffd
	v_add_co_ci_u32_e64 v4, null, s5, v2, vcc_lo
	v_add_co_u32 v1, vcc_lo, s6, v1
	s_wait_alu 0xfffd
	v_add_co_ci_u32_e64 v2, null, s7, v2, vcc_lo
	v_add_co_u32 v5, vcc_lo, v3, 8
	global_load_b64 v[13:14], v[3:4], off
	s_wait_alu 0xfffd
	v_add_co_ci_u32_e64 v6, null, 0, v4, vcc_lo
	s_cmp_eq_u64 s[6:7], 0
	s_load_b64 s[6:7], s[0:1], 0x40
	s_cselect_b32 vcc_lo, -1, 0
	v_mov_b32_e32 v4, 0
	s_wait_alu 0xfffe
	v_dual_cndmask_b32 v2, v2, v6 :: v_dual_cndmask_b32 v1, v1, v5
	s_cmp_eq_u32 s3, 1
	global_load_b64 v[1:2], v[1:2], off
	s_wait_loadcnt 0x1
	v_sub_co_u32 v0, vcc_lo, v13, s12
	s_wait_alu 0xfffd
	v_subrev_co_ci_u32_e64 v3, null, 0, v14, vcc_lo
	s_delay_alu instid0(VALU_DEP_2) | instskip(SKIP_1) | instid1(VALU_DEP_2)
	v_add_co_u32 v11, vcc_lo, v0, v23
	s_wait_alu 0xfffd
	v_add_co_ci_u32_e64 v12, null, 0, v3, vcc_lo
	s_wait_loadcnt 0x0
	v_sub_co_u32 v15, vcc_lo, v1, s12
	s_delay_alu instid0(VALU_DEP_2) | instskip(SKIP_2) | instid1(VALU_DEP_2)
	v_lshlrev_b64_e32 v[0:1], 4, v[11:12]
	s_wait_alu 0xfffd
	v_subrev_co_ci_u32_e64 v16, null, 0, v2, vcc_lo
	v_add_co_u32 v9, vcc_lo, s10, v0
	s_delay_alu instid0(VALU_DEP_2)
	v_cmp_lt_i64_e64 s2, v[11:12], v[15:16]
	s_wait_alu 0xfffd
	v_add_co_ci_u32_e64 v10, null, s11, v1, vcc_lo
	s_cbranch_scc1 .LBB68_29
; %bb.18:
	v_dual_mov_b32 v2, 0 :: v_dual_mov_b32 v1, 0
	v_mov_b32_e32 v0, 0
	s_and_saveexec_b32 s5, s2
	s_cbranch_execz .LBB68_28
; %bb.19:
	v_or_b32_e32 v0, 32, v23
	v_not_b32_e32 v3, v13
	v_not_b32_e32 v2, v14
	s_mov_b32 s11, 0
	s_delay_alu instid0(VALU_DEP_3) | instskip(SKIP_3) | instid1(VALU_DEP_3)
	v_sub_co_u32 v0, s3, v0, s12
	s_wait_alu 0xf1ff
	v_sub_co_ci_u32_e64 v1, null, 0, 0, s3
	v_sub_co_u32 v4, s3, s12, v23
	v_add_co_u32 v0, vcc_lo, v0, v13
	s_wait_alu 0xfffd
	s_delay_alu instid0(VALU_DEP_3) | instskip(SKIP_2) | instid1(VALU_DEP_2)
	v_add_co_ci_u32_e64 v1, null, v1, v14, vcc_lo
	s_wait_alu 0xf1ff
	v_sub_co_ci_u32_e64 v5, null, 0, 0, s3
	v_cmp_gt_i64_e32 vcc_lo, v[0:1], v[15:16]
	s_wait_alu 0xfffd
	v_dual_cndmask_b32 v1, v16, v1 :: v_dual_cndmask_b32 v0, v15, v0
	v_add_co_u32 v3, vcc_lo, v4, v3
	s_wait_alu 0xfffd
	v_add_co_ci_u32_e64 v2, null, v5, v2, vcc_lo
	v_mov_b32_e32 v4, 0
	s_delay_alu instid0(VALU_DEP_3) | instskip(SKIP_1) | instid1(VALU_DEP_3)
	v_add_co_u32 v19, vcc_lo, v3, v0
	s_wait_alu 0xfffd
	v_add_co_ci_u32_e64 v20, null, v2, v1, vcc_lo
	v_dual_mov_b32 v18, v12 :: v_dual_mov_b32 v17, v11
	v_dual_mov_b32 v5, v4 :: v_dual_mov_b32 v6, v4
	s_delay_alu instid0(VALU_DEP_3) | instskip(SKIP_1) | instid1(VALU_DEP_3)
	v_lshrrev_b64 v[21:22], 5, v[19:20]
	v_mov_b32_e32 v7, v4
	v_dual_mov_b32 v0, v4 :: v_dual_mov_b32 v1, v5
	s_delay_alu instid0(VALU_DEP_4) | instskip(SKIP_1) | instid1(VALU_DEP_4)
	v_mov_b32_e32 v2, v6
	v_cmp_lt_u64_e32 vcc_lo, 0x5f, v[19:20]
	v_mov_b32_e32 v3, v7
	v_add_co_u32 v7, s3, v21, 1
	v_mov_b32_e32 v5, v9
	s_wait_alu 0xf1ff
	v_add_co_ci_u32_e64 v20, null, 0, v22, s3
	v_mov_b32_e32 v6, v10
	s_and_saveexec_b32 s10, vcc_lo
	s_cbranch_execz .LBB68_23
; %bb.20:
	v_lshlrev_b64_e32 v[0:1], 2, v[11:12]
	v_dual_mov_b32 v2, 0 :: v_dual_and_b32 v19, -4, v7
	v_dual_mov_b32 v5, v9 :: v_dual_mov_b32 v6, v10
	v_dual_mov_b32 v18, v12 :: v_dual_mov_b32 v17, v11
	s_delay_alu instid0(VALU_DEP_4) | instskip(SKIP_3) | instid1(VALU_DEP_3)
	v_add_co_u32 v0, vcc_lo, s8, v0
	s_wait_alu 0xfffd
	v_add_co_ci_u32_e64 v3, null, s9, v1, vcc_lo
	v_mov_b32_e32 v1, 0
	v_add_co_u32 v21, vcc_lo, 0x100, v0
	s_wait_alu 0xfffd
	s_delay_alu instid0(VALU_DEP_3)
	v_add_co_ci_u32_e64 v22, null, 0, v3, vcc_lo
	v_mov_b32_e32 v0, 0
.LBB68_21:                              ; =>This Inner Loop Header: Depth=1
	s_clause 0x3
	global_load_b32 v3, v[21:22], off offset:-256
	global_load_b32 v36, v[21:22], off offset:-128
	global_load_b32 v37, v[21:22], off
	global_load_b32 v42, v[21:22], off offset:128
	s_clause 0x2
	global_load_b128 v[24:27], v[5:6], off
	global_load_b128 v[28:31], v[5:6], off offset:512
	global_load_b128 v[32:35], v[5:6], off offset:1024
	s_wait_loadcnt 0x6
	v_subrev_nc_u32_e32 v3, s12, v3
	s_wait_loadcnt 0x5
	v_subrev_nc_u32_e32 v36, s12, v36
	;; [unrolled: 2-line block ×3, first 2 shown]
	s_wait_loadcnt 0x2
	v_bfe_i32 v45, v27, 0, 8
	v_lshlrev_b32_e32 v3, 2, v3
	v_lshlrev_b32_e32 v36, 2, v36
	;; [unrolled: 1-line block ×3, first 2 shown]
	s_wait_loadcnt 0x1
	v_lshrrev_b16 v46, 8, v31
	v_ashrrev_i32_e32 v47, 24, v31
	v_ashrrev_i32_e32 v39, 31, v3
	v_ashrrev_i32_e32 v43, 31, v36
	v_ashrrev_i32_e32 v44, 31, v37
	s_wait_kmcnt 0x0
	v_add_co_u32 v40, s4, s6, v3
	v_add_co_u32 v36, vcc_lo, s6, v36
	v_add_co_u32 v38, s3, s6, v37
	s_wait_alu 0xf1ff
	v_add_co_ci_u32_e64 v41, null, s7, v39, s4
	s_wait_alu 0xfffd
	v_add_co_ci_u32_e64 v37, null, s7, v43, vcc_lo
	v_add_co_ci_u32_e64 v39, null, s7, v44, s3
	s_clause 0x2
	global_load_b32 v3, v[40:41], off
	global_load_b32 v43, v[36:37], off
	;; [unrolled: 1-line block ×3, first 2 shown]
	v_subrev_nc_u32_e32 v36, s12, v42
	v_ashrrev_i32_e32 v42, 24, v27
	v_bfe_i32 v48, v31, 16, 8
	v_bfe_i32 v31, v31, 0, 8
	;; [unrolled: 1-line block ×3, first 2 shown]
	v_lshlrev_b32_e32 v36, 2, v36
	s_wait_loadcnt 0x3
	v_bfe_i32 v51, v35, 16, 8
	v_bfe_i32 v49, v35, 0, 8
	;; [unrolled: 1-line block ×3, first 2 shown]
	v_ashrrev_i32_e32 v35, 24, v35
	v_ashrrev_i32_e32 v37, 31, v36
	v_add_co_u32 v40, vcc_lo, s6, v36
	s_wait_alu 0xfffd
	s_delay_alu instid0(VALU_DEP_2)
	v_add_co_ci_u32_e64 v41, null, s7, v37, vcc_lo
	global_load_b128 v[36:39], v[5:6], off offset:1536
	global_load_b32 v40, v[40:41], off
	v_lshrrev_b16 v41, 8, v27
	v_bfe_i32 v27, v27, 16, 8
	v_add_co_u32 v5, vcc_lo, 0x800, v5
	s_wait_alu 0xfffd
	v_add_co_ci_u32_e64 v6, null, 0, v6, vcc_lo
	v_bfe_i32 v41, v41, 0, 8
	v_add_co_u32 v17, vcc_lo, 0x80, v17
	s_wait_alu 0xfffd
	v_add_co_ci_u32_e64 v18, null, 0, v18, vcc_lo
	v_add_co_u32 v19, vcc_lo, v19, -4
	s_wait_alu 0xfffd
	v_add_co_ci_u32_e64 v20, null, -1, v20, vcc_lo
	v_add_co_u32 v21, vcc_lo, 0x200, v21
	s_wait_alu 0xfffd
	v_add_co_ci_u32_e64 v22, null, 0, v22, vcc_lo
	s_delay_alu instid0(VALU_DEP_3)
	v_cmp_eq_u64_e32 vcc_lo, 0, v[19:20]
	s_wait_alu 0xfffe
	s_or_b32 s11, vcc_lo, s11
	s_wait_loadcnt 0x4
	v_lshrrev_b16 v52, 8, v3
	v_ashrrev_i32_e32 v53, 24, v3
	v_bfe_i32 v54, v3, 0, 8
	v_bfe_i32 v55, v3, 16, 8
	v_dot4_i32_iu8 v0, v3, v24, v0 neg_lo:[1,1,0]
	v_dot4_i32_iu8 v1, v3, v25, v1 neg_lo:[1,1,0]
	;; [unrolled: 1-line block ×3, first 2 shown]
	s_wait_loadcnt 0x3
	v_lshrrev_b16 v3, 8, v43
	v_ashrrev_i32_e32 v24, 24, v43
	v_bfe_i32 v25, v43, 16, 8
	v_bfe_i32 v26, v43, 0, 8
	;; [unrolled: 1-line block ×4, first 2 shown]
	v_mul_i32_i24_e32 v24, v47, v24
	s_wait_loadcnt 0x2
	v_bfe_i32 v56, v44, 16, 8
	v_mul_i32_i24_e32 v26, v31, v26
	v_mul_i32_i24_e32 v25, v48, v25
	;; [unrolled: 1-line block ×4, first 2 shown]
	v_mad_i32_i24 v24, v42, v53, v24
	v_bfe_i32 v58, v44, 8, 8
	v_bfe_i32 v59, v44, 0, 8
	v_mul_i32_i24_e32 v41, v51, v56
	v_mad_i32_i24 v25, v27, v55, v25
	v_mad_i32_i24 v26, v45, v54, v26
	v_add3_u32 v3, v31, v3, v24
	v_ashrrev_i32_e32 v57, 24, v44
	v_mul_i32_i24_e32 v24, v59, v49
	v_mad_i32_i24 v27, v58, v50, v41
	v_dot4_i32_iu8 v0, v43, v28, v0 neg_lo:[1,1,0]
	v_add3_u32 v3, v26, v25, v3
	v_dot4_i32_iu8 v1, v43, v29, v1 neg_lo:[1,1,0]
	v_dot4_i32_iu8 v2, v43, v30, v2 neg_lo:[1,1,0]
	v_mul_i32_i24_e32 v25, v35, v57
	v_dot4_i32_iu8 v0, v44, v32, v0 neg_lo:[1,1,0]
	v_add3_u32 v3, v3, v24, v27
	v_dot4_i32_iu8 v1, v33, v44, v1 neg_lo:[1,1,0]
	v_dot4_i32_iu8 v2, v34, v44, v2 neg_lo:[1,1,0]
	s_wait_loadcnt 0x0
	v_dot4_i32_iu8 v0, v40, v36, v0 neg_lo:[1,1,0]
	v_add3_u32 v3, v3, v4, v25
	v_dot4_i32_iu8 v1, v40, v37, v1 neg_lo:[1,1,0]
	v_dot4_i32_iu8 v2, v40, v38, v2 neg_lo:[1,1,0]
	s_delay_alu instid0(VALU_DEP_3)
	v_dot4_i32_iu8 v4, v40, v39, v3 neg_lo:[1,1,0]
	s_wait_alu 0xfffe
	s_and_not1_b32 exec_lo, exec_lo, s11
	s_cbranch_execnz .LBB68_21
; %bb.22:
	s_or_b32 exec_lo, exec_lo, s11
	v_mov_b32_e32 v3, v4
.LBB68_23:
	s_wait_alu 0xfffe
	s_or_b32 exec_lo, exec_lo, s10
	v_dual_mov_b32 v20, 0 :: v_dual_and_b32 v19, 3, v7
	s_mov_b32 s3, exec_lo
	s_delay_alu instid0(VALU_DEP_1)
	v_cmpx_ne_u64_e32 0, v[19:20]
	s_cbranch_execz .LBB68_27
; %bb.24:
	v_lshlrev_b64_e32 v[17:18], 2, v[17:18]
	v_lshlrev_b32_e32 v19, 2, v19
	s_mov_b32 s4, 0
	s_delay_alu instid0(VALU_DEP_2) | instskip(SKIP_1) | instid1(VALU_DEP_3)
	v_add_co_u32 v17, vcc_lo, s8, v17
	s_wait_alu 0xfffd
	v_add_co_ci_u32_e64 v18, null, s9, v18, vcc_lo
.LBB68_25:                              ; =>This Inner Loop Header: Depth=1
	global_load_b32 v4, v[17:18], off
	s_wait_loadcnt 0x0
	v_subrev_nc_u32_e32 v4, s12, v4
	s_delay_alu instid0(VALU_DEP_1) | instskip(NEXT) | instid1(VALU_DEP_1)
	v_lshlrev_b32_e32 v4, 2, v4
	v_ashrrev_i32_e32 v7, 31, v4
	s_wait_kmcnt 0x0
	v_add_co_u32 v21, vcc_lo, s6, v4
	s_wait_alu 0xfffd
	s_delay_alu instid0(VALU_DEP_2)
	v_add_co_ci_u32_e64 v22, null, s7, v7, vcc_lo
	global_load_b128 v[24:27], v[5:6], off
	global_load_b32 v4, v[21:22], off
	v_add_co_u32 v5, vcc_lo, 0x200, v5
	s_wait_alu 0xfffd
	v_add_co_ci_u32_e64 v6, null, 0, v6, vcc_lo
	v_add_co_u32 v19, vcc_lo, v19, -4
	s_wait_alu 0xfffd
	v_add_co_ci_u32_e64 v20, null, -1, v20, vcc_lo
	v_add_co_u32 v17, vcc_lo, 0x80, v17
	s_wait_alu 0xfffd
	v_add_co_ci_u32_e64 v18, null, 0, v18, vcc_lo
	s_delay_alu instid0(VALU_DEP_3)
	v_cmp_eq_u64_e32 vcc_lo, 0, v[19:20]
	s_wait_alu 0xfffe
	s_or_b32 s4, vcc_lo, s4
	s_wait_loadcnt 0x0
	v_dot4_i32_iu8 v3, v4, v27, v3 neg_lo:[1,1,0]
	v_dot4_i32_iu8 v2, v4, v26, v2 neg_lo:[1,1,0]
	;; [unrolled: 1-line block ×4, first 2 shown]
	s_wait_alu 0xfffe
	s_and_not1_b32 exec_lo, exec_lo, s4
	s_cbranch_execnz .LBB68_25
; %bb.26:
	s_or_b32 exec_lo, exec_lo, s4
	v_mov_b32_e32 v4, v3
.LBB68_27:
	s_wait_alu 0xfffe
	s_or_b32 exec_lo, exec_lo, s3
.LBB68_28:
	s_wait_alu 0xfffe
	s_or_b32 exec_lo, exec_lo, s5
	s_cbranch_execz .LBB68_30
	s_branch .LBB68_41
.LBB68_29:
                                        ; implicit-def: $vgpr4
                                        ; implicit-def: $vgpr2
.LBB68_30:
	v_dual_mov_b32 v4, 0 :: v_dual_mov_b32 v1, 0
	v_mov_b32_e32 v2, 0
	v_mov_b32_e32 v0, 0
	s_and_saveexec_b32 s4, s2
	s_cbranch_execz .LBB68_40
; %bb.31:
	v_or_b32_e32 v0, 32, v23
	v_not_b32_e32 v3, v13
	v_not_b32_e32 v2, v14
	s_mov_b32 s10, 0
	s_delay_alu instid0(VALU_DEP_3) | instskip(SKIP_3) | instid1(VALU_DEP_3)
	v_sub_co_u32 v0, s2, v0, s12
	s_wait_alu 0xf1ff
	v_sub_co_ci_u32_e64 v1, null, 0, 0, s2
	v_sub_co_u32 v4, s2, s12, v23
	v_add_co_u32 v0, vcc_lo, v0, v13
	s_wait_alu 0xfffd
	s_delay_alu instid0(VALU_DEP_3) | instskip(SKIP_2) | instid1(VALU_DEP_2)
	v_add_co_ci_u32_e64 v1, null, v1, v14, vcc_lo
	s_wait_alu 0xf1ff
	v_sub_co_ci_u32_e64 v5, null, 0, 0, s2
	v_cmp_gt_i64_e32 vcc_lo, v[0:1], v[15:16]
	s_wait_alu 0xfffd
	v_dual_cndmask_b32 v1, v16, v1 :: v_dual_cndmask_b32 v0, v15, v0
	v_add_co_u32 v3, vcc_lo, v4, v3
	s_wait_alu 0xfffd
	v_add_co_ci_u32_e64 v2, null, v5, v2, vcc_lo
	v_mov_b32_e32 v4, 0
	s_delay_alu instid0(VALU_DEP_3) | instskip(SKIP_1) | instid1(VALU_DEP_3)
	v_add_co_u32 v0, vcc_lo, v3, v0
	s_wait_alu 0xfffd
	v_add_co_ci_u32_e64 v1, null, v2, v1, vcc_lo
	s_delay_alu instid0(VALU_DEP_3) | instskip(SKIP_1) | instid1(VALU_DEP_3)
	v_dual_mov_b32 v5, v4 :: v_dual_mov_b32 v6, v4
	v_mov_b32_e32 v7, v4
	v_lshrrev_b64 v[2:3], 5, v[0:1]
	v_cmp_lt_u64_e32 vcc_lo, 0x5f, v[0:1]
	s_delay_alu instid0(VALU_DEP_2) | instskip(SKIP_1) | instid1(VALU_DEP_3)
	v_add_co_u32 v15, s2, v2, 1
	s_wait_alu 0xf1ff
	v_add_co_ci_u32_e64 v14, null, 0, v3, s2
	v_dual_mov_b32 v0, v4 :: v_dual_mov_b32 v1, v5
	v_dual_mov_b32 v2, v6 :: v_dual_mov_b32 v3, v7
	s_and_saveexec_b32 s5, vcc_lo
	s_cbranch_execz .LBB68_35
; %bb.32:
	v_lshlrev_b64_e32 v[0:1], 2, v[11:12]
	v_dual_mov_b32 v2, 0 :: v_dual_and_b32 v13, -4, v15
	s_delay_alu instid0(VALU_DEP_2) | instskip(SKIP_1) | instid1(VALU_DEP_3)
	v_add_co_u32 v0, vcc_lo, s8, v0
	s_wait_alu 0xfffd
	v_add_co_ci_u32_e64 v3, null, s9, v1, vcc_lo
	v_mov_b32_e32 v1, 0
	s_delay_alu instid0(VALU_DEP_3) | instskip(SKIP_1) | instid1(VALU_DEP_3)
	v_add_co_u32 v5, vcc_lo, 0x100, v0
	s_wait_alu 0xfffd
	v_add_co_ci_u32_e64 v6, null, 0, v3, vcc_lo
	v_mov_b32_e32 v0, 0
.LBB68_33:                              ; =>This Inner Loop Header: Depth=1
	s_clause 0x3
	global_load_b32 v3, v[5:6], off offset:-256
	global_load_b32 v7, v[5:6], off offset:-128
	global_load_b32 v20, v[5:6], off
	global_load_b32 v21, v[5:6], off offset:128
	s_clause 0x2
	global_load_b128 v[16:19], v[9:10], off
	global_load_b128 v[24:27], v[9:10], off offset:512
	global_load_b128 v[28:31], v[9:10], off offset:1024
	s_wait_loadcnt 0x6
	v_subrev_nc_u32_e32 v3, s12, v3
	s_wait_loadcnt 0x5
	v_subrev_nc_u32_e32 v7, s12, v7
	;; [unrolled: 2-line block ×4, first 2 shown]
	s_wait_loadcnt 0x2
	v_perm_b32 v37, v18, v17, 0xc05010c
	v_lshlrev_b32_e32 v3, 2, v3
	v_lshlrev_b32_e32 v7, 2, v7
	;; [unrolled: 1-line block ×4, first 2 shown]
	v_perm_b32 v39, v18, v17, 0xc06020c
	v_ashrrev_i32_e32 v21, 31, v3
	v_ashrrev_i32_e32 v33, 31, v7
	s_wait_kmcnt 0x0
	v_add_co_u32 v20, vcc_lo, s6, v7
	v_ashrrev_i32_e32 v7, 31, v22
	v_add_co_u32 v34, s3, s6, v3
	v_add_co_u32 v32, s2, s6, v22
	s_wait_alu 0xf1ff
	v_add_co_ci_u32_e64 v35, null, s7, v21, s3
	s_wait_alu 0xfffd
	v_add_co_ci_u32_e64 v21, null, s7, v33, vcc_lo
	v_add_co_ci_u32_e64 v33, null, s7, v7, s2
	s_clause 0x2
	global_load_b32 v3, v[34:35], off
	global_load_b32 v7, v[20:21], off
	global_load_b32 v22, v[32:33], off
	global_load_b128 v[32:35], v[9:10], off offset:1536
	v_ashrrev_i32_e32 v21, 31, v36
	v_add_co_u32 v20, vcc_lo, s6, v36
	s_wait_loadcnt 0x5
	v_perm_b32 v41, v26, v25, 0x4000c0c
	v_perm_b32 v42, v24, v19, 0xc0c0501
	s_wait_alu 0xfffd
	v_add_co_ci_u32_e64 v21, null, s7, v21, vcc_lo
	v_perm_b32 v43, v26, v25, 0x5010c0c
	v_perm_b32 v44, v24, v19, 0xc0c0602
	;; [unrolled: 1-line block ×3, first 2 shown]
	global_load_b32 v20, v[20:21], off
	v_perm_b32 v21, v18, v17, 0xc04000c
	v_perm_b32 v17, v18, v17, 0xc07030c
	v_perm_b32 v18, v24, v19, 0xc0c0400
	v_perm_b32 v19, v24, v19, 0xc0c0703
	v_perm_b32 v24, v26, v25, 0x7030c0c
	s_wait_loadcnt 0x5
	v_lshrrev_b32_e32 v25, 16, v31
	v_perm_b32 v26, v28, v27, 0xc0c0400
	v_perm_b32 v47, v28, v27, 0xc0c0501
	;; [unrolled: 1-line block ×9, first 2 shown]
	v_or_b32_e32 v27, v28, v27
	v_ashrrev_i16 v28, 8, v25
	v_bfe_i32 v25, v25, 0, 8
	v_perm_b32 v46, v30, v29, 0x4000c0c
	v_perm_b32 v48, v30, v29, 0x5010c0c
	;; [unrolled: 1-line block ×3, first 2 shown]
	v_ashrrev_i16 v29, 8, v31
	v_bfe_i32 v30, v31, 0, 8
	v_or_b32_e32 v21, v21, v36
	v_or_b32_e32 v16, v17, v16
	v_perm_b32 v25, v28, v25, 0x5040100
	v_or_b32_e32 v17, v41, v18
	v_or_b32_e32 v18, v43, v42
	;; [unrolled: 1-line block ×4, first 2 shown]
	v_perm_b32 v29, v29, v30, 0x5040100
	v_or_b32_e32 v24, v46, v26
	v_or_b32_e32 v26, v48, v47
	v_add_co_u32 v9, vcc_lo, 0x800, v9
	s_wait_alu 0xfffd
	v_add_co_ci_u32_e64 v10, null, 0, v10, vcc_lo
	v_add_co_u32 v11, vcc_lo, 0x80, v11
	s_wait_alu 0xfffd
	v_add_co_ci_u32_e64 v12, null, 0, v12, vcc_lo
	v_add_co_u32 v13, vcc_lo, v13, -4
	s_wait_alu 0xfffd
	v_add_co_ci_u32_e64 v14, null, -1, v14, vcc_lo
	v_add_co_u32 v5, vcc_lo, 0x200, v5
	s_wait_alu 0xfffd
	v_add_co_ci_u32_e64 v6, null, 0, v6, vcc_lo
	s_delay_alu instid0(VALU_DEP_3)
	v_cmp_eq_u64_e32 vcc_lo, 0, v[13:14]
	s_wait_alu 0xfffe
	s_or_b32 s10, vcc_lo, s10
	s_wait_loadcnt 0x4
	v_perm_b32 v28, v3, v3, 0xc020100
	s_wait_loadcnt 0x3
	v_perm_b32 v3, v7, v3, 0x6050403
	;; [unrolled: 2-line block ×4, first 2 shown]
	v_perm_b32 v51, v35, v34, 0x7030c0c
	v_perm_b32 v52, v33, v32, 0xc0c0602
	;; [unrolled: 1-line block ×7, first 2 shown]
	v_or_b32_e32 v34, v37, v38
	v_or_b32_e32 v35, v39, v40
	v_lshrrev_b32_e32 v39, 24, v22
	v_dot4_i32_iu8 v0, v28, v21, v0 neg_lo:[1,1,0]
	v_dot4_i32_iu8 v4, v16, v28, v4 neg_lo:[1,1,0]
	v_dot4_i32_iu8 v1, v34, v28, v1 neg_lo:[1,1,0]
	v_dot4_i32_iu8 v2, v35, v28, v2 neg_lo:[1,1,0]
	v_bfe_i32 v16, v39, 0, 8
	v_or_b32_e32 v37, v50, v49
	v_dot4_i32_iu8 v0, v3, v17, v0 neg_lo:[1,1,0]
	v_dot4_i32_iu8 v1, v18, v3, v1 neg_lo:[1,1,0]
	;; [unrolled: 1-line block ×4, first 2 shown]
	v_pk_mul_lo_u16 v4, v16, v25 op_sel_hi:[0,1]
	v_pk_mul_lo_u16 v16, v16, v29 op_sel_hi:[0,1]
	v_dot4_i32_iu8 v0, v7, v24, v0 neg_lo:[1,1,0]
	v_dot4_i32_iu8 v1, v26, v7, v1 neg_lo:[1,1,0]
	;; [unrolled: 1-line block ×4, first 2 shown]
	v_ashrrev_i32_e32 v7, 16, v4
	v_bfe_i32 v4, v4, 0, 16
	v_ashrrev_i32_e32 v17, 16, v16
	v_bfe_i32 v16, v16, 0, 16
	v_or_b32_e32 v30, v51, v31
	v_or_b32_e32 v31, v53, v52
	;; [unrolled: 1-line block ×4, first 2 shown]
	v_add_nc_u32_e32 v3, v3, v7
	v_add_nc_u32_e32 v2, v2, v4
	;; [unrolled: 1-line block ×4, first 2 shown]
	s_wait_loadcnt 0x0
	v_dot4_i32_iu8 v4, v20, v30, v3 neg_lo:[1,1,0]
	v_dot4_i32_iu8 v2, v20, v31, v2 neg_lo:[1,1,0]
	;; [unrolled: 1-line block ×4, first 2 shown]
	s_wait_alu 0xfffe
	s_and_not1_b32 exec_lo, exec_lo, s10
	s_cbranch_execnz .LBB68_33
; %bb.34:
	s_or_b32 exec_lo, exec_lo, s10
	v_mov_b32_e32 v3, v4
.LBB68_35:
	s_wait_alu 0xfffe
	s_or_b32 exec_lo, exec_lo, s5
	v_dual_mov_b32 v6, 0 :: v_dual_and_b32 v5, 3, v15
	s_mov_b32 s2, exec_lo
	s_delay_alu instid0(VALU_DEP_1)
	v_cmpx_ne_u64_e32 0, v[5:6]
	s_cbranch_execz .LBB68_39
; %bb.36:
	v_lshlrev_b64_e32 v[11:12], 2, v[11:12]
	v_lshlrev_b32_e32 v5, 2, v5
	s_mov_b32 s3, 0
	s_delay_alu instid0(VALU_DEP_2) | instskip(SKIP_1) | instid1(VALU_DEP_3)
	v_add_co_u32 v11, vcc_lo, s8, v11
	s_wait_alu 0xfffd
	v_add_co_ci_u32_e64 v12, null, s9, v12, vcc_lo
.LBB68_37:                              ; =>This Inner Loop Header: Depth=1
	global_load_b32 v4, v[11:12], off
	global_load_b128 v[13:16], v[9:10], off
	s_wait_loadcnt 0x1
	v_subrev_nc_u32_e32 v4, s12, v4
	s_wait_loadcnt 0x0
	v_perm_b32 v19, v16, v15, 0x6020c0c
	v_perm_b32 v20, v14, v13, 0xc0c0501
	v_perm_b32 v21, v16, v15, 0x5010c0c
	v_lshlrev_b32_e32 v4, 2, v4
	s_delay_alu instid0(VALU_DEP_1) | instskip(SKIP_3) | instid1(VALU_DEP_2)
	v_ashrrev_i32_e32 v7, 31, v4
	s_wait_kmcnt 0x0
	v_add_co_u32 v17, vcc_lo, s6, v4
	s_wait_alu 0xfffd
	v_add_co_ci_u32_e64 v18, null, s7, v7, vcc_lo
	v_add_co_u32 v9, vcc_lo, 0x200, v9
	s_wait_alu 0xfffd
	v_add_co_ci_u32_e64 v10, null, 0, v10, vcc_lo
	global_load_b32 v4, v[17:18], off
	v_add_co_u32 v11, vcc_lo, 0x80, v11
	s_wait_alu 0xfffd
	v_add_co_ci_u32_e64 v12, null, 0, v12, vcc_lo
	v_add_co_u32 v5, vcc_lo, v5, -4
	v_perm_b32 v7, v14, v13, 0xc0c0703
	v_perm_b32 v17, v16, v15, 0x7030c0c
	;; [unrolled: 1-line block ×5, first 2 shown]
	s_wait_alu 0xfffd
	v_add_co_ci_u32_e64 v6, null, -1, v6, vcc_lo
	v_or_b32_e32 v7, v17, v7
	v_or_b32_e32 v15, v19, v18
	;; [unrolled: 1-line block ×4, first 2 shown]
	v_cmp_eq_u64_e32 vcc_lo, 0, v[5:6]
	s_wait_alu 0xfffe
	s_or_b32 s3, vcc_lo, s3
	s_wait_loadcnt 0x0
	v_dot4_i32_iu8 v3, v4, v7, v3 neg_lo:[1,1,0]
	v_dot4_i32_iu8 v2, v4, v15, v2 neg_lo:[1,1,0]
	;; [unrolled: 1-line block ×4, first 2 shown]
	s_wait_alu 0xfffe
	s_and_not1_b32 exec_lo, exec_lo, s3
	s_cbranch_execnz .LBB68_37
; %bb.38:
	s_or_b32 exec_lo, exec_lo, s3
	v_mov_b32_e32 v4, v3
.LBB68_39:
	s_wait_alu 0xfffe
	s_or_b32 exec_lo, exec_lo, s2
.LBB68_40:
	s_wait_alu 0xfffe
	s_or_b32 exec_lo, exec_lo, s4
.LBB68_41:
	v_mbcnt_lo_u32_b32 v3, -1, 0
	s_mov_b32 s2, -1
	s_delay_alu instid0(VALU_DEP_1) | instskip(SKIP_1) | instid1(VALU_DEP_2)
	v_xor_b32_e32 v5, 16, v3
	v_xor_b32_e32 v10, 8, v3
	v_cmp_gt_i32_e32 vcc_lo, 32, v5
	s_wait_alu 0xfffd
	v_cndmask_b32_e32 v5, v3, v5, vcc_lo
	s_delay_alu instid0(VALU_DEP_3) | instskip(SKIP_2) | instid1(VALU_DEP_1)
	v_cmp_gt_i32_e32 vcc_lo, 32, v10
	s_wait_alu 0xfffd
	v_cndmask_b32_e32 v10, v3, v10, vcc_lo
	v_lshlrev_b32_e32 v10, 2, v10
	v_lshlrev_b32_e32 v5, 2, v5
	ds_bpermute_b32 v6, v5, v0
	ds_bpermute_b32 v7, v5, v1
	;; [unrolled: 1-line block ×4, first 2 shown]
	s_wait_dscnt 0x3
	v_add_nc_u32_e32 v0, v6, v0
	s_wait_dscnt 0x2
	v_add_nc_u32_e32 v1, v7, v1
	;; [unrolled: 2-line block ×4, first 2 shown]
	ds_bpermute_b32 v5, v10, v0
	ds_bpermute_b32 v6, v10, v1
	;; [unrolled: 1-line block ×4, first 2 shown]
	v_xor_b32_e32 v10, 4, v3
	s_delay_alu instid0(VALU_DEP_1) | instskip(SKIP_2) | instid1(VALU_DEP_1)
	v_cmp_gt_i32_e32 vcc_lo, 32, v10
	s_wait_alu 0xfffd
	v_cndmask_b32_e32 v10, v3, v10, vcc_lo
	v_lshlrev_b32_e32 v10, 2, v10
	s_wait_dscnt 0x3
	v_add_nc_u32_e32 v0, v5, v0
	s_wait_dscnt 0x2
	v_add_nc_u32_e32 v1, v6, v1
	;; [unrolled: 2-line block ×4, first 2 shown]
	ds_bpermute_b32 v5, v10, v0
	ds_bpermute_b32 v6, v10, v1
	;; [unrolled: 1-line block ×4, first 2 shown]
	v_xor_b32_e32 v10, 2, v3
	s_delay_alu instid0(VALU_DEP_1)
	v_cmp_gt_i32_e32 vcc_lo, 32, v10
	s_wait_alu 0xfffd
	v_cndmask_b32_e32 v10, v3, v10, vcc_lo
	s_wait_dscnt 0x3
	v_add_nc_u32_e32 v0, v5, v0
	s_wait_dscnt 0x2
	v_add_nc_u32_e32 v1, v6, v1
	v_lshlrev_b32_e32 v10, 2, v10
	s_wait_dscnt 0x1
	v_add_nc_u32_e32 v2, v7, v2
	s_wait_dscnt 0x0
	v_add_nc_u32_e32 v4, v9, v4
	ds_bpermute_b32 v5, v10, v0
	ds_bpermute_b32 v6, v10, v1
	;; [unrolled: 1-line block ×4, first 2 shown]
	v_xor_b32_e32 v10, 1, v3
	s_delay_alu instid0(VALU_DEP_1) | instskip(SKIP_3) | instid1(VALU_DEP_2)
	v_cmp_gt_i32_e32 vcc_lo, 32, v10
	s_wait_alu 0xfffd
	v_cndmask_b32_e32 v3, v3, v10, vcc_lo
	v_cmp_eq_u32_e32 vcc_lo, 31, v23
	v_lshlrev_b32_e32 v10, 2, v3
	s_wait_dscnt 0x3
	v_add_nc_u32_e32 v0, v5, v0
	s_wait_dscnt 0x2
	v_add_nc_u32_e32 v1, v6, v1
	;; [unrolled: 2-line block ×4, first 2 shown]
	ds_bpermute_b32 v4, v10, v0
	ds_bpermute_b32 v5, v10, v1
	;; [unrolled: 1-line block ×4, first 2 shown]
	s_and_b32 exec_lo, exec_lo, vcc_lo
	s_cbranch_execz .LBB68_14
; %bb.42:
	s_load_b64 s[0:1], s[0:1], 0x50
	s_wait_dscnt 0x3
	v_add_nc_u32_e32 v0, v4, v0
	s_wait_dscnt 0x2
	v_add_nc_u32_e32 v1, v5, v1
	;; [unrolled: 2-line block ×4, first 2 shown]
	v_lshlrev_b32_e32 v4, 2, v8
	v_mul_lo_u32 v0, v0, s13
	v_mul_lo_u32 v1, v1, s13
	;; [unrolled: 1-line block ×4, first 2 shown]
	s_cmp_eq_u32 s14, 0
	s_cbranch_scc1 .LBB68_44
; %bb.43:
	v_ashrrev_i32_e32 v5, 31, v4
	s_mov_b32 s2, 0
	s_delay_alu instid0(VALU_DEP_1) | instskip(SKIP_1) | instid1(VALU_DEP_1)
	v_lshlrev_b64_e32 v[5:6], 2, v[4:5]
	s_wait_kmcnt 0x0
	v_add_co_u32 v12, vcc_lo, s0, v5
	s_wait_alu 0xfffd
	s_delay_alu instid0(VALU_DEP_2)
	v_add_co_ci_u32_e64 v13, null, s1, v6, vcc_lo
	global_load_b128 v[5:8], v[12:13], off
	s_wait_loadcnt 0x0
	v_mad_co_u64_u32 v[14:15], null, v8, s14, v[3:4]
	v_mad_co_u64_u32 v[8:9], null, v5, s14, v[0:1]
	;; [unrolled: 1-line block ×4, first 2 shown]
	s_delay_alu instid0(VALU_DEP_4)
	v_mov_b32_e32 v11, v14
	global_store_b128 v[12:13], v[8:11], off
.LBB68_44:
	s_wait_alu 0xfffe
	s_and_not1_b32 vcc_lo, exec_lo, s2
	s_wait_alu 0xfffe
	s_cbranch_vccnz .LBB68_14
; %bb.45:
	v_ashrrev_i32_e32 v5, 31, v4
	s_delay_alu instid0(VALU_DEP_1) | instskip(SKIP_1) | instid1(VALU_DEP_1)
	v_lshlrev_b64_e32 v[4:5], 2, v[4:5]
	s_wait_kmcnt 0x0
	v_add_co_u32 v4, vcc_lo, s0, v4
	s_wait_alu 0xfffd
	s_delay_alu instid0(VALU_DEP_2)
	v_add_co_ci_u32_e64 v5, null, s1, v5, vcc_lo
	global_store_b128 v[4:5], v[0:3], off
	s_endpgm
	.section	.rodata,"a",@progbits
	.p2align	6, 0x0
	.amdhsa_kernel _ZN9rocsparseL18bsrxmvn_4x4_kernelILj128ELj32EiliaaiEEvT3_20rocsparse_direction_NS_24const_host_device_scalarIT1_EES1_PKS1_PKT2_SA_S7_PKT4_PKT5_S5_PT6_21rocsparse_index_base_b
		.amdhsa_group_segment_fixed_size 0
		.amdhsa_private_segment_fixed_size 0
		.amdhsa_kernarg_size 96
		.amdhsa_user_sgpr_count 2
		.amdhsa_user_sgpr_dispatch_ptr 0
		.amdhsa_user_sgpr_queue_ptr 0
		.amdhsa_user_sgpr_kernarg_segment_ptr 1
		.amdhsa_user_sgpr_dispatch_id 0
		.amdhsa_user_sgpr_private_segment_size 0
		.amdhsa_wavefront_size32 1
		.amdhsa_uses_dynamic_stack 0
		.amdhsa_enable_private_segment 0
		.amdhsa_system_sgpr_workgroup_id_x 1
		.amdhsa_system_sgpr_workgroup_id_y 0
		.amdhsa_system_sgpr_workgroup_id_z 0
		.amdhsa_system_sgpr_workgroup_info 0
		.amdhsa_system_vgpr_workitem_id 0
		.amdhsa_next_free_vgpr 60
		.amdhsa_next_free_sgpr 15
		.amdhsa_reserve_vcc 1
		.amdhsa_float_round_mode_32 0
		.amdhsa_float_round_mode_16_64 0
		.amdhsa_float_denorm_mode_32 3
		.amdhsa_float_denorm_mode_16_64 3
		.amdhsa_fp16_overflow 0
		.amdhsa_workgroup_processor_mode 1
		.amdhsa_memory_ordered 1
		.amdhsa_forward_progress 1
		.amdhsa_inst_pref_size 38
		.amdhsa_round_robin_scheduling 0
		.amdhsa_exception_fp_ieee_invalid_op 0
		.amdhsa_exception_fp_denorm_src 0
		.amdhsa_exception_fp_ieee_div_zero 0
		.amdhsa_exception_fp_ieee_overflow 0
		.amdhsa_exception_fp_ieee_underflow 0
		.amdhsa_exception_fp_ieee_inexact 0
		.amdhsa_exception_int_div_zero 0
	.end_amdhsa_kernel
	.section	.text._ZN9rocsparseL18bsrxmvn_4x4_kernelILj128ELj32EiliaaiEEvT3_20rocsparse_direction_NS_24const_host_device_scalarIT1_EES1_PKS1_PKT2_SA_S7_PKT4_PKT5_S5_PT6_21rocsparse_index_base_b,"axG",@progbits,_ZN9rocsparseL18bsrxmvn_4x4_kernelILj128ELj32EiliaaiEEvT3_20rocsparse_direction_NS_24const_host_device_scalarIT1_EES1_PKS1_PKT2_SA_S7_PKT4_PKT5_S5_PT6_21rocsparse_index_base_b,comdat
.Lfunc_end68:
	.size	_ZN9rocsparseL18bsrxmvn_4x4_kernelILj128ELj32EiliaaiEEvT3_20rocsparse_direction_NS_24const_host_device_scalarIT1_EES1_PKS1_PKT2_SA_S7_PKT4_PKT5_S5_PT6_21rocsparse_index_base_b, .Lfunc_end68-_ZN9rocsparseL18bsrxmvn_4x4_kernelILj128ELj32EiliaaiEEvT3_20rocsparse_direction_NS_24const_host_device_scalarIT1_EES1_PKS1_PKT2_SA_S7_PKT4_PKT5_S5_PT6_21rocsparse_index_base_b
                                        ; -- End function
	.set _ZN9rocsparseL18bsrxmvn_4x4_kernelILj128ELj32EiliaaiEEvT3_20rocsparse_direction_NS_24const_host_device_scalarIT1_EES1_PKS1_PKT2_SA_S7_PKT4_PKT5_S5_PT6_21rocsparse_index_base_b.num_vgpr, 60
	.set _ZN9rocsparseL18bsrxmvn_4x4_kernelILj128ELj32EiliaaiEEvT3_20rocsparse_direction_NS_24const_host_device_scalarIT1_EES1_PKS1_PKT2_SA_S7_PKT4_PKT5_S5_PT6_21rocsparse_index_base_b.num_agpr, 0
	.set _ZN9rocsparseL18bsrxmvn_4x4_kernelILj128ELj32EiliaaiEEvT3_20rocsparse_direction_NS_24const_host_device_scalarIT1_EES1_PKS1_PKT2_SA_S7_PKT4_PKT5_S5_PT6_21rocsparse_index_base_b.numbered_sgpr, 15
	.set _ZN9rocsparseL18bsrxmvn_4x4_kernelILj128ELj32EiliaaiEEvT3_20rocsparse_direction_NS_24const_host_device_scalarIT1_EES1_PKS1_PKT2_SA_S7_PKT4_PKT5_S5_PT6_21rocsparse_index_base_b.num_named_barrier, 0
	.set _ZN9rocsparseL18bsrxmvn_4x4_kernelILj128ELj32EiliaaiEEvT3_20rocsparse_direction_NS_24const_host_device_scalarIT1_EES1_PKS1_PKT2_SA_S7_PKT4_PKT5_S5_PT6_21rocsparse_index_base_b.private_seg_size, 0
	.set _ZN9rocsparseL18bsrxmvn_4x4_kernelILj128ELj32EiliaaiEEvT3_20rocsparse_direction_NS_24const_host_device_scalarIT1_EES1_PKS1_PKT2_SA_S7_PKT4_PKT5_S5_PT6_21rocsparse_index_base_b.uses_vcc, 1
	.set _ZN9rocsparseL18bsrxmvn_4x4_kernelILj128ELj32EiliaaiEEvT3_20rocsparse_direction_NS_24const_host_device_scalarIT1_EES1_PKS1_PKT2_SA_S7_PKT4_PKT5_S5_PT6_21rocsparse_index_base_b.uses_flat_scratch, 0
	.set _ZN9rocsparseL18bsrxmvn_4x4_kernelILj128ELj32EiliaaiEEvT3_20rocsparse_direction_NS_24const_host_device_scalarIT1_EES1_PKS1_PKT2_SA_S7_PKT4_PKT5_S5_PT6_21rocsparse_index_base_b.has_dyn_sized_stack, 0
	.set _ZN9rocsparseL18bsrxmvn_4x4_kernelILj128ELj32EiliaaiEEvT3_20rocsparse_direction_NS_24const_host_device_scalarIT1_EES1_PKS1_PKT2_SA_S7_PKT4_PKT5_S5_PT6_21rocsparse_index_base_b.has_recursion, 0
	.set _ZN9rocsparseL18bsrxmvn_4x4_kernelILj128ELj32EiliaaiEEvT3_20rocsparse_direction_NS_24const_host_device_scalarIT1_EES1_PKS1_PKT2_SA_S7_PKT4_PKT5_S5_PT6_21rocsparse_index_base_b.has_indirect_call, 0
	.section	.AMDGPU.csdata,"",@progbits
; Kernel info:
; codeLenInByte = 4836
; TotalNumSgprs: 17
; NumVgprs: 60
; ScratchSize: 0
; MemoryBound: 0
; FloatMode: 240
; IeeeMode: 1
; LDSByteSize: 0 bytes/workgroup (compile time only)
; SGPRBlocks: 0
; VGPRBlocks: 7
; NumSGPRsForWavesPerEU: 17
; NumVGPRsForWavesPerEU: 60
; Occupancy: 16
; WaveLimiterHint : 1
; COMPUTE_PGM_RSRC2:SCRATCH_EN: 0
; COMPUTE_PGM_RSRC2:USER_SGPR: 2
; COMPUTE_PGM_RSRC2:TRAP_HANDLER: 0
; COMPUTE_PGM_RSRC2:TGID_X_EN: 1
; COMPUTE_PGM_RSRC2:TGID_Y_EN: 0
; COMPUTE_PGM_RSRC2:TGID_Z_EN: 0
; COMPUTE_PGM_RSRC2:TIDIG_COMP_CNT: 0
	.section	.text._ZN9rocsparseL18bsrxmvn_4x4_kernelILj128ELj64EiliaaiEEvT3_20rocsparse_direction_NS_24const_host_device_scalarIT1_EES1_PKS1_PKT2_SA_S7_PKT4_PKT5_S5_PT6_21rocsparse_index_base_b,"axG",@progbits,_ZN9rocsparseL18bsrxmvn_4x4_kernelILj128ELj64EiliaaiEEvT3_20rocsparse_direction_NS_24const_host_device_scalarIT1_EES1_PKS1_PKT2_SA_S7_PKT4_PKT5_S5_PT6_21rocsparse_index_base_b,comdat
	.globl	_ZN9rocsparseL18bsrxmvn_4x4_kernelILj128ELj64EiliaaiEEvT3_20rocsparse_direction_NS_24const_host_device_scalarIT1_EES1_PKS1_PKT2_SA_S7_PKT4_PKT5_S5_PT6_21rocsparse_index_base_b ; -- Begin function _ZN9rocsparseL18bsrxmvn_4x4_kernelILj128ELj64EiliaaiEEvT3_20rocsparse_direction_NS_24const_host_device_scalarIT1_EES1_PKS1_PKT2_SA_S7_PKT4_PKT5_S5_PT6_21rocsparse_index_base_b
	.p2align	8
	.type	_ZN9rocsparseL18bsrxmvn_4x4_kernelILj128ELj64EiliaaiEEvT3_20rocsparse_direction_NS_24const_host_device_scalarIT1_EES1_PKS1_PKT2_SA_S7_PKT4_PKT5_S5_PT6_21rocsparse_index_base_b,@function
_ZN9rocsparseL18bsrxmvn_4x4_kernelILj128ELj64EiliaaiEEvT3_20rocsparse_direction_NS_24const_host_device_scalarIT1_EES1_PKS1_PKT2_SA_S7_PKT4_PKT5_S5_PT6_21rocsparse_index_base_b: ; @_ZN9rocsparseL18bsrxmvn_4x4_kernelILj128ELj64EiliaaiEEvT3_20rocsparse_direction_NS_24const_host_device_scalarIT1_EES1_PKS1_PKT2_SA_S7_PKT4_PKT5_S5_PT6_21rocsparse_index_base_b
; %bb.0:
	s_clause 0x1
	s_load_b64 s[12:13], s[0:1], 0x58
	s_load_b64 s[4:5], s[0:1], 0x8
	s_mov_b32 s7, -1
	s_wait_kmcnt 0x0
	s_bitcmp1_b32 s13, 0
                                        ; implicit-def: $sgpr13
	s_cselect_b32 s2, -1, 0
	s_delay_alu instid0(SALU_CYCLE_1) | instskip(NEXT) | instid1(SALU_CYCLE_1)
	s_xor_b32 s6, s2, -1
	s_and_b32 vcc_lo, exec_lo, s6
	s_cbranch_vccnz .LBB69_4
; %bb.1:
	s_load_b64 s[2:3], s[0:1], 0x48
	s_and_not1_b32 vcc_lo, exec_lo, s7
	s_cbranch_vccz .LBB69_5
.LBB69_2:
	s_and_b32 vcc_lo, exec_lo, s6
	s_cbranch_vccz .LBB69_6
.LBB69_3:
	s_wait_kmcnt 0x0
	s_load_b32 s14, s[2:3], 0x0
	s_cbranch_execz .LBB69_7
	s_branch .LBB69_8
.LBB69_4:
	s_load_b32 s13, s[4:5], 0x0
	s_load_b64 s[2:3], s[0:1], 0x48
	s_cbranch_execnz .LBB69_2
.LBB69_5:
	s_wait_kmcnt 0x0
	s_mov_b32 s13, s4
	s_and_b32 vcc_lo, exec_lo, s6
	s_cbranch_vccnz .LBB69_3
.LBB69_6:
	s_wait_kmcnt 0x0
                                        ; implicit-def: $sgpr14
.LBB69_7:
	s_wait_kmcnt 0x0
	s_mov_b32 s14, s2
.LBB69_8:
	s_cmp_lg_u32 s13, 0
	s_mov_b32 s6, 0
	s_cselect_b32 s2, -1, 0
	s_wait_kmcnt 0x0
	s_cmp_lg_u32 s14, 1
	s_cselect_b32 s3, -1, 0
	s_delay_alu instid0(SALU_CYCLE_1) | instskip(NEXT) | instid1(SALU_CYCLE_1)
	s_or_b32 s2, s2, s3
	s_and_not1_b32 vcc_lo, exec_lo, s2
	s_cbranch_vccnz .LBB69_14
; %bb.9:
	s_clause 0x1
	s_load_b64 s[4:5], s[0:1], 0x18
	s_load_b64 s[2:3], s[0:1], 0x0
	v_lshrrev_b32_e32 v1, 6, v0
	s_delay_alu instid0(VALU_DEP_1)
	v_lshl_or_b32 v8, ttmp9, 1, v1
	s_wait_kmcnt 0x0
	s_cmp_lg_u64 s[4:5], 0
	s_cbranch_scc0 .LBB69_15
; %bb.10:
	s_load_b32 s6, s[0:1], 0x10
	s_mov_b32 s7, 0
                                        ; implicit-def: $vgpr1
	s_wait_kmcnt 0x0
	v_cmp_gt_i32_e32 vcc_lo, s6, v8
	s_mov_b32 s6, 0
	s_and_saveexec_b32 s8, vcc_lo
	s_delay_alu instid0(SALU_CYCLE_1)
	s_xor_b32 s8, exec_lo, s8
	s_cbranch_execz .LBB69_12
; %bb.11:
	v_ashrrev_i32_e32 v9, 31, v8
	s_mov_b32 s6, exec_lo
	s_delay_alu instid0(VALU_DEP_1) | instskip(NEXT) | instid1(VALU_DEP_1)
	v_lshlrev_b64_e32 v[1:2], 2, v[8:9]
	v_add_co_u32 v1, vcc_lo, s4, v1
	s_delay_alu instid0(VALU_DEP_1)
	v_add_co_ci_u32_e64 v2, null, s5, v2, vcc_lo
	global_load_b32 v1, v[1:2], off
	s_wait_loadcnt 0x0
	v_subrev_nc_u32_e32 v1, s12, v1
.LBB69_12:
	s_or_b32 exec_lo, exec_lo, s8
	s_delay_alu instid0(SALU_CYCLE_1)
	s_and_b32 vcc_lo, exec_lo, s7
	s_wait_alu 0xfffe
	s_cbranch_vccz .LBB69_16
.LBB69_13:
	v_cmp_gt_i32_e32 vcc_lo, s2, v8
	s_and_not1_b32 s2, s6, exec_lo
	s_and_b32 s4, vcc_lo, exec_lo
	s_wait_alu 0xfffe
	s_or_b32 s6, s2, s4
	s_wait_alu 0xfffe
	s_and_saveexec_b32 s2, s6
	s_cbranch_execnz .LBB69_17
.LBB69_14:
	s_endpgm
.LBB69_15:
                                        ; implicit-def: $vgpr1
	s_cbranch_execnz .LBB69_13
.LBB69_16:
	v_mov_b32_e32 v8, v1
	s_and_saveexec_b32 s2, s6
	s_cbranch_execz .LBB69_14
.LBB69_17:
	s_load_b256 s[4:11], s[0:1], 0x20
	s_delay_alu instid0(VALU_DEP_1) | instskip(SKIP_1) | instid1(VALU_DEP_2)
	v_ashrrev_i32_e32 v9, 31, v8
	v_and_b32_e32 v23, 63, v0
	v_lshlrev_b64_e32 v[1:2], 3, v[8:9]
	s_wait_kmcnt 0x0
	s_delay_alu instid0(VALU_DEP_1) | instskip(SKIP_1) | instid1(VALU_DEP_2)
	v_add_co_u32 v3, vcc_lo, s4, v1
	s_wait_alu 0xfffd
	v_add_co_ci_u32_e64 v4, null, s5, v2, vcc_lo
	v_add_co_u32 v1, vcc_lo, s6, v1
	s_wait_alu 0xfffd
	v_add_co_ci_u32_e64 v2, null, s7, v2, vcc_lo
	v_add_co_u32 v5, vcc_lo, v3, 8
	global_load_b64 v[13:14], v[3:4], off
	s_wait_alu 0xfffd
	v_add_co_ci_u32_e64 v6, null, 0, v4, vcc_lo
	s_cmp_eq_u64 s[6:7], 0
	s_load_b64 s[6:7], s[0:1], 0x40
	s_cselect_b32 vcc_lo, -1, 0
	v_mov_b32_e32 v4, 0
	s_wait_alu 0xfffe
	v_dual_cndmask_b32 v2, v2, v6 :: v_dual_cndmask_b32 v1, v1, v5
	s_cmp_eq_u32 s3, 1
	global_load_b64 v[1:2], v[1:2], off
	s_wait_loadcnt 0x1
	v_sub_co_u32 v0, vcc_lo, v13, s12
	s_wait_alu 0xfffd
	v_subrev_co_ci_u32_e64 v3, null, 0, v14, vcc_lo
	s_delay_alu instid0(VALU_DEP_2) | instskip(SKIP_1) | instid1(VALU_DEP_2)
	v_add_co_u32 v11, vcc_lo, v0, v23
	s_wait_alu 0xfffd
	v_add_co_ci_u32_e64 v12, null, 0, v3, vcc_lo
	s_wait_loadcnt 0x0
	v_sub_co_u32 v15, vcc_lo, v1, s12
	s_delay_alu instid0(VALU_DEP_2) | instskip(SKIP_2) | instid1(VALU_DEP_2)
	v_lshlrev_b64_e32 v[0:1], 4, v[11:12]
	s_wait_alu 0xfffd
	v_subrev_co_ci_u32_e64 v16, null, 0, v2, vcc_lo
	v_add_co_u32 v9, vcc_lo, s10, v0
	s_delay_alu instid0(VALU_DEP_2)
	v_cmp_lt_i64_e64 s2, v[11:12], v[15:16]
	s_wait_alu 0xfffd
	v_add_co_ci_u32_e64 v10, null, s11, v1, vcc_lo
	s_cbranch_scc1 .LBB69_29
; %bb.18:
	v_dual_mov_b32 v2, 0 :: v_dual_mov_b32 v1, 0
	v_mov_b32_e32 v0, 0
	s_and_saveexec_b32 s5, s2
	s_cbranch_execz .LBB69_28
; %bb.19:
	v_or_b32_e32 v0, 64, v23
	v_not_b32_e32 v3, v13
	v_not_b32_e32 v2, v14
	s_mov_b32 s11, 0
	s_delay_alu instid0(VALU_DEP_3) | instskip(SKIP_3) | instid1(VALU_DEP_3)
	v_sub_co_u32 v0, s3, v0, s12
	s_wait_alu 0xf1ff
	v_sub_co_ci_u32_e64 v1, null, 0, 0, s3
	v_sub_co_u32 v4, s3, s12, v23
	v_add_co_u32 v0, vcc_lo, v0, v13
	s_wait_alu 0xfffd
	s_delay_alu instid0(VALU_DEP_3) | instskip(SKIP_2) | instid1(VALU_DEP_2)
	v_add_co_ci_u32_e64 v1, null, v1, v14, vcc_lo
	s_wait_alu 0xf1ff
	v_sub_co_ci_u32_e64 v5, null, 0, 0, s3
	v_cmp_gt_i64_e32 vcc_lo, v[0:1], v[15:16]
	s_wait_alu 0xfffd
	v_dual_cndmask_b32 v1, v16, v1 :: v_dual_cndmask_b32 v0, v15, v0
	v_add_co_u32 v3, vcc_lo, v4, v3
	s_wait_alu 0xfffd
	v_add_co_ci_u32_e64 v2, null, v5, v2, vcc_lo
	v_mov_b32_e32 v4, 0
	s_delay_alu instid0(VALU_DEP_3) | instskip(SKIP_1) | instid1(VALU_DEP_3)
	v_add_co_u32 v19, vcc_lo, v3, v0
	s_wait_alu 0xfffd
	v_add_co_ci_u32_e64 v20, null, v2, v1, vcc_lo
	v_dual_mov_b32 v18, v12 :: v_dual_mov_b32 v17, v11
	v_dual_mov_b32 v5, v4 :: v_dual_mov_b32 v6, v4
	s_delay_alu instid0(VALU_DEP_3) | instskip(SKIP_1) | instid1(VALU_DEP_3)
	v_lshrrev_b64 v[21:22], 6, v[19:20]
	v_mov_b32_e32 v7, v4
	v_dual_mov_b32 v0, v4 :: v_dual_mov_b32 v1, v5
	s_delay_alu instid0(VALU_DEP_4) | instskip(SKIP_1) | instid1(VALU_DEP_4)
	v_mov_b32_e32 v2, v6
	v_cmp_lt_u64_e32 vcc_lo, 0xbf, v[19:20]
	v_mov_b32_e32 v3, v7
	v_add_co_u32 v7, s3, v21, 1
	v_mov_b32_e32 v5, v9
	s_wait_alu 0xf1ff
	v_add_co_ci_u32_e64 v20, null, 0, v22, s3
	v_mov_b32_e32 v6, v10
	s_and_saveexec_b32 s10, vcc_lo
	s_cbranch_execz .LBB69_23
; %bb.20:
	v_lshlrev_b64_e32 v[0:1], 2, v[11:12]
	v_dual_mov_b32 v2, 0 :: v_dual_and_b32 v19, -4, v7
	v_dual_mov_b32 v5, v9 :: v_dual_mov_b32 v6, v10
	v_dual_mov_b32 v18, v12 :: v_dual_mov_b32 v17, v11
	s_delay_alu instid0(VALU_DEP_4) | instskip(SKIP_3) | instid1(VALU_DEP_3)
	v_add_co_u32 v0, vcc_lo, s8, v0
	s_wait_alu 0xfffd
	v_add_co_ci_u32_e64 v3, null, s9, v1, vcc_lo
	v_mov_b32_e32 v1, 0
	v_add_co_u32 v21, vcc_lo, 0x200, v0
	s_wait_alu 0xfffd
	s_delay_alu instid0(VALU_DEP_3)
	v_add_co_ci_u32_e64 v22, null, 0, v3, vcc_lo
	v_mov_b32_e32 v0, 0
.LBB69_21:                              ; =>This Inner Loop Header: Depth=1
	s_clause 0x3
	global_load_b32 v3, v[21:22], off offset:-512
	global_load_b32 v36, v[21:22], off offset:-256
	global_load_b32 v37, v[21:22], off
	global_load_b32 v42, v[21:22], off offset:256
	s_clause 0x2
	global_load_b128 v[24:27], v[5:6], off
	global_load_b128 v[28:31], v[5:6], off offset:1024
	global_load_b128 v[32:35], v[5:6], off offset:2048
	s_wait_loadcnt 0x6
	v_subrev_nc_u32_e32 v3, s12, v3
	s_wait_loadcnt 0x5
	v_subrev_nc_u32_e32 v36, s12, v36
	;; [unrolled: 2-line block ×3, first 2 shown]
	s_wait_loadcnt 0x2
	v_bfe_i32 v45, v27, 0, 8
	v_lshlrev_b32_e32 v3, 2, v3
	v_lshlrev_b32_e32 v36, 2, v36
	;; [unrolled: 1-line block ×3, first 2 shown]
	s_wait_loadcnt 0x1
	v_lshrrev_b16 v46, 8, v31
	v_ashrrev_i32_e32 v47, 24, v31
	v_ashrrev_i32_e32 v39, 31, v3
	;; [unrolled: 1-line block ×4, first 2 shown]
	s_wait_kmcnt 0x0
	v_add_co_u32 v40, s4, s6, v3
	v_add_co_u32 v36, vcc_lo, s6, v36
	v_add_co_u32 v38, s3, s6, v37
	s_wait_alu 0xf1ff
	v_add_co_ci_u32_e64 v41, null, s7, v39, s4
	s_wait_alu 0xfffd
	v_add_co_ci_u32_e64 v37, null, s7, v43, vcc_lo
	v_add_co_ci_u32_e64 v39, null, s7, v44, s3
	s_clause 0x2
	global_load_b32 v3, v[40:41], off
	global_load_b32 v43, v[36:37], off
	;; [unrolled: 1-line block ×3, first 2 shown]
	v_subrev_nc_u32_e32 v36, s12, v42
	v_ashrrev_i32_e32 v42, 24, v27
	v_bfe_i32 v48, v31, 16, 8
	v_bfe_i32 v31, v31, 0, 8
	;; [unrolled: 1-line block ×3, first 2 shown]
	v_lshlrev_b32_e32 v36, 2, v36
	s_wait_loadcnt 0x3
	v_bfe_i32 v51, v35, 16, 8
	v_bfe_i32 v49, v35, 0, 8
	;; [unrolled: 1-line block ×3, first 2 shown]
	v_ashrrev_i32_e32 v35, 24, v35
	v_ashrrev_i32_e32 v37, 31, v36
	v_add_co_u32 v40, vcc_lo, s6, v36
	s_wait_alu 0xfffd
	s_delay_alu instid0(VALU_DEP_2)
	v_add_co_ci_u32_e64 v41, null, s7, v37, vcc_lo
	global_load_b128 v[36:39], v[5:6], off offset:3072
	global_load_b32 v40, v[40:41], off
	v_lshrrev_b16 v41, 8, v27
	v_bfe_i32 v27, v27, 16, 8
	v_add_co_u32 v5, vcc_lo, 0x1000, v5
	s_wait_alu 0xfffd
	v_add_co_ci_u32_e64 v6, null, 0, v6, vcc_lo
	v_bfe_i32 v41, v41, 0, 8
	v_add_co_u32 v17, vcc_lo, 0x100, v17
	s_wait_alu 0xfffd
	v_add_co_ci_u32_e64 v18, null, 0, v18, vcc_lo
	v_add_co_u32 v19, vcc_lo, v19, -4
	s_wait_alu 0xfffd
	v_add_co_ci_u32_e64 v20, null, -1, v20, vcc_lo
	v_add_co_u32 v21, vcc_lo, 0x400, v21
	s_wait_alu 0xfffd
	v_add_co_ci_u32_e64 v22, null, 0, v22, vcc_lo
	s_delay_alu instid0(VALU_DEP_3)
	v_cmp_eq_u64_e32 vcc_lo, 0, v[19:20]
	s_wait_alu 0xfffe
	s_or_b32 s11, vcc_lo, s11
	s_wait_loadcnt 0x4
	v_lshrrev_b16 v52, 8, v3
	v_ashrrev_i32_e32 v53, 24, v3
	v_bfe_i32 v54, v3, 0, 8
	v_bfe_i32 v55, v3, 16, 8
	v_dot4_i32_iu8 v0, v3, v24, v0 neg_lo:[1,1,0]
	v_dot4_i32_iu8 v1, v3, v25, v1 neg_lo:[1,1,0]
	;; [unrolled: 1-line block ×3, first 2 shown]
	s_wait_loadcnt 0x3
	v_lshrrev_b16 v3, 8, v43
	v_ashrrev_i32_e32 v24, 24, v43
	v_bfe_i32 v25, v43, 16, 8
	v_bfe_i32 v26, v43, 0, 8
	;; [unrolled: 1-line block ×4, first 2 shown]
	v_mul_i32_i24_e32 v24, v47, v24
	s_wait_loadcnt 0x2
	v_bfe_i32 v56, v44, 16, 8
	v_mul_i32_i24_e32 v26, v31, v26
	v_mul_i32_i24_e32 v25, v48, v25
	;; [unrolled: 1-line block ×4, first 2 shown]
	v_mad_i32_i24 v24, v42, v53, v24
	v_bfe_i32 v58, v44, 8, 8
	v_bfe_i32 v59, v44, 0, 8
	v_mul_i32_i24_e32 v41, v51, v56
	v_mad_i32_i24 v25, v27, v55, v25
	v_mad_i32_i24 v26, v45, v54, v26
	v_add3_u32 v3, v31, v3, v24
	v_ashrrev_i32_e32 v57, 24, v44
	v_mul_i32_i24_e32 v24, v59, v49
	v_mad_i32_i24 v27, v58, v50, v41
	v_dot4_i32_iu8 v0, v43, v28, v0 neg_lo:[1,1,0]
	v_add3_u32 v3, v26, v25, v3
	v_dot4_i32_iu8 v1, v43, v29, v1 neg_lo:[1,1,0]
	v_dot4_i32_iu8 v2, v43, v30, v2 neg_lo:[1,1,0]
	v_mul_i32_i24_e32 v25, v35, v57
	v_dot4_i32_iu8 v0, v44, v32, v0 neg_lo:[1,1,0]
	v_add3_u32 v3, v3, v24, v27
	v_dot4_i32_iu8 v1, v33, v44, v1 neg_lo:[1,1,0]
	v_dot4_i32_iu8 v2, v34, v44, v2 neg_lo:[1,1,0]
	s_wait_loadcnt 0x0
	v_dot4_i32_iu8 v0, v40, v36, v0 neg_lo:[1,1,0]
	v_add3_u32 v3, v3, v4, v25
	v_dot4_i32_iu8 v1, v40, v37, v1 neg_lo:[1,1,0]
	v_dot4_i32_iu8 v2, v40, v38, v2 neg_lo:[1,1,0]
	s_delay_alu instid0(VALU_DEP_3)
	v_dot4_i32_iu8 v4, v40, v39, v3 neg_lo:[1,1,0]
	s_wait_alu 0xfffe
	s_and_not1_b32 exec_lo, exec_lo, s11
	s_cbranch_execnz .LBB69_21
; %bb.22:
	s_or_b32 exec_lo, exec_lo, s11
	v_mov_b32_e32 v3, v4
.LBB69_23:
	s_wait_alu 0xfffe
	s_or_b32 exec_lo, exec_lo, s10
	v_dual_mov_b32 v20, 0 :: v_dual_and_b32 v19, 3, v7
	s_mov_b32 s3, exec_lo
	s_delay_alu instid0(VALU_DEP_1)
	v_cmpx_ne_u64_e32 0, v[19:20]
	s_cbranch_execz .LBB69_27
; %bb.24:
	v_lshlrev_b64_e32 v[17:18], 2, v[17:18]
	v_lshlrev_b32_e32 v19, 2, v19
	s_mov_b32 s4, 0
	s_delay_alu instid0(VALU_DEP_2) | instskip(SKIP_1) | instid1(VALU_DEP_3)
	v_add_co_u32 v17, vcc_lo, s8, v17
	s_wait_alu 0xfffd
	v_add_co_ci_u32_e64 v18, null, s9, v18, vcc_lo
.LBB69_25:                              ; =>This Inner Loop Header: Depth=1
	global_load_b32 v4, v[17:18], off
	s_wait_loadcnt 0x0
	v_subrev_nc_u32_e32 v4, s12, v4
	s_delay_alu instid0(VALU_DEP_1) | instskip(NEXT) | instid1(VALU_DEP_1)
	v_lshlrev_b32_e32 v4, 2, v4
	v_ashrrev_i32_e32 v7, 31, v4
	s_wait_kmcnt 0x0
	v_add_co_u32 v21, vcc_lo, s6, v4
	s_wait_alu 0xfffd
	s_delay_alu instid0(VALU_DEP_2)
	v_add_co_ci_u32_e64 v22, null, s7, v7, vcc_lo
	global_load_b128 v[24:27], v[5:6], off
	global_load_b32 v4, v[21:22], off
	v_add_co_u32 v5, vcc_lo, 0x400, v5
	s_wait_alu 0xfffd
	v_add_co_ci_u32_e64 v6, null, 0, v6, vcc_lo
	v_add_co_u32 v19, vcc_lo, v19, -4
	s_wait_alu 0xfffd
	v_add_co_ci_u32_e64 v20, null, -1, v20, vcc_lo
	v_add_co_u32 v17, vcc_lo, 0x100, v17
	s_wait_alu 0xfffd
	v_add_co_ci_u32_e64 v18, null, 0, v18, vcc_lo
	s_delay_alu instid0(VALU_DEP_3)
	v_cmp_eq_u64_e32 vcc_lo, 0, v[19:20]
	s_wait_alu 0xfffe
	s_or_b32 s4, vcc_lo, s4
	s_wait_loadcnt 0x0
	v_dot4_i32_iu8 v3, v4, v27, v3 neg_lo:[1,1,0]
	v_dot4_i32_iu8 v2, v4, v26, v2 neg_lo:[1,1,0]
	;; [unrolled: 1-line block ×4, first 2 shown]
	s_wait_alu 0xfffe
	s_and_not1_b32 exec_lo, exec_lo, s4
	s_cbranch_execnz .LBB69_25
; %bb.26:
	s_or_b32 exec_lo, exec_lo, s4
	v_mov_b32_e32 v4, v3
.LBB69_27:
	s_wait_alu 0xfffe
	s_or_b32 exec_lo, exec_lo, s3
.LBB69_28:
	s_wait_alu 0xfffe
	s_or_b32 exec_lo, exec_lo, s5
	s_cbranch_execz .LBB69_30
	s_branch .LBB69_41
.LBB69_29:
                                        ; implicit-def: $vgpr4
                                        ; implicit-def: $vgpr2
.LBB69_30:
	v_dual_mov_b32 v4, 0 :: v_dual_mov_b32 v1, 0
	v_mov_b32_e32 v2, 0
	v_mov_b32_e32 v0, 0
	s_and_saveexec_b32 s4, s2
	s_cbranch_execz .LBB69_40
; %bb.31:
	v_or_b32_e32 v0, 64, v23
	v_not_b32_e32 v3, v13
	v_not_b32_e32 v2, v14
	s_mov_b32 s10, 0
	s_delay_alu instid0(VALU_DEP_3) | instskip(SKIP_3) | instid1(VALU_DEP_3)
	v_sub_co_u32 v0, s2, v0, s12
	s_wait_alu 0xf1ff
	v_sub_co_ci_u32_e64 v1, null, 0, 0, s2
	v_sub_co_u32 v4, s2, s12, v23
	v_add_co_u32 v0, vcc_lo, v0, v13
	s_wait_alu 0xfffd
	s_delay_alu instid0(VALU_DEP_3) | instskip(SKIP_2) | instid1(VALU_DEP_2)
	v_add_co_ci_u32_e64 v1, null, v1, v14, vcc_lo
	s_wait_alu 0xf1ff
	v_sub_co_ci_u32_e64 v5, null, 0, 0, s2
	v_cmp_gt_i64_e32 vcc_lo, v[0:1], v[15:16]
	s_wait_alu 0xfffd
	v_dual_cndmask_b32 v1, v16, v1 :: v_dual_cndmask_b32 v0, v15, v0
	v_add_co_u32 v3, vcc_lo, v4, v3
	s_wait_alu 0xfffd
	v_add_co_ci_u32_e64 v2, null, v5, v2, vcc_lo
	v_mov_b32_e32 v4, 0
	s_delay_alu instid0(VALU_DEP_3) | instskip(SKIP_1) | instid1(VALU_DEP_3)
	v_add_co_u32 v0, vcc_lo, v3, v0
	s_wait_alu 0xfffd
	v_add_co_ci_u32_e64 v1, null, v2, v1, vcc_lo
	s_delay_alu instid0(VALU_DEP_3) | instskip(SKIP_1) | instid1(VALU_DEP_3)
	v_dual_mov_b32 v5, v4 :: v_dual_mov_b32 v6, v4
	v_mov_b32_e32 v7, v4
	v_lshrrev_b64 v[2:3], 6, v[0:1]
	v_cmp_lt_u64_e32 vcc_lo, 0xbf, v[0:1]
	s_delay_alu instid0(VALU_DEP_2) | instskip(SKIP_1) | instid1(VALU_DEP_3)
	v_add_co_u32 v15, s2, v2, 1
	s_wait_alu 0xf1ff
	v_add_co_ci_u32_e64 v14, null, 0, v3, s2
	v_dual_mov_b32 v0, v4 :: v_dual_mov_b32 v1, v5
	v_dual_mov_b32 v2, v6 :: v_dual_mov_b32 v3, v7
	s_and_saveexec_b32 s5, vcc_lo
	s_cbranch_execz .LBB69_35
; %bb.32:
	v_lshlrev_b64_e32 v[0:1], 2, v[11:12]
	v_dual_mov_b32 v2, 0 :: v_dual_and_b32 v13, -4, v15
	s_delay_alu instid0(VALU_DEP_2) | instskip(SKIP_1) | instid1(VALU_DEP_3)
	v_add_co_u32 v0, vcc_lo, s8, v0
	s_wait_alu 0xfffd
	v_add_co_ci_u32_e64 v3, null, s9, v1, vcc_lo
	v_mov_b32_e32 v1, 0
	s_delay_alu instid0(VALU_DEP_3) | instskip(SKIP_1) | instid1(VALU_DEP_3)
	v_add_co_u32 v5, vcc_lo, 0x200, v0
	s_wait_alu 0xfffd
	v_add_co_ci_u32_e64 v6, null, 0, v3, vcc_lo
	v_mov_b32_e32 v0, 0
.LBB69_33:                              ; =>This Inner Loop Header: Depth=1
	s_clause 0x3
	global_load_b32 v3, v[5:6], off offset:-512
	global_load_b32 v7, v[5:6], off offset:-256
	global_load_b32 v20, v[5:6], off
	global_load_b32 v21, v[5:6], off offset:256
	s_clause 0x2
	global_load_b128 v[16:19], v[9:10], off
	global_load_b128 v[24:27], v[9:10], off offset:1024
	global_load_b128 v[28:31], v[9:10], off offset:2048
	s_wait_loadcnt 0x6
	v_subrev_nc_u32_e32 v3, s12, v3
	s_wait_loadcnt 0x5
	v_subrev_nc_u32_e32 v7, s12, v7
	;; [unrolled: 2-line block ×4, first 2 shown]
	s_wait_loadcnt 0x2
	v_perm_b32 v37, v18, v17, 0xc05010c
	v_lshlrev_b32_e32 v3, 2, v3
	v_lshlrev_b32_e32 v7, 2, v7
	;; [unrolled: 1-line block ×4, first 2 shown]
	v_perm_b32 v39, v18, v17, 0xc06020c
	v_ashrrev_i32_e32 v21, 31, v3
	v_ashrrev_i32_e32 v33, 31, v7
	s_wait_kmcnt 0x0
	v_add_co_u32 v20, vcc_lo, s6, v7
	v_ashrrev_i32_e32 v7, 31, v22
	v_add_co_u32 v34, s3, s6, v3
	v_add_co_u32 v32, s2, s6, v22
	s_wait_alu 0xf1ff
	v_add_co_ci_u32_e64 v35, null, s7, v21, s3
	s_wait_alu 0xfffd
	v_add_co_ci_u32_e64 v21, null, s7, v33, vcc_lo
	v_add_co_ci_u32_e64 v33, null, s7, v7, s2
	s_clause 0x2
	global_load_b32 v3, v[34:35], off
	global_load_b32 v7, v[20:21], off
	;; [unrolled: 1-line block ×3, first 2 shown]
	global_load_b128 v[32:35], v[9:10], off offset:3072
	v_ashrrev_i32_e32 v21, 31, v36
	v_add_co_u32 v20, vcc_lo, s6, v36
	s_wait_loadcnt 0x5
	v_perm_b32 v41, v26, v25, 0x4000c0c
	v_perm_b32 v42, v24, v19, 0xc0c0501
	s_wait_alu 0xfffd
	v_add_co_ci_u32_e64 v21, null, s7, v21, vcc_lo
	v_perm_b32 v43, v26, v25, 0x5010c0c
	v_perm_b32 v44, v24, v19, 0xc0c0602
	;; [unrolled: 1-line block ×3, first 2 shown]
	global_load_b32 v20, v[20:21], off
	v_perm_b32 v21, v18, v17, 0xc04000c
	v_perm_b32 v17, v18, v17, 0xc07030c
	;; [unrolled: 1-line block ×5, first 2 shown]
	s_wait_loadcnt 0x5
	v_lshrrev_b32_e32 v25, 16, v31
	v_perm_b32 v26, v28, v27, 0xc0c0400
	v_perm_b32 v47, v28, v27, 0xc0c0501
	v_perm_b32 v49, v28, v27, 0xc0c0602
	v_perm_b32 v27, v28, v27, 0xc0c0703
	v_perm_b32 v28, v30, v29, 0x7030c0c
	v_perm_b32 v36, v16, v16, 0xc0c0c00
	v_perm_b32 v38, v16, v16, 0xc0c0c01
	v_perm_b32 v40, v16, v16, 0xc0c0c02
	v_perm_b32 v16, v16, v16, 0xc0c0c03
	v_or_b32_e32 v27, v28, v27
	v_ashrrev_i16 v28, 8, v25
	v_bfe_i32 v25, v25, 0, 8
	v_perm_b32 v46, v30, v29, 0x4000c0c
	v_perm_b32 v48, v30, v29, 0x5010c0c
	;; [unrolled: 1-line block ×3, first 2 shown]
	v_ashrrev_i16 v29, 8, v31
	v_bfe_i32 v30, v31, 0, 8
	v_or_b32_e32 v21, v21, v36
	v_or_b32_e32 v16, v17, v16
	v_perm_b32 v25, v28, v25, 0x5040100
	v_or_b32_e32 v17, v41, v18
	v_or_b32_e32 v18, v43, v42
	;; [unrolled: 1-line block ×4, first 2 shown]
	v_perm_b32 v29, v29, v30, 0x5040100
	v_or_b32_e32 v24, v46, v26
	v_or_b32_e32 v26, v48, v47
	v_add_co_u32 v9, vcc_lo, 0x1000, v9
	s_wait_alu 0xfffd
	v_add_co_ci_u32_e64 v10, null, 0, v10, vcc_lo
	v_add_co_u32 v11, vcc_lo, 0x100, v11
	s_wait_alu 0xfffd
	v_add_co_ci_u32_e64 v12, null, 0, v12, vcc_lo
	v_add_co_u32 v13, vcc_lo, v13, -4
	s_wait_alu 0xfffd
	v_add_co_ci_u32_e64 v14, null, -1, v14, vcc_lo
	v_add_co_u32 v5, vcc_lo, 0x400, v5
	s_wait_alu 0xfffd
	v_add_co_ci_u32_e64 v6, null, 0, v6, vcc_lo
	s_delay_alu instid0(VALU_DEP_3)
	v_cmp_eq_u64_e32 vcc_lo, 0, v[13:14]
	s_wait_alu 0xfffe
	s_or_b32 s10, vcc_lo, s10
	s_wait_loadcnt 0x4
	v_perm_b32 v28, v3, v3, 0xc020100
	s_wait_loadcnt 0x3
	v_perm_b32 v3, v7, v3, 0x6050403
	;; [unrolled: 2-line block ×4, first 2 shown]
	v_perm_b32 v51, v35, v34, 0x7030c0c
	v_perm_b32 v52, v33, v32, 0xc0c0602
	;; [unrolled: 1-line block ×7, first 2 shown]
	v_or_b32_e32 v34, v37, v38
	v_or_b32_e32 v35, v39, v40
	v_lshrrev_b32_e32 v39, 24, v22
	v_dot4_i32_iu8 v0, v28, v21, v0 neg_lo:[1,1,0]
	v_dot4_i32_iu8 v4, v16, v28, v4 neg_lo:[1,1,0]
	;; [unrolled: 1-line block ×4, first 2 shown]
	v_bfe_i32 v16, v39, 0, 8
	v_or_b32_e32 v37, v50, v49
	v_dot4_i32_iu8 v0, v3, v17, v0 neg_lo:[1,1,0]
	v_dot4_i32_iu8 v1, v18, v3, v1 neg_lo:[1,1,0]
	;; [unrolled: 1-line block ×4, first 2 shown]
	v_pk_mul_lo_u16 v4, v16, v25 op_sel_hi:[0,1]
	v_pk_mul_lo_u16 v16, v16, v29 op_sel_hi:[0,1]
	v_dot4_i32_iu8 v0, v7, v24, v0 neg_lo:[1,1,0]
	v_dot4_i32_iu8 v1, v26, v7, v1 neg_lo:[1,1,0]
	;; [unrolled: 1-line block ×4, first 2 shown]
	v_ashrrev_i32_e32 v7, 16, v4
	v_bfe_i32 v4, v4, 0, 16
	v_ashrrev_i32_e32 v17, 16, v16
	v_bfe_i32 v16, v16, 0, 16
	v_or_b32_e32 v30, v51, v31
	v_or_b32_e32 v31, v53, v52
	;; [unrolled: 1-line block ×4, first 2 shown]
	v_add_nc_u32_e32 v3, v3, v7
	v_add_nc_u32_e32 v2, v2, v4
	;; [unrolled: 1-line block ×4, first 2 shown]
	s_wait_loadcnt 0x0
	v_dot4_i32_iu8 v4, v20, v30, v3 neg_lo:[1,1,0]
	v_dot4_i32_iu8 v2, v20, v31, v2 neg_lo:[1,1,0]
	;; [unrolled: 1-line block ×4, first 2 shown]
	s_wait_alu 0xfffe
	s_and_not1_b32 exec_lo, exec_lo, s10
	s_cbranch_execnz .LBB69_33
; %bb.34:
	s_or_b32 exec_lo, exec_lo, s10
	v_mov_b32_e32 v3, v4
.LBB69_35:
	s_wait_alu 0xfffe
	s_or_b32 exec_lo, exec_lo, s5
	v_dual_mov_b32 v6, 0 :: v_dual_and_b32 v5, 3, v15
	s_mov_b32 s2, exec_lo
	s_delay_alu instid0(VALU_DEP_1)
	v_cmpx_ne_u64_e32 0, v[5:6]
	s_cbranch_execz .LBB69_39
; %bb.36:
	v_lshlrev_b64_e32 v[11:12], 2, v[11:12]
	v_lshlrev_b32_e32 v5, 2, v5
	s_mov_b32 s3, 0
	s_delay_alu instid0(VALU_DEP_2) | instskip(SKIP_1) | instid1(VALU_DEP_3)
	v_add_co_u32 v11, vcc_lo, s8, v11
	s_wait_alu 0xfffd
	v_add_co_ci_u32_e64 v12, null, s9, v12, vcc_lo
.LBB69_37:                              ; =>This Inner Loop Header: Depth=1
	global_load_b32 v4, v[11:12], off
	global_load_b128 v[13:16], v[9:10], off
	s_wait_loadcnt 0x1
	v_subrev_nc_u32_e32 v4, s12, v4
	s_wait_loadcnt 0x0
	v_perm_b32 v19, v16, v15, 0x6020c0c
	v_perm_b32 v20, v14, v13, 0xc0c0501
	;; [unrolled: 1-line block ×3, first 2 shown]
	v_lshlrev_b32_e32 v4, 2, v4
	s_delay_alu instid0(VALU_DEP_1) | instskip(SKIP_3) | instid1(VALU_DEP_2)
	v_ashrrev_i32_e32 v7, 31, v4
	s_wait_kmcnt 0x0
	v_add_co_u32 v17, vcc_lo, s6, v4
	s_wait_alu 0xfffd
	v_add_co_ci_u32_e64 v18, null, s7, v7, vcc_lo
	v_add_co_u32 v9, vcc_lo, 0x400, v9
	s_wait_alu 0xfffd
	v_add_co_ci_u32_e64 v10, null, 0, v10, vcc_lo
	global_load_b32 v4, v[17:18], off
	v_add_co_u32 v11, vcc_lo, 0x100, v11
	s_wait_alu 0xfffd
	v_add_co_ci_u32_e64 v12, null, 0, v12, vcc_lo
	v_add_co_u32 v5, vcc_lo, v5, -4
	v_perm_b32 v7, v14, v13, 0xc0c0703
	v_perm_b32 v17, v16, v15, 0x7030c0c
	;; [unrolled: 1-line block ×5, first 2 shown]
	s_wait_alu 0xfffd
	v_add_co_ci_u32_e64 v6, null, -1, v6, vcc_lo
	v_or_b32_e32 v7, v17, v7
	v_or_b32_e32 v15, v19, v18
	v_or_b32_e32 v16, v21, v20
	v_or_b32_e32 v13, v14, v13
	v_cmp_eq_u64_e32 vcc_lo, 0, v[5:6]
	s_wait_alu 0xfffe
	s_or_b32 s3, vcc_lo, s3
	s_wait_loadcnt 0x0
	v_dot4_i32_iu8 v3, v4, v7, v3 neg_lo:[1,1,0]
	v_dot4_i32_iu8 v2, v4, v15, v2 neg_lo:[1,1,0]
	;; [unrolled: 1-line block ×4, first 2 shown]
	s_wait_alu 0xfffe
	s_and_not1_b32 exec_lo, exec_lo, s3
	s_cbranch_execnz .LBB69_37
; %bb.38:
	s_or_b32 exec_lo, exec_lo, s3
	v_mov_b32_e32 v4, v3
.LBB69_39:
	s_wait_alu 0xfffe
	s_or_b32 exec_lo, exec_lo, s2
.LBB69_40:
	s_wait_alu 0xfffe
	s_or_b32 exec_lo, exec_lo, s4
.LBB69_41:
	v_mbcnt_lo_u32_b32 v3, -1, 0
	s_mov_b32 s2, -1
	s_delay_alu instid0(VALU_DEP_1) | instskip(SKIP_1) | instid1(VALU_DEP_2)
	v_or_b32_e32 v5, 32, v3
	v_xor_b32_e32 v10, 16, v3
	v_cmp_gt_i32_e32 vcc_lo, 32, v5
	s_wait_alu 0xfffd
	v_cndmask_b32_e32 v5, v3, v5, vcc_lo
	s_delay_alu instid0(VALU_DEP_3) | instskip(SKIP_2) | instid1(VALU_DEP_1)
	v_cmp_gt_i32_e32 vcc_lo, 32, v10
	s_wait_alu 0xfffd
	v_cndmask_b32_e32 v10, v3, v10, vcc_lo
	v_lshlrev_b32_e32 v10, 2, v10
	v_lshlrev_b32_e32 v5, 2, v5
	ds_bpermute_b32 v6, v5, v0
	ds_bpermute_b32 v7, v5, v1
	;; [unrolled: 1-line block ×4, first 2 shown]
	s_wait_dscnt 0x3
	v_add_nc_u32_e32 v0, v6, v0
	s_wait_dscnt 0x2
	v_add_nc_u32_e32 v1, v7, v1
	;; [unrolled: 2-line block ×4, first 2 shown]
	ds_bpermute_b32 v5, v10, v0
	ds_bpermute_b32 v6, v10, v1
	;; [unrolled: 1-line block ×4, first 2 shown]
	v_xor_b32_e32 v10, 8, v3
	s_delay_alu instid0(VALU_DEP_1) | instskip(SKIP_2) | instid1(VALU_DEP_1)
	v_cmp_gt_i32_e32 vcc_lo, 32, v10
	s_wait_alu 0xfffd
	v_cndmask_b32_e32 v10, v3, v10, vcc_lo
	v_lshlrev_b32_e32 v10, 2, v10
	s_wait_dscnt 0x3
	v_add_nc_u32_e32 v0, v5, v0
	s_wait_dscnt 0x2
	v_add_nc_u32_e32 v1, v6, v1
	;; [unrolled: 2-line block ×4, first 2 shown]
	ds_bpermute_b32 v5, v10, v0
	ds_bpermute_b32 v6, v10, v1
	;; [unrolled: 1-line block ×4, first 2 shown]
	v_xor_b32_e32 v10, 4, v3
	s_delay_alu instid0(VALU_DEP_1)
	v_cmp_gt_i32_e32 vcc_lo, 32, v10
	s_wait_alu 0xfffd
	v_cndmask_b32_e32 v10, v3, v10, vcc_lo
	s_wait_dscnt 0x3
	v_add_nc_u32_e32 v0, v5, v0
	s_wait_dscnt 0x2
	v_add_nc_u32_e32 v1, v6, v1
	v_lshlrev_b32_e32 v10, 2, v10
	s_wait_dscnt 0x1
	v_add_nc_u32_e32 v2, v7, v2
	s_wait_dscnt 0x0
	v_add_nc_u32_e32 v4, v9, v4
	ds_bpermute_b32 v5, v10, v0
	ds_bpermute_b32 v6, v10, v1
	;; [unrolled: 1-line block ×4, first 2 shown]
	v_xor_b32_e32 v10, 2, v3
	s_delay_alu instid0(VALU_DEP_1)
	v_cmp_gt_i32_e32 vcc_lo, 32, v10
	s_wait_alu 0xfffd
	v_cndmask_b32_e32 v10, v3, v10, vcc_lo
	s_wait_dscnt 0x3
	v_add_nc_u32_e32 v0, v5, v0
	s_wait_dscnt 0x2
	v_add_nc_u32_e32 v1, v6, v1
	v_lshlrev_b32_e32 v10, 2, v10
	s_wait_dscnt 0x1
	v_add_nc_u32_e32 v2, v7, v2
	s_wait_dscnt 0x0
	v_add_nc_u32_e32 v4, v9, v4
	ds_bpermute_b32 v5, v10, v0
	ds_bpermute_b32 v6, v10, v1
	;; [unrolled: 1-line block ×4, first 2 shown]
	v_xor_b32_e32 v10, 1, v3
	s_delay_alu instid0(VALU_DEP_1) | instskip(SKIP_3) | instid1(VALU_DEP_2)
	v_cmp_gt_i32_e32 vcc_lo, 32, v10
	s_wait_alu 0xfffd
	v_cndmask_b32_e32 v3, v3, v10, vcc_lo
	v_cmp_eq_u32_e32 vcc_lo, 63, v23
	v_lshlrev_b32_e32 v10, 2, v3
	s_wait_dscnt 0x3
	v_add_nc_u32_e32 v0, v5, v0
	s_wait_dscnt 0x2
	v_add_nc_u32_e32 v1, v6, v1
	;; [unrolled: 2-line block ×4, first 2 shown]
	ds_bpermute_b32 v4, v10, v0
	ds_bpermute_b32 v5, v10, v1
	;; [unrolled: 1-line block ×4, first 2 shown]
	s_and_b32 exec_lo, exec_lo, vcc_lo
	s_cbranch_execz .LBB69_14
; %bb.42:
	s_load_b64 s[0:1], s[0:1], 0x50
	s_wait_dscnt 0x3
	v_add_nc_u32_e32 v0, v4, v0
	s_wait_dscnt 0x2
	v_add_nc_u32_e32 v1, v5, v1
	;; [unrolled: 2-line block ×4, first 2 shown]
	v_lshlrev_b32_e32 v4, 2, v8
	v_mul_lo_u32 v0, v0, s13
	v_mul_lo_u32 v1, v1, s13
	;; [unrolled: 1-line block ×4, first 2 shown]
	s_cmp_eq_u32 s14, 0
	s_cbranch_scc1 .LBB69_44
; %bb.43:
	v_ashrrev_i32_e32 v5, 31, v4
	s_mov_b32 s2, 0
	s_delay_alu instid0(VALU_DEP_1) | instskip(SKIP_1) | instid1(VALU_DEP_1)
	v_lshlrev_b64_e32 v[5:6], 2, v[4:5]
	s_wait_kmcnt 0x0
	v_add_co_u32 v12, vcc_lo, s0, v5
	s_wait_alu 0xfffd
	s_delay_alu instid0(VALU_DEP_2)
	v_add_co_ci_u32_e64 v13, null, s1, v6, vcc_lo
	global_load_b128 v[5:8], v[12:13], off
	s_wait_loadcnt 0x0
	v_mad_co_u64_u32 v[14:15], null, v8, s14, v[3:4]
	v_mad_co_u64_u32 v[8:9], null, v5, s14, v[0:1]
	;; [unrolled: 1-line block ×4, first 2 shown]
	s_delay_alu instid0(VALU_DEP_4)
	v_mov_b32_e32 v11, v14
	global_store_b128 v[12:13], v[8:11], off
.LBB69_44:
	s_wait_alu 0xfffe
	s_and_not1_b32 vcc_lo, exec_lo, s2
	s_wait_alu 0xfffe
	s_cbranch_vccnz .LBB69_14
; %bb.45:
	v_ashrrev_i32_e32 v5, 31, v4
	s_delay_alu instid0(VALU_DEP_1) | instskip(SKIP_1) | instid1(VALU_DEP_1)
	v_lshlrev_b64_e32 v[4:5], 2, v[4:5]
	s_wait_kmcnt 0x0
	v_add_co_u32 v4, vcc_lo, s0, v4
	s_wait_alu 0xfffd
	s_delay_alu instid0(VALU_DEP_2)
	v_add_co_ci_u32_e64 v5, null, s1, v5, vcc_lo
	global_store_b128 v[4:5], v[0:3], off
	s_endpgm
	.section	.rodata,"a",@progbits
	.p2align	6, 0x0
	.amdhsa_kernel _ZN9rocsparseL18bsrxmvn_4x4_kernelILj128ELj64EiliaaiEEvT3_20rocsparse_direction_NS_24const_host_device_scalarIT1_EES1_PKS1_PKT2_SA_S7_PKT4_PKT5_S5_PT6_21rocsparse_index_base_b
		.amdhsa_group_segment_fixed_size 0
		.amdhsa_private_segment_fixed_size 0
		.amdhsa_kernarg_size 96
		.amdhsa_user_sgpr_count 2
		.amdhsa_user_sgpr_dispatch_ptr 0
		.amdhsa_user_sgpr_queue_ptr 0
		.amdhsa_user_sgpr_kernarg_segment_ptr 1
		.amdhsa_user_sgpr_dispatch_id 0
		.amdhsa_user_sgpr_private_segment_size 0
		.amdhsa_wavefront_size32 1
		.amdhsa_uses_dynamic_stack 0
		.amdhsa_enable_private_segment 0
		.amdhsa_system_sgpr_workgroup_id_x 1
		.amdhsa_system_sgpr_workgroup_id_y 0
		.amdhsa_system_sgpr_workgroup_id_z 0
		.amdhsa_system_sgpr_workgroup_info 0
		.amdhsa_system_vgpr_workitem_id 0
		.amdhsa_next_free_vgpr 60
		.amdhsa_next_free_sgpr 15
		.amdhsa_reserve_vcc 1
		.amdhsa_float_round_mode_32 0
		.amdhsa_float_round_mode_16_64 0
		.amdhsa_float_denorm_mode_32 3
		.amdhsa_float_denorm_mode_16_64 3
		.amdhsa_fp16_overflow 0
		.amdhsa_workgroup_processor_mode 1
		.amdhsa_memory_ordered 1
		.amdhsa_forward_progress 1
		.amdhsa_inst_pref_size 39
		.amdhsa_round_robin_scheduling 0
		.amdhsa_exception_fp_ieee_invalid_op 0
		.amdhsa_exception_fp_denorm_src 0
		.amdhsa_exception_fp_ieee_div_zero 0
		.amdhsa_exception_fp_ieee_overflow 0
		.amdhsa_exception_fp_ieee_underflow 0
		.amdhsa_exception_fp_ieee_inexact 0
		.amdhsa_exception_int_div_zero 0
	.end_amdhsa_kernel
	.section	.text._ZN9rocsparseL18bsrxmvn_4x4_kernelILj128ELj64EiliaaiEEvT3_20rocsparse_direction_NS_24const_host_device_scalarIT1_EES1_PKS1_PKT2_SA_S7_PKT4_PKT5_S5_PT6_21rocsparse_index_base_b,"axG",@progbits,_ZN9rocsparseL18bsrxmvn_4x4_kernelILj128ELj64EiliaaiEEvT3_20rocsparse_direction_NS_24const_host_device_scalarIT1_EES1_PKS1_PKT2_SA_S7_PKT4_PKT5_S5_PT6_21rocsparse_index_base_b,comdat
.Lfunc_end69:
	.size	_ZN9rocsparseL18bsrxmvn_4x4_kernelILj128ELj64EiliaaiEEvT3_20rocsparse_direction_NS_24const_host_device_scalarIT1_EES1_PKS1_PKT2_SA_S7_PKT4_PKT5_S5_PT6_21rocsparse_index_base_b, .Lfunc_end69-_ZN9rocsparseL18bsrxmvn_4x4_kernelILj128ELj64EiliaaiEEvT3_20rocsparse_direction_NS_24const_host_device_scalarIT1_EES1_PKS1_PKT2_SA_S7_PKT4_PKT5_S5_PT6_21rocsparse_index_base_b
                                        ; -- End function
	.set _ZN9rocsparseL18bsrxmvn_4x4_kernelILj128ELj64EiliaaiEEvT3_20rocsparse_direction_NS_24const_host_device_scalarIT1_EES1_PKS1_PKT2_SA_S7_PKT4_PKT5_S5_PT6_21rocsparse_index_base_b.num_vgpr, 60
	.set _ZN9rocsparseL18bsrxmvn_4x4_kernelILj128ELj64EiliaaiEEvT3_20rocsparse_direction_NS_24const_host_device_scalarIT1_EES1_PKS1_PKT2_SA_S7_PKT4_PKT5_S5_PT6_21rocsparse_index_base_b.num_agpr, 0
	.set _ZN9rocsparseL18bsrxmvn_4x4_kernelILj128ELj64EiliaaiEEvT3_20rocsparse_direction_NS_24const_host_device_scalarIT1_EES1_PKS1_PKT2_SA_S7_PKT4_PKT5_S5_PT6_21rocsparse_index_base_b.numbered_sgpr, 15
	.set _ZN9rocsparseL18bsrxmvn_4x4_kernelILj128ELj64EiliaaiEEvT3_20rocsparse_direction_NS_24const_host_device_scalarIT1_EES1_PKS1_PKT2_SA_S7_PKT4_PKT5_S5_PT6_21rocsparse_index_base_b.num_named_barrier, 0
	.set _ZN9rocsparseL18bsrxmvn_4x4_kernelILj128ELj64EiliaaiEEvT3_20rocsparse_direction_NS_24const_host_device_scalarIT1_EES1_PKS1_PKT2_SA_S7_PKT4_PKT5_S5_PT6_21rocsparse_index_base_b.private_seg_size, 0
	.set _ZN9rocsparseL18bsrxmvn_4x4_kernelILj128ELj64EiliaaiEEvT3_20rocsparse_direction_NS_24const_host_device_scalarIT1_EES1_PKS1_PKT2_SA_S7_PKT4_PKT5_S5_PT6_21rocsparse_index_base_b.uses_vcc, 1
	.set _ZN9rocsparseL18bsrxmvn_4x4_kernelILj128ELj64EiliaaiEEvT3_20rocsparse_direction_NS_24const_host_device_scalarIT1_EES1_PKS1_PKT2_SA_S7_PKT4_PKT5_S5_PT6_21rocsparse_index_base_b.uses_flat_scratch, 0
	.set _ZN9rocsparseL18bsrxmvn_4x4_kernelILj128ELj64EiliaaiEEvT3_20rocsparse_direction_NS_24const_host_device_scalarIT1_EES1_PKS1_PKT2_SA_S7_PKT4_PKT5_S5_PT6_21rocsparse_index_base_b.has_dyn_sized_stack, 0
	.set _ZN9rocsparseL18bsrxmvn_4x4_kernelILj128ELj64EiliaaiEEvT3_20rocsparse_direction_NS_24const_host_device_scalarIT1_EES1_PKS1_PKT2_SA_S7_PKT4_PKT5_S5_PT6_21rocsparse_index_base_b.has_recursion, 0
	.set _ZN9rocsparseL18bsrxmvn_4x4_kernelILj128ELj64EiliaaiEEvT3_20rocsparse_direction_NS_24const_host_device_scalarIT1_EES1_PKS1_PKT2_SA_S7_PKT4_PKT5_S5_PT6_21rocsparse_index_base_b.has_indirect_call, 0
	.section	.AMDGPU.csdata,"",@progbits
; Kernel info:
; codeLenInByte = 4924
; TotalNumSgprs: 17
; NumVgprs: 60
; ScratchSize: 0
; MemoryBound: 0
; FloatMode: 240
; IeeeMode: 1
; LDSByteSize: 0 bytes/workgroup (compile time only)
; SGPRBlocks: 0
; VGPRBlocks: 7
; NumSGPRsForWavesPerEU: 17
; NumVGPRsForWavesPerEU: 60
; Occupancy: 16
; WaveLimiterHint : 1
; COMPUTE_PGM_RSRC2:SCRATCH_EN: 0
; COMPUTE_PGM_RSRC2:USER_SGPR: 2
; COMPUTE_PGM_RSRC2:TRAP_HANDLER: 0
; COMPUTE_PGM_RSRC2:TGID_X_EN: 1
; COMPUTE_PGM_RSRC2:TGID_Y_EN: 0
; COMPUTE_PGM_RSRC2:TGID_Z_EN: 0
; COMPUTE_PGM_RSRC2:TIDIG_COMP_CNT: 0
	.section	.text._ZN9rocsparseL18bsrxmvn_4x4_kernelILj128ELj4EillaaiEEvT3_20rocsparse_direction_NS_24const_host_device_scalarIT1_EES1_PKS1_PKT2_SA_S7_PKT4_PKT5_S5_PT6_21rocsparse_index_base_b,"axG",@progbits,_ZN9rocsparseL18bsrxmvn_4x4_kernelILj128ELj4EillaaiEEvT3_20rocsparse_direction_NS_24const_host_device_scalarIT1_EES1_PKS1_PKT2_SA_S7_PKT4_PKT5_S5_PT6_21rocsparse_index_base_b,comdat
	.globl	_ZN9rocsparseL18bsrxmvn_4x4_kernelILj128ELj4EillaaiEEvT3_20rocsparse_direction_NS_24const_host_device_scalarIT1_EES1_PKS1_PKT2_SA_S7_PKT4_PKT5_S5_PT6_21rocsparse_index_base_b ; -- Begin function _ZN9rocsparseL18bsrxmvn_4x4_kernelILj128ELj4EillaaiEEvT3_20rocsparse_direction_NS_24const_host_device_scalarIT1_EES1_PKS1_PKT2_SA_S7_PKT4_PKT5_S5_PT6_21rocsparse_index_base_b
	.p2align	8
	.type	_ZN9rocsparseL18bsrxmvn_4x4_kernelILj128ELj4EillaaiEEvT3_20rocsparse_direction_NS_24const_host_device_scalarIT1_EES1_PKS1_PKT2_SA_S7_PKT4_PKT5_S5_PT6_21rocsparse_index_base_b,@function
_ZN9rocsparseL18bsrxmvn_4x4_kernelILj128ELj4EillaaiEEvT3_20rocsparse_direction_NS_24const_host_device_scalarIT1_EES1_PKS1_PKT2_SA_S7_PKT4_PKT5_S5_PT6_21rocsparse_index_base_b: ; @_ZN9rocsparseL18bsrxmvn_4x4_kernelILj128ELj4EillaaiEEvT3_20rocsparse_direction_NS_24const_host_device_scalarIT1_EES1_PKS1_PKT2_SA_S7_PKT4_PKT5_S5_PT6_21rocsparse_index_base_b
; %bb.0:
	s_clause 0x1
	s_load_b64 s[2:3], s[0:1], 0x60
	s_load_b128 s[4:7], s[0:1], 0x10
	s_mov_b32 s10, -1
                                        ; implicit-def: $sgpr12
	s_wait_kmcnt 0x0
	s_bitcmp1_b32 s3, 0
	s_cselect_b32 s3, -1, 0
	s_delay_alu instid0(SALU_CYCLE_1) | instskip(NEXT) | instid1(SALU_CYCLE_1)
	s_xor_b32 s3, s3, -1
	s_and_b32 vcc_lo, exec_lo, s3
	s_cbranch_vccnz .LBB70_4
; %bb.1:
	s_load_b64 s[8:9], s[0:1], 0x50
	s_and_not1_b32 vcc_lo, exec_lo, s10
	s_cbranch_vccz .LBB70_5
.LBB70_2:
	s_and_b32 vcc_lo, exec_lo, s3
	s_cbranch_vccz .LBB70_6
.LBB70_3:
	s_wait_kmcnt 0x0
	s_load_b32 s13, s[8:9], 0x0
	s_cbranch_execz .LBB70_7
	s_branch .LBB70_8
.LBB70_4:
	s_load_b32 s12, s[4:5], 0x0
	s_load_b64 s[8:9], s[0:1], 0x50
	s_cbranch_execnz .LBB70_2
.LBB70_5:
	s_wait_kmcnt 0x0
	s_mov_b32 s12, s4
	s_and_b32 vcc_lo, exec_lo, s3
	s_cbranch_vccnz .LBB70_3
.LBB70_6:
                                        ; implicit-def: $sgpr13
.LBB70_7:
	s_wait_kmcnt 0x0
	s_mov_b32 s13, s8
.LBB70_8:
	s_wait_kmcnt 0x0
	s_cmp_lg_u32 s12, 0
	s_mov_b32 s8, 0
	s_cselect_b32 s3, -1, 0
	s_cmp_lg_u32 s13, 1
	s_cselect_b32 s4, -1, 0
	s_delay_alu instid0(SALU_CYCLE_1) | instskip(NEXT) | instid1(SALU_CYCLE_1)
	s_or_b32 s3, s3, s4
	s_and_not1_b32 vcc_lo, exec_lo, s3
	s_cbranch_vccnz .LBB70_14
; %bb.9:
	s_load_b64 s[4:5], s[0:1], 0x20
	v_lshrrev_b32_e32 v1, 2, v0
	v_mov_b32_e32 v2, 0
	s_delay_alu instid0(VALU_DEP_2)
	v_lshl_or_b32 v1, ttmp9, 5, v1
	s_wait_kmcnt 0x0
	s_cmp_lg_u64 s[4:5], 0
	s_cbranch_scc0 .LBB70_15
; %bb.10:
	s_delay_alu instid0(VALU_DEP_1) | instskip(SKIP_2) | instid1(SALU_CYCLE_1)
	v_cmp_gt_i64_e32 vcc_lo, s[6:7], v[1:2]
	s_mov_b32 s6, 0
                                        ; implicit-def: $vgpr8_vgpr9
                                        ; implicit-def: $vgpr10_vgpr11
	s_and_saveexec_b32 s3, vcc_lo
	s_xor_b32 s7, exec_lo, s3
	s_cbranch_execz .LBB70_12
; %bb.11:
	v_lshlrev_b64_e32 v[3:4], 3, v[1:2]
	s_mov_b32 s3, 0
	s_mov_b32 s8, exec_lo
	v_dual_mov_b32 v11, s3 :: v_dual_mov_b32 v10, s2
	s_delay_alu instid0(VALU_DEP_2) | instskip(NEXT) | instid1(VALU_DEP_1)
	v_add_co_u32 v3, vcc_lo, s4, v3
	v_add_co_ci_u32_e64 v4, null, s5, v4, vcc_lo
	global_load_b64 v[3:4], v[3:4], off
	s_wait_loadcnt 0x0
	v_sub_co_u32 v8, vcc_lo, v3, s2
	s_wait_alu 0xfffd
	v_subrev_co_ci_u32_e64 v9, null, 0, v4, vcc_lo
.LBB70_12:
	s_wait_alu 0xfffe
	s_or_b32 exec_lo, exec_lo, s7
	s_delay_alu instid0(SALU_CYCLE_1)
	s_and_b32 vcc_lo, exec_lo, s6
	s_wait_alu 0xfffe
	s_cbranch_vccnz .LBB70_16
.LBB70_13:
	s_and_saveexec_b32 s2, s8
	s_cbranch_execnz .LBB70_19
.LBB70_14:
	s_endpgm
.LBB70_15:
                                        ; implicit-def: $vgpr8_vgpr9
                                        ; implicit-def: $vgpr10_vgpr11
	s_cbranch_execz .LBB70_13
.LBB70_16:
	s_load_b64 s[4:5], s[0:1], 0x0
	s_wait_kmcnt 0x0
	v_cmp_gt_i64_e32 vcc_lo, s[4:5], v[1:2]
	s_and_saveexec_b32 s4, vcc_lo
; %bb.17:
	s_mov_b32 s3, 0
	s_or_b32 s8, s8, exec_lo
; %bb.18:
	s_wait_alu 0xfffe
	s_or_b32 exec_lo, exec_lo, s4
	v_dual_mov_b32 v11, s3 :: v_dual_mov_b32 v10, s2
	v_dual_mov_b32 v9, v2 :: v_dual_mov_b32 v8, v1
	s_and_saveexec_b32 s2, s8
	s_cbranch_execz .LBB70_14
.LBB70_19:
	s_load_b256 s[4:11], s[0:1], 0x28
	s_delay_alu instid0(VALU_DEP_1) | instskip(SKIP_3) | instid1(VALU_DEP_2)
	v_lshlrev_b64_e32 v[1:2], 3, v[8:9]
	v_and_b32_e32 v26, 3, v0
	s_load_b32 s3, s[0:1], 0x8
	s_wait_kmcnt 0x0
	v_add_co_u32 v3, vcc_lo, s4, v1
	s_wait_alu 0xfffd
	v_add_co_ci_u32_e64 v4, null, s5, v2, vcc_lo
	v_add_co_u32 v1, vcc_lo, s6, v1
	s_wait_alu 0xfffd
	v_add_co_ci_u32_e64 v2, null, s7, v2, vcc_lo
	v_add_co_u32 v5, vcc_lo, v3, 8
	global_load_b64 v[16:17], v[3:4], off
	s_wait_alu 0xfffd
	v_add_co_ci_u32_e64 v6, null, 0, v4, vcc_lo
	s_cmp_eq_u64 s[6:7], 0
	s_load_b64 s[4:5], s[0:1], 0x48
	s_cselect_b32 vcc_lo, -1, 0
	v_mov_b32_e32 v4, 0
	s_wait_alu 0xfffe
	v_dual_cndmask_b32 v2, v2, v6 :: v_dual_cndmask_b32 v1, v1, v5
	s_cmp_eq_u32 s3, 1
	global_load_b64 v[1:2], v[1:2], off
	s_wait_loadcnt 0x1
	v_sub_co_u32 v0, vcc_lo, v16, v10
	s_wait_alu 0xfffd
	v_sub_co_ci_u32_e64 v3, null, v17, v11, vcc_lo
	s_delay_alu instid0(VALU_DEP_2) | instskip(SKIP_1) | instid1(VALU_DEP_2)
	v_add_co_u32 v14, vcc_lo, v0, v26
	s_wait_alu 0xfffd
	v_add_co_ci_u32_e64 v15, null, 0, v3, vcc_lo
	s_wait_loadcnt 0x0
	v_sub_co_u32 v18, vcc_lo, v1, v10
	s_delay_alu instid0(VALU_DEP_2) | instskip(SKIP_2) | instid1(VALU_DEP_2)
	v_lshlrev_b64_e32 v[0:1], 4, v[14:15]
	s_wait_alu 0xfffd
	v_sub_co_ci_u32_e64 v19, null, v2, v11, vcc_lo
	v_add_co_u32 v12, vcc_lo, s10, v0
	s_delay_alu instid0(VALU_DEP_2)
	v_cmp_lt_i64_e64 s2, v[14:15], v[18:19]
	s_wait_alu 0xfffd
	v_add_co_ci_u32_e64 v13, null, s11, v1, vcc_lo
	s_cbranch_scc1 .LBB70_31
; %bb.20:
	v_dual_mov_b32 v2, 0 :: v_dual_mov_b32 v1, 0
	v_mov_b32_e32 v0, 0
	s_and_saveexec_b32 s6, s2
	s_cbranch_execz .LBB70_30
; %bb.21:
	v_or_b32_e32 v0, 4, v26
	v_not_b32_e32 v3, v16
	v_sub_co_u32 v4, s3, v10, v26
	v_not_b32_e32 v2, v17
	s_delay_alu instid0(VALU_DEP_4)
	v_sub_co_u32 v0, vcc_lo, v0, v10
	s_wait_alu 0xfffd
	v_sub_co_ci_u32_e64 v1, null, 0, v11, vcc_lo
	s_wait_alu 0xf1ff
	v_subrev_co_ci_u32_e64 v5, null, 0, v11, s3
	v_add_co_u32 v0, vcc_lo, v0, v16
	s_wait_alu 0xfffd
	v_add_co_ci_u32_e64 v1, null, v1, v17, vcc_lo
	s_mov_b32 s7, 0
	v_dual_mov_b32 v21, v15 :: v_dual_mov_b32 v20, v14
	v_cmp_gt_i64_e32 vcc_lo, v[0:1], v[18:19]
	s_wait_alu 0xfffd
	v_dual_cndmask_b32 v1, v19, v1 :: v_dual_cndmask_b32 v0, v18, v0
	v_add_co_u32 v3, vcc_lo, v4, v3
	s_wait_alu 0xfffd
	v_add_co_ci_u32_e64 v2, null, v5, v2, vcc_lo
	v_mov_b32_e32 v4, 0
	s_delay_alu instid0(VALU_DEP_3) | instskip(SKIP_1) | instid1(VALU_DEP_3)
	v_add_co_u32 v22, vcc_lo, v3, v0
	s_wait_alu 0xfffd
	v_add_co_ci_u32_e64 v23, null, v2, v1, vcc_lo
	s_delay_alu instid0(VALU_DEP_3) | instskip(SKIP_1) | instid1(VALU_DEP_3)
	v_dual_mov_b32 v5, v4 :: v_dual_mov_b32 v6, v4
	v_mov_b32_e32 v7, v4
	v_lshrrev_b64 v[24:25], 2, v[22:23]
	s_delay_alu instid0(VALU_DEP_3) | instskip(NEXT) | instid1(VALU_DEP_3)
	v_dual_mov_b32 v0, v4 :: v_dual_mov_b32 v1, v5
	v_dual_mov_b32 v2, v6 :: v_dual_mov_b32 v3, v7
	v_cmp_lt_u64_e32 vcc_lo, 11, v[22:23]
	s_delay_alu instid0(VALU_DEP_4)
	v_add_co_u32 v7, s3, v24, 1
	s_wait_alu 0xf1ff
	v_add_co_ci_u32_e64 v23, null, 0, v25, s3
	v_dual_mov_b32 v5, v12 :: v_dual_mov_b32 v6, v13
	s_and_saveexec_b32 s3, vcc_lo
	s_cbranch_execz .LBB70_25
; %bb.22:
	v_lshlrev_b64_e32 v[0:1], 3, v[14:15]
	v_dual_mov_b32 v2, 0 :: v_dual_mov_b32 v5, v12
	v_and_b32_e32 v22, -4, v7
	v_dual_mov_b32 v6, v13 :: v_dual_mov_b32 v21, v15
	s_delay_alu instid0(VALU_DEP_4) | instskip(SKIP_3) | instid1(VALU_DEP_3)
	v_add_co_u32 v0, vcc_lo, s8, v0
	s_wait_alu 0xfffd
	v_add_co_ci_u32_e64 v3, null, s9, v1, vcc_lo
	v_mov_b32_e32 v1, 0
	v_add_co_u32 v24, vcc_lo, v0, 64
	v_mov_b32_e32 v0, 0
	s_wait_alu 0xfffd
	v_add_co_ci_u32_e64 v25, null, 0, v3, vcc_lo
	v_mov_b32_e32 v20, v14
.LBB70_23:                              ; =>This Inner Loop Header: Depth=1
	s_clause 0x3
	global_load_b64 v[39:40], v[24:25], off offset:-64
	global_load_b64 v[41:42], v[24:25], off offset:-32
	global_load_b64 v[43:44], v[24:25], off
	global_load_b64 v[45:46], v[24:25], off offset:32
	s_clause 0x2
	global_load_b128 v[27:30], v[5:6], off
	global_load_b128 v[31:34], v[5:6], off offset:64
	global_load_b128 v[35:38], v[5:6], off offset:128
	s_wait_loadcnt 0x6
	v_sub_co_u32 v39, vcc_lo, v39, v10
	s_wait_alu 0xfffd
	v_sub_co_ci_u32_e64 v40, null, v40, v11, vcc_lo
	s_wait_loadcnt 0x5
	v_sub_co_u32 v41, vcc_lo, v41, v10
	s_wait_alu 0xfffd
	v_sub_co_ci_u32_e64 v42, null, v42, v11, vcc_lo
	;; [unrolled: 4-line block ×3, first 2 shown]
	v_lshlrev_b64_e32 v[39:40], 2, v[39:40]
	v_lshlrev_b64_e32 v[41:42], 2, v[41:42]
	s_wait_loadcnt 0x1
	v_lshrrev_b16 v49, 8, v34
	v_lshlrev_b64_e32 v[43:44], 2, v[43:44]
	v_ashrrev_i32_e32 v50, 24, v34
	v_bfe_i32 v51, v34, 16, 8
	s_wait_kmcnt 0x0
	v_add_co_u32 v39, vcc_lo, s4, v39
	s_wait_alu 0xfffd
	v_add_co_ci_u32_e64 v40, null, s5, v40, vcc_lo
	v_add_co_u32 v41, vcc_lo, s4, v41
	s_wait_alu 0xfffd
	v_add_co_ci_u32_e64 v42, null, s5, v42, vcc_lo
	;; [unrolled: 3-line block ×3, first 2 shown]
	s_clause 0x2
	global_load_b32 v3, v[39:40], off
	global_load_b32 v47, v[41:42], off
	;; [unrolled: 1-line block ×3, first 2 shown]
	v_sub_co_u32 v39, vcc_lo, v45, v10
	s_wait_alu 0xfffd
	v_sub_co_ci_u32_e64 v40, null, v46, v11, vcc_lo
	v_ashrrev_i32_e32 v45, 24, v30
	v_bfe_i32 v34, v34, 0, 8
	v_bfe_i32 v49, v49, 0, 8
	s_delay_alu instid0(VALU_DEP_4)
	v_lshlrev_b64_e32 v[39:40], 2, v[39:40]
	v_bfe_i32 v46, v30, 0, 8
	s_wait_loadcnt 0x3
	v_bfe_i32 v54, v38, 16, 8
	v_bfe_i32 v52, v38, 0, 8
	;; [unrolled: 1-line block ×3, first 2 shown]
	v_ashrrev_i32_e32 v38, 24, v38
	v_add_co_u32 v43, vcc_lo, s4, v39
	s_wait_alu 0xfffd
	v_add_co_ci_u32_e64 v44, null, s5, v40, vcc_lo
	global_load_b128 v[39:42], v[5:6], off offset:192
	global_load_b32 v43, v[43:44], off
	v_lshrrev_b16 v44, 8, v30
	v_bfe_i32 v30, v30, 16, 8
	v_add_co_u32 v5, vcc_lo, 0x100, v5
	s_wait_alu 0xfffd
	v_add_co_ci_u32_e64 v6, null, 0, v6, vcc_lo
	v_bfe_i32 v44, v44, 0, 8
	v_add_co_u32 v20, vcc_lo, v20, 16
	s_wait_alu 0xfffd
	v_add_co_ci_u32_e64 v21, null, 0, v21, vcc_lo
	v_add_co_u32 v22, vcc_lo, v22, -4
	s_wait_alu 0xfffd
	v_add_co_ci_u32_e64 v23, null, -1, v23, vcc_lo
	v_add_co_u32 v24, vcc_lo, 0x80, v24
	s_wait_alu 0xfffd
	v_add_co_ci_u32_e64 v25, null, 0, v25, vcc_lo
	s_delay_alu instid0(VALU_DEP_3)
	v_cmp_eq_u64_e32 vcc_lo, 0, v[22:23]
	s_wait_alu 0xfffe
	s_or_b32 s7, vcc_lo, s7
	s_wait_loadcnt 0x4
	v_lshrrev_b16 v55, 8, v3
	v_ashrrev_i32_e32 v56, 24, v3
	v_bfe_i32 v57, v3, 0, 8
	v_bfe_i32 v58, v3, 16, 8
	v_dot4_i32_iu8 v0, v3, v27, v0 neg_lo:[1,1,0]
	v_dot4_i32_iu8 v1, v3, v28, v1 neg_lo:[1,1,0]
	;; [unrolled: 1-line block ×3, first 2 shown]
	s_wait_loadcnt 0x3
	v_lshrrev_b16 v3, 8, v47
	v_ashrrev_i32_e32 v27, 24, v47
	v_bfe_i32 v28, v47, 16, 8
	v_bfe_i32 v29, v47, 0, 8
	;; [unrolled: 1-line block ×4, first 2 shown]
	v_mul_i32_i24_e32 v27, v50, v27
	s_wait_loadcnt 0x2
	v_bfe_i32 v59, v48, 16, 8
	v_mul_i32_i24_e32 v29, v34, v29
	v_mul_i32_i24_e32 v28, v51, v28
	;; [unrolled: 1-line block ×4, first 2 shown]
	v_mad_i32_i24 v27, v45, v56, v27
	v_bfe_i32 v61, v48, 8, 8
	v_bfe_i32 v62, v48, 0, 8
	v_mul_i32_i24_e32 v44, v54, v59
	v_mad_i32_i24 v28, v30, v58, v28
	v_mad_i32_i24 v29, v46, v57, v29
	v_add3_u32 v3, v34, v3, v27
	v_ashrrev_i32_e32 v60, 24, v48
	v_mul_i32_i24_e32 v27, v62, v52
	v_mad_i32_i24 v30, v61, v53, v44
	v_dot4_i32_iu8 v0, v47, v31, v0 neg_lo:[1,1,0]
	v_add3_u32 v3, v29, v28, v3
	v_dot4_i32_iu8 v1, v47, v32, v1 neg_lo:[1,1,0]
	v_dot4_i32_iu8 v2, v47, v33, v2 neg_lo:[1,1,0]
	v_mul_i32_i24_e32 v28, v38, v60
	v_dot4_i32_iu8 v0, v48, v35, v0 neg_lo:[1,1,0]
	v_add3_u32 v3, v3, v27, v30
	v_dot4_i32_iu8 v1, v36, v48, v1 neg_lo:[1,1,0]
	v_dot4_i32_iu8 v2, v37, v48, v2 neg_lo:[1,1,0]
	s_wait_loadcnt 0x0
	v_dot4_i32_iu8 v0, v43, v39, v0 neg_lo:[1,1,0]
	v_add3_u32 v3, v3, v4, v28
	v_dot4_i32_iu8 v1, v43, v40, v1 neg_lo:[1,1,0]
	v_dot4_i32_iu8 v2, v43, v41, v2 neg_lo:[1,1,0]
	s_delay_alu instid0(VALU_DEP_3)
	v_dot4_i32_iu8 v4, v43, v42, v3 neg_lo:[1,1,0]
	s_wait_alu 0xfffe
	s_and_not1_b32 exec_lo, exec_lo, s7
	s_cbranch_execnz .LBB70_23
; %bb.24:
	s_or_b32 exec_lo, exec_lo, s7
	v_mov_b32_e32 v3, v4
.LBB70_25:
	s_wait_alu 0xfffe
	s_or_b32 exec_lo, exec_lo, s3
	v_dual_mov_b32 v23, 0 :: v_dual_and_b32 v22, 3, v7
	s_mov_b32 s3, exec_lo
	s_delay_alu instid0(VALU_DEP_1)
	v_cmpx_ne_u64_e32 0, v[22:23]
	s_cbranch_execz .LBB70_29
; %bb.26:
	v_lshlrev_b64_e32 v[20:21], 3, v[20:21]
	v_lshlrev_b32_e32 v22, 1, v22
	s_mov_b32 s7, 0
	s_delay_alu instid0(VALU_DEP_2) | instskip(SKIP_1) | instid1(VALU_DEP_3)
	v_add_co_u32 v20, vcc_lo, s8, v20
	s_wait_alu 0xfffd
	v_add_co_ci_u32_e64 v21, null, s9, v21, vcc_lo
.LBB70_27:                              ; =>This Inner Loop Header: Depth=1
	global_load_b64 v[24:25], v[20:21], off
	s_wait_loadcnt 0x0
	v_sub_co_u32 v24, vcc_lo, v24, v10
	s_wait_alu 0xfffd
	v_sub_co_ci_u32_e64 v25, null, v25, v11, vcc_lo
	s_delay_alu instid0(VALU_DEP_1) | instskip(SKIP_1) | instid1(VALU_DEP_1)
	v_lshlrev_b64_e32 v[24:25], 2, v[24:25]
	s_wait_kmcnt 0x0
	v_add_co_u32 v24, vcc_lo, s4, v24
	s_wait_alu 0xfffd
	s_delay_alu instid0(VALU_DEP_2)
	v_add_co_ci_u32_e64 v25, null, s5, v25, vcc_lo
	global_load_b128 v[27:30], v[5:6], off
	global_load_b32 v4, v[24:25], off
	v_add_co_u32 v5, vcc_lo, v5, 64
	s_wait_alu 0xfffd
	v_add_co_ci_u32_e64 v6, null, 0, v6, vcc_lo
	v_add_co_u32 v22, vcc_lo, v22, -2
	s_wait_alu 0xfffd
	v_add_co_ci_u32_e64 v23, null, -1, v23, vcc_lo
	v_add_co_u32 v20, vcc_lo, v20, 32
	s_wait_alu 0xfffd
	v_add_co_ci_u32_e64 v21, null, 0, v21, vcc_lo
	s_delay_alu instid0(VALU_DEP_3)
	v_cmp_eq_u64_e32 vcc_lo, 0, v[22:23]
	s_wait_alu 0xfffe
	s_or_b32 s7, vcc_lo, s7
	s_wait_loadcnt 0x0
	v_dot4_i32_iu8 v3, v4, v30, v3 neg_lo:[1,1,0]
	v_dot4_i32_iu8 v2, v4, v29, v2 neg_lo:[1,1,0]
	;; [unrolled: 1-line block ×4, first 2 shown]
	s_wait_alu 0xfffe
	s_and_not1_b32 exec_lo, exec_lo, s7
	s_cbranch_execnz .LBB70_27
; %bb.28:
	s_or_b32 exec_lo, exec_lo, s7
	v_mov_b32_e32 v4, v3
.LBB70_29:
	s_wait_alu 0xfffe
	s_or_b32 exec_lo, exec_lo, s3
.LBB70_30:
	s_wait_alu 0xfffe
	s_or_b32 exec_lo, exec_lo, s6
	s_cbranch_execz .LBB70_32
	s_branch .LBB70_43
.LBB70_31:
                                        ; implicit-def: $vgpr4
                                        ; implicit-def: $vgpr2
.LBB70_32:
	v_dual_mov_b32 v4, 0 :: v_dual_mov_b32 v1, 0
	v_mov_b32_e32 v2, 0
	v_mov_b32_e32 v0, 0
	s_and_saveexec_b32 s3, s2
	s_cbranch_execz .LBB70_42
; %bb.33:
	v_or_b32_e32 v0, 4, v26
	v_not_b32_e32 v3, v16
	v_sub_co_u32 v4, s2, v10, v26
	v_not_b32_e32 v2, v17
	s_delay_alu instid0(VALU_DEP_4)
	v_sub_co_u32 v0, vcc_lo, v0, v10
	s_wait_alu 0xfffd
	v_sub_co_ci_u32_e64 v1, null, 0, v11, vcc_lo
	s_wait_alu 0xf1ff
	v_subrev_co_ci_u32_e64 v5, null, 0, v11, s2
	v_add_co_u32 v0, vcc_lo, v0, v16
	s_wait_alu 0xfffd
	v_add_co_ci_u32_e64 v1, null, v1, v17, vcc_lo
	s_mov_b32 s6, 0
	v_cmp_gt_i64_e32 vcc_lo, v[0:1], v[18:19]
	s_wait_alu 0xfffd
	v_dual_cndmask_b32 v1, v19, v1 :: v_dual_cndmask_b32 v0, v18, v0
	v_add_co_u32 v3, vcc_lo, v4, v3
	s_wait_alu 0xfffd
	v_add_co_ci_u32_e64 v2, null, v5, v2, vcc_lo
	v_mov_b32_e32 v4, 0
	s_delay_alu instid0(VALU_DEP_3) | instskip(SKIP_1) | instid1(VALU_DEP_3)
	v_add_co_u32 v0, vcc_lo, v3, v0
	s_wait_alu 0xfffd
	v_add_co_ci_u32_e64 v1, null, v2, v1, vcc_lo
	s_delay_alu instid0(VALU_DEP_3) | instskip(SKIP_1) | instid1(VALU_DEP_3)
	v_dual_mov_b32 v5, v4 :: v_dual_mov_b32 v6, v4
	v_mov_b32_e32 v7, v4
	v_lshrrev_b64 v[2:3], 2, v[0:1]
	v_cmp_lt_u64_e32 vcc_lo, 11, v[0:1]
	s_delay_alu instid0(VALU_DEP_2) | instskip(SKIP_1) | instid1(VALU_DEP_3)
	v_add_co_u32 v18, s2, v2, 1
	s_wait_alu 0xf1ff
	v_add_co_ci_u32_e64 v17, null, 0, v3, s2
	v_dual_mov_b32 v0, v4 :: v_dual_mov_b32 v1, v5
	v_dual_mov_b32 v2, v6 :: v_dual_mov_b32 v3, v7
	s_and_saveexec_b32 s2, vcc_lo
	s_cbranch_execz .LBB70_37
; %bb.34:
	v_lshlrev_b64_e32 v[0:1], 3, v[14:15]
	v_and_b32_e32 v16, -4, v18
	v_mov_b32_e32 v2, 0
	s_delay_alu instid0(VALU_DEP_3) | instskip(SKIP_1) | instid1(VALU_DEP_4)
	v_add_co_u32 v0, vcc_lo, s8, v0
	s_wait_alu 0xfffd
	v_add_co_ci_u32_e64 v3, null, s9, v1, vcc_lo
	v_mov_b32_e32 v1, 0
	s_delay_alu instid0(VALU_DEP_3) | instskip(SKIP_1) | instid1(VALU_DEP_3)
	v_add_co_u32 v5, vcc_lo, v0, 64
	s_wait_alu 0xfffd
	v_add_co_ci_u32_e64 v6, null, 0, v3, vcc_lo
	v_mov_b32_e32 v0, 0
.LBB70_35:                              ; =>This Inner Loop Header: Depth=1
	s_clause 0x3
	global_load_b64 v[23:24], v[5:6], off offset:-64
	global_load_b64 v[39:40], v[5:6], off offset:-32
	global_load_b64 v[41:42], v[5:6], off
	global_load_b64 v[43:44], v[5:6], off offset:32
	s_clause 0x3
	global_load_b128 v[19:22], v[12:13], off
	global_load_b128 v[27:30], v[12:13], off offset:64
	global_load_b128 v[31:34], v[12:13], off offset:128
	;; [unrolled: 1-line block ×3, first 2 shown]
	s_wait_loadcnt 0x7
	v_sub_co_u32 v23, vcc_lo, v23, v10
	s_wait_alu 0xfffd
	v_sub_co_ci_u32_e64 v24, null, v24, v11, vcc_lo
	s_wait_loadcnt 0x6
	v_sub_co_u32 v39, vcc_lo, v39, v10
	s_wait_alu 0xfffd
	v_sub_co_ci_u32_e64 v40, null, v40, v11, vcc_lo
	;; [unrolled: 4-line block ×3, first 2 shown]
	v_lshlrev_b64_e32 v[23:24], 2, v[23:24]
	v_lshlrev_b64_e32 v[39:40], 2, v[39:40]
	s_wait_loadcnt 0x2
	v_perm_b32 v45, v27, v22, 0xc0c0501
	v_lshlrev_b64_e32 v[41:42], 2, v[41:42]
	v_perm_b32 v46, v29, v28, 0x5010c0c
	v_perm_b32 v47, v27, v22, 0xc0c0602
	s_wait_kmcnt 0x0
	v_add_co_u32 v23, vcc_lo, s4, v23
	s_wait_alu 0xfffd
	v_add_co_ci_u32_e64 v24, null, s5, v24, vcc_lo
	v_add_co_u32 v39, vcc_lo, s4, v39
	s_wait_alu 0xfffd
	v_add_co_ci_u32_e64 v40, null, s5, v40, vcc_lo
	;; [unrolled: 3-line block ×3, first 2 shown]
	s_clause 0x2
	global_load_b32 v3, v[23:24], off
	global_load_b32 v7, v[39:40], off
	;; [unrolled: 1-line block ×3, first 2 shown]
	v_sub_co_u32 v23, vcc_lo, v43, v10
	s_wait_alu 0xfffd
	v_sub_co_ci_u32_e64 v24, null, v44, v11, vcc_lo
	v_perm_b32 v40, v21, v20, 0xc05010c
	v_perm_b32 v42, v21, v20, 0xc06020c
	;; [unrolled: 1-line block ×3, first 2 shown]
	s_delay_alu instid0(VALU_DEP_4)
	v_lshlrev_b64_e32 v[23:24], 2, v[23:24]
	v_perm_b32 v48, v29, v28, 0x6020c0c
	s_wait_loadcnt 0x4
	v_perm_b32 v50, v31, v30, 0xc0c0501
	v_perm_b32 v52, v31, v30, 0xc0c0602
	;; [unrolled: 1-line block ×4, first 2 shown]
	v_add_co_u32 v23, vcc_lo, s4, v23
	s_wait_alu 0xfffd
	v_add_co_ci_u32_e64 v24, null, s5, v24, vcc_lo
	v_perm_b32 v43, v19, v19, 0xc0c0c02
	v_perm_b32 v19, v19, v19, 0xc0c0c03
	;; [unrolled: 1-line block ×3, first 2 shown]
	global_load_b32 v23, v[23:24], off
	v_perm_b32 v24, v21, v20, 0xc04000c
	v_perm_b32 v20, v21, v20, 0xc07030c
	;; [unrolled: 1-line block ×5, first 2 shown]
	v_lshrrev_b32_e32 v28, 16, v34
	v_perm_b32 v29, v31, v30, 0xc0c0400
	v_perm_b32 v30, v31, v30, 0xc0c0703
	;; [unrolled: 1-line block ×5, first 2 shown]
	v_ashrrev_i16 v32, 8, v34
	v_bfe_i32 v33, v34, 0, 8
	v_or_b32_e32 v30, v31, v30
	v_ashrrev_i16 v31, 8, v28
	v_bfe_i32 v28, v28, 0, 8
	s_wait_loadcnt 0x4
	v_perm_b32 v34, v36, v35, 0xc0c0703
	v_perm_b32 v54, v38, v37, 0x7030c0c
	;; [unrolled: 1-line block ×8, first 2 shown]
	v_or_b32_e32 v24, v24, v39
	v_or_b32_e32 v37, v40, v41
	;; [unrolled: 1-line block ×4, first 2 shown]
	v_perm_b32 v28, v31, v28, 0x5040100
	v_or_b32_e32 v20, v44, v21
	v_or_b32_e32 v21, v46, v45
	v_or_b32_e32 v39, v48, v47
	v_or_b32_e32 v22, v27, v22
	v_perm_b32 v32, v32, v33, 0x5040100
	v_or_b32_e32 v27, v49, v29
	v_or_b32_e32 v29, v51, v50
	;; [unrolled: 1-line block ×3, first 2 shown]
	v_add_co_u32 v12, vcc_lo, 0x100, v12
	s_wait_alu 0xfffd
	v_add_co_ci_u32_e64 v13, null, 0, v13, vcc_lo
	v_add_co_u32 v14, vcc_lo, v14, 16
	s_wait_alu 0xfffd
	v_add_co_ci_u32_e64 v15, null, 0, v15, vcc_lo
	v_add_co_u32 v16, vcc_lo, v16, -4
	s_wait_alu 0xfffd
	v_add_co_ci_u32_e64 v17, null, -1, v17, vcc_lo
	v_add_co_u32 v5, vcc_lo, 0x80, v5
	v_or_b32_e32 v33, v54, v34
	v_or_b32_e32 v34, v56, v55
	;; [unrolled: 1-line block ×3, first 2 shown]
	s_wait_alu 0xfffd
	v_add_co_ci_u32_e64 v6, null, 0, v6, vcc_lo
	v_cmp_eq_u64_e32 vcc_lo, 0, v[16:17]
	s_wait_alu 0xfffe
	s_or_b32 s6, vcc_lo, s6
	s_wait_loadcnt 0x3
	v_perm_b32 v31, v3, v3, 0xc020100
	s_wait_loadcnt 0x2
	v_perm_b32 v3, v7, v3, 0x6050403
	s_wait_loadcnt 0x1
	v_lshrrev_b32_e32 v42, 24, v25
	v_perm_b32 v7, v25, v7, 0x6050403
	v_dot4_i32_iu8 v0, v31, v24, v0 neg_lo:[1,1,0]
	v_dot4_i32_iu8 v1, v37, v31, v1 neg_lo:[1,1,0]
	;; [unrolled: 1-line block ×4, first 2 shown]
	v_bfe_i32 v19, v42, 0, 8
	v_dot4_i32_iu8 v0, v3, v20, v0 neg_lo:[1,1,0]
	v_dot4_i32_iu8 v1, v21, v3, v1 neg_lo:[1,1,0]
	;; [unrolled: 1-line block ×4, first 2 shown]
	v_pk_mul_lo_u16 v4, v19, v32 op_sel_hi:[0,1]
	v_pk_mul_lo_u16 v19, v19, v28 op_sel_hi:[0,1]
	v_dot4_i32_iu8 v0, v7, v27, v0 neg_lo:[1,1,0]
	v_dot4_i32_iu8 v1, v29, v7, v1 neg_lo:[1,1,0]
	;; [unrolled: 1-line block ×4, first 2 shown]
	v_ashrrev_i32_e32 v7, 16, v19
	v_bfe_i32 v19, v19, 0, 16
	v_ashrrev_i32_e32 v20, 16, v4
	v_bfe_i32 v4, v4, 0, 16
	v_or_b32_e32 v21, v36, v35
	v_add_nc_u32_e32 v3, v3, v7
	v_add_nc_u32_e32 v2, v2, v19
	;; [unrolled: 1-line block ×4, first 2 shown]
	s_wait_loadcnt 0x0
	v_dot4_i32_iu8 v4, v23, v33, v3 neg_lo:[1,1,0]
	v_dot4_i32_iu8 v2, v23, v34, v2 neg_lo:[1,1,0]
	;; [unrolled: 1-line block ×4, first 2 shown]
	s_wait_alu 0xfffe
	s_and_not1_b32 exec_lo, exec_lo, s6
	s_cbranch_execnz .LBB70_35
; %bb.36:
	s_or_b32 exec_lo, exec_lo, s6
	v_mov_b32_e32 v3, v4
.LBB70_37:
	s_wait_alu 0xfffe
	s_or_b32 exec_lo, exec_lo, s2
	v_dual_mov_b32 v6, 0 :: v_dual_and_b32 v5, 3, v18
	s_mov_b32 s2, exec_lo
	s_delay_alu instid0(VALU_DEP_1)
	v_cmpx_ne_u64_e32 0, v[5:6]
	s_cbranch_execz .LBB70_41
; %bb.38:
	v_lshlrev_b64_e32 v[14:15], 3, v[14:15]
	v_lshlrev_b32_e32 v5, 1, v5
	s_mov_b32 s6, 0
	s_delay_alu instid0(VALU_DEP_2) | instskip(SKIP_1) | instid1(VALU_DEP_3)
	v_add_co_u32 v14, vcc_lo, s8, v14
	s_wait_alu 0xfffd
	v_add_co_ci_u32_e64 v15, null, s9, v15, vcc_lo
.LBB70_39:                              ; =>This Inner Loop Header: Depth=1
	global_load_b64 v[20:21], v[14:15], off
	global_load_b128 v[16:19], v[12:13], off
	s_wait_loadcnt 0x1
	v_sub_co_u32 v20, vcc_lo, v20, v10
	s_wait_alu 0xfffd
	v_sub_co_ci_u32_e64 v21, null, v21, v11, vcc_lo
	s_wait_loadcnt 0x0
	v_perm_b32 v7, v17, v16, 0xc0c0703
	v_perm_b32 v22, v19, v18, 0x6020c0c
	;; [unrolled: 1-line block ×3, first 2 shown]
	v_lshlrev_b64_e32 v[20:21], 2, v[20:21]
	v_perm_b32 v24, v19, v18, 0x5010c0c
	s_wait_kmcnt 0x0
	s_delay_alu instid0(VALU_DEP_2) | instskip(SKIP_1) | instid1(VALU_DEP_3)
	v_add_co_u32 v20, vcc_lo, s4, v20
	s_wait_alu 0xfffd
	v_add_co_ci_u32_e64 v21, null, s5, v21, vcc_lo
	v_add_co_u32 v12, vcc_lo, v12, 64
	s_wait_alu 0xfffd
	v_add_co_ci_u32_e64 v13, null, 0, v13, vcc_lo
	global_load_b32 v4, v[20:21], off
	v_add_co_u32 v14, vcc_lo, v14, 32
	s_wait_alu 0xfffd
	v_add_co_ci_u32_e64 v15, null, 0, v15, vcc_lo
	v_add_co_u32 v5, vcc_lo, v5, -2
	v_perm_b32 v20, v19, v18, 0x7030c0c
	v_perm_b32 v21, v17, v16, 0xc0c0602
	v_perm_b32 v16, v17, v16, 0xc0c0400
	v_perm_b32 v17, v19, v18, 0x4000c0c
	s_wait_alu 0xfffd
	v_add_co_ci_u32_e64 v6, null, -1, v6, vcc_lo
	v_or_b32_e32 v7, v20, v7
	v_or_b32_e32 v18, v22, v21
	;; [unrolled: 1-line block ×4, first 2 shown]
	v_cmp_eq_u64_e32 vcc_lo, 0, v[5:6]
	s_wait_alu 0xfffe
	s_or_b32 s6, vcc_lo, s6
	s_wait_loadcnt 0x0
	v_dot4_i32_iu8 v3, v4, v7, v3 neg_lo:[1,1,0]
	v_dot4_i32_iu8 v2, v4, v18, v2 neg_lo:[1,1,0]
	;; [unrolled: 1-line block ×4, first 2 shown]
	s_wait_alu 0xfffe
	s_and_not1_b32 exec_lo, exec_lo, s6
	s_cbranch_execnz .LBB70_39
; %bb.40:
	s_or_b32 exec_lo, exec_lo, s6
	v_mov_b32_e32 v4, v3
.LBB70_41:
	s_wait_alu 0xfffe
	s_or_b32 exec_lo, exec_lo, s2
.LBB70_42:
	s_wait_alu 0xfffe
	s_or_b32 exec_lo, exec_lo, s3
.LBB70_43:
	v_mbcnt_lo_u32_b32 v3, -1, 0
	s_mov_b32 s2, -1
	s_delay_alu instid0(VALU_DEP_1) | instskip(SKIP_1) | instid1(VALU_DEP_2)
	v_xor_b32_e32 v5, 2, v3
	v_xor_b32_e32 v11, 1, v3
	v_cmp_gt_i32_e32 vcc_lo, 32, v5
	s_wait_alu 0xfffd
	v_cndmask_b32_e32 v5, v3, v5, vcc_lo
	s_delay_alu instid0(VALU_DEP_3) | instskip(NEXT) | instid1(VALU_DEP_2)
	v_cmp_gt_i32_e32 vcc_lo, 32, v11
	v_lshlrev_b32_e32 v5, 2, v5
	ds_bpermute_b32 v6, v5, v0
	ds_bpermute_b32 v7, v5, v1
	;; [unrolled: 1-line block ×4, first 2 shown]
	s_wait_alu 0xfffd
	v_cndmask_b32_e32 v3, v3, v11, vcc_lo
	v_cmp_eq_u32_e32 vcc_lo, 3, v26
	s_wait_dscnt 0x3
	v_add_nc_u32_e32 v0, v6, v0
	s_wait_dscnt 0x2
	v_add_nc_u32_e32 v1, v7, v1
	;; [unrolled: 2-line block ×3, first 2 shown]
	v_lshlrev_b32_e32 v11, 2, v3
	s_wait_dscnt 0x0
	v_add_nc_u32_e32 v3, v5, v4
	ds_bpermute_b32 v4, v11, v0
	ds_bpermute_b32 v5, v11, v1
	;; [unrolled: 1-line block ×4, first 2 shown]
	s_and_b32 exec_lo, exec_lo, vcc_lo
	s_cbranch_execz .LBB70_14
; %bb.44:
	s_load_b64 s[0:1], s[0:1], 0x58
	s_wait_dscnt 0x3
	v_add_nc_u32_e32 v0, v4, v0
	s_wait_dscnt 0x2
	v_add_nc_u32_e32 v1, v5, v1
	s_wait_dscnt 0x1
	v_add_nc_u32_e32 v2, v6, v2
	s_wait_dscnt 0x0
	v_add_nc_u32_e32 v3, v7, v3
	v_lshlrev_b64_e32 v[4:5], 4, v[8:9]
	v_mul_lo_u32 v0, v0, s12
	v_mul_lo_u32 v1, v1, s12
	;; [unrolled: 1-line block ×4, first 2 shown]
	s_cmp_eq_u32 s13, 0
	s_cbranch_scc1 .LBB70_46
; %bb.45:
	s_wait_kmcnt 0x0
	v_add_co_u32 v13, vcc_lo, s0, v4
	s_wait_alu 0xfffd
	v_add_co_ci_u32_e64 v14, null, s1, v5, vcc_lo
	s_mov_b32 s2, 0
	global_load_b128 v[6:9], v[13:14], off
	s_wait_loadcnt 0x0
	v_mad_co_u64_u32 v[15:16], null, v9, s13, v[3:4]
	v_mad_co_u64_u32 v[9:10], null, v6, s13, v[0:1]
	v_mad_co_u64_u32 v[10:11], null, v7, s13, v[1:2]
	v_mad_co_u64_u32 v[11:12], null, v8, s13, v[2:3]
	s_delay_alu instid0(VALU_DEP_4)
	v_mov_b32_e32 v12, v15
	global_store_b128 v[13:14], v[9:12], off
.LBB70_46:
	s_wait_alu 0xfffe
	s_and_not1_b32 vcc_lo, exec_lo, s2
	s_wait_alu 0xfffe
	s_cbranch_vccnz .LBB70_14
; %bb.47:
	s_wait_kmcnt 0x0
	v_add_co_u32 v4, vcc_lo, s0, v4
	s_wait_alu 0xfffd
	v_add_co_ci_u32_e64 v5, null, s1, v5, vcc_lo
	global_store_b128 v[4:5], v[0:3], off
	s_endpgm
	.section	.rodata,"a",@progbits
	.p2align	6, 0x0
	.amdhsa_kernel _ZN9rocsparseL18bsrxmvn_4x4_kernelILj128ELj4EillaaiEEvT3_20rocsparse_direction_NS_24const_host_device_scalarIT1_EES1_PKS1_PKT2_SA_S7_PKT4_PKT5_S5_PT6_21rocsparse_index_base_b
		.amdhsa_group_segment_fixed_size 0
		.amdhsa_private_segment_fixed_size 0
		.amdhsa_kernarg_size 104
		.amdhsa_user_sgpr_count 2
		.amdhsa_user_sgpr_dispatch_ptr 0
		.amdhsa_user_sgpr_queue_ptr 0
		.amdhsa_user_sgpr_kernarg_segment_ptr 1
		.amdhsa_user_sgpr_dispatch_id 0
		.amdhsa_user_sgpr_private_segment_size 0
		.amdhsa_wavefront_size32 1
		.amdhsa_uses_dynamic_stack 0
		.amdhsa_enable_private_segment 0
		.amdhsa_system_sgpr_workgroup_id_x 1
		.amdhsa_system_sgpr_workgroup_id_y 0
		.amdhsa_system_sgpr_workgroup_id_z 0
		.amdhsa_system_sgpr_workgroup_info 0
		.amdhsa_system_vgpr_workitem_id 0
		.amdhsa_next_free_vgpr 63
		.amdhsa_next_free_sgpr 14
		.amdhsa_reserve_vcc 1
		.amdhsa_float_round_mode_32 0
		.amdhsa_float_round_mode_16_64 0
		.amdhsa_float_denorm_mode_32 3
		.amdhsa_float_denorm_mode_16_64 3
		.amdhsa_fp16_overflow 0
		.amdhsa_workgroup_processor_mode 1
		.amdhsa_memory_ordered 1
		.amdhsa_forward_progress 1
		.amdhsa_inst_pref_size 37
		.amdhsa_round_robin_scheduling 0
		.amdhsa_exception_fp_ieee_invalid_op 0
		.amdhsa_exception_fp_denorm_src 0
		.amdhsa_exception_fp_ieee_div_zero 0
		.amdhsa_exception_fp_ieee_overflow 0
		.amdhsa_exception_fp_ieee_underflow 0
		.amdhsa_exception_fp_ieee_inexact 0
		.amdhsa_exception_int_div_zero 0
	.end_amdhsa_kernel
	.section	.text._ZN9rocsparseL18bsrxmvn_4x4_kernelILj128ELj4EillaaiEEvT3_20rocsparse_direction_NS_24const_host_device_scalarIT1_EES1_PKS1_PKT2_SA_S7_PKT4_PKT5_S5_PT6_21rocsparse_index_base_b,"axG",@progbits,_ZN9rocsparseL18bsrxmvn_4x4_kernelILj128ELj4EillaaiEEvT3_20rocsparse_direction_NS_24const_host_device_scalarIT1_EES1_PKS1_PKT2_SA_S7_PKT4_PKT5_S5_PT6_21rocsparse_index_base_b,comdat
.Lfunc_end70:
	.size	_ZN9rocsparseL18bsrxmvn_4x4_kernelILj128ELj4EillaaiEEvT3_20rocsparse_direction_NS_24const_host_device_scalarIT1_EES1_PKS1_PKT2_SA_S7_PKT4_PKT5_S5_PT6_21rocsparse_index_base_b, .Lfunc_end70-_ZN9rocsparseL18bsrxmvn_4x4_kernelILj128ELj4EillaaiEEvT3_20rocsparse_direction_NS_24const_host_device_scalarIT1_EES1_PKS1_PKT2_SA_S7_PKT4_PKT5_S5_PT6_21rocsparse_index_base_b
                                        ; -- End function
	.set _ZN9rocsparseL18bsrxmvn_4x4_kernelILj128ELj4EillaaiEEvT3_20rocsparse_direction_NS_24const_host_device_scalarIT1_EES1_PKS1_PKT2_SA_S7_PKT4_PKT5_S5_PT6_21rocsparse_index_base_b.num_vgpr, 63
	.set _ZN9rocsparseL18bsrxmvn_4x4_kernelILj128ELj4EillaaiEEvT3_20rocsparse_direction_NS_24const_host_device_scalarIT1_EES1_PKS1_PKT2_SA_S7_PKT4_PKT5_S5_PT6_21rocsparse_index_base_b.num_agpr, 0
	.set _ZN9rocsparseL18bsrxmvn_4x4_kernelILj128ELj4EillaaiEEvT3_20rocsparse_direction_NS_24const_host_device_scalarIT1_EES1_PKS1_PKT2_SA_S7_PKT4_PKT5_S5_PT6_21rocsparse_index_base_b.numbered_sgpr, 14
	.set _ZN9rocsparseL18bsrxmvn_4x4_kernelILj128ELj4EillaaiEEvT3_20rocsparse_direction_NS_24const_host_device_scalarIT1_EES1_PKS1_PKT2_SA_S7_PKT4_PKT5_S5_PT6_21rocsparse_index_base_b.num_named_barrier, 0
	.set _ZN9rocsparseL18bsrxmvn_4x4_kernelILj128ELj4EillaaiEEvT3_20rocsparse_direction_NS_24const_host_device_scalarIT1_EES1_PKS1_PKT2_SA_S7_PKT4_PKT5_S5_PT6_21rocsparse_index_base_b.private_seg_size, 0
	.set _ZN9rocsparseL18bsrxmvn_4x4_kernelILj128ELj4EillaaiEEvT3_20rocsparse_direction_NS_24const_host_device_scalarIT1_EES1_PKS1_PKT2_SA_S7_PKT4_PKT5_S5_PT6_21rocsparse_index_base_b.uses_vcc, 1
	.set _ZN9rocsparseL18bsrxmvn_4x4_kernelILj128ELj4EillaaiEEvT3_20rocsparse_direction_NS_24const_host_device_scalarIT1_EES1_PKS1_PKT2_SA_S7_PKT4_PKT5_S5_PT6_21rocsparse_index_base_b.uses_flat_scratch, 0
	.set _ZN9rocsparseL18bsrxmvn_4x4_kernelILj128ELj4EillaaiEEvT3_20rocsparse_direction_NS_24const_host_device_scalarIT1_EES1_PKS1_PKT2_SA_S7_PKT4_PKT5_S5_PT6_21rocsparse_index_base_b.has_dyn_sized_stack, 0
	.set _ZN9rocsparseL18bsrxmvn_4x4_kernelILj128ELj4EillaaiEEvT3_20rocsparse_direction_NS_24const_host_device_scalarIT1_EES1_PKS1_PKT2_SA_S7_PKT4_PKT5_S5_PT6_21rocsparse_index_base_b.has_recursion, 0
	.set _ZN9rocsparseL18bsrxmvn_4x4_kernelILj128ELj4EillaaiEEvT3_20rocsparse_direction_NS_24const_host_device_scalarIT1_EES1_PKS1_PKT2_SA_S7_PKT4_PKT5_S5_PT6_21rocsparse_index_base_b.has_indirect_call, 0
	.section	.AMDGPU.csdata,"",@progbits
; Kernel info:
; codeLenInByte = 4628
; TotalNumSgprs: 16
; NumVgprs: 63
; ScratchSize: 0
; MemoryBound: 0
; FloatMode: 240
; IeeeMode: 1
; LDSByteSize: 0 bytes/workgroup (compile time only)
; SGPRBlocks: 0
; VGPRBlocks: 7
; NumSGPRsForWavesPerEU: 16
; NumVGPRsForWavesPerEU: 63
; Occupancy: 16
; WaveLimiterHint : 1
; COMPUTE_PGM_RSRC2:SCRATCH_EN: 0
; COMPUTE_PGM_RSRC2:USER_SGPR: 2
; COMPUTE_PGM_RSRC2:TRAP_HANDLER: 0
; COMPUTE_PGM_RSRC2:TGID_X_EN: 1
; COMPUTE_PGM_RSRC2:TGID_Y_EN: 0
; COMPUTE_PGM_RSRC2:TGID_Z_EN: 0
; COMPUTE_PGM_RSRC2:TIDIG_COMP_CNT: 0
	.section	.text._ZN9rocsparseL18bsrxmvn_4x4_kernelILj128ELj8EillaaiEEvT3_20rocsparse_direction_NS_24const_host_device_scalarIT1_EES1_PKS1_PKT2_SA_S7_PKT4_PKT5_S5_PT6_21rocsparse_index_base_b,"axG",@progbits,_ZN9rocsparseL18bsrxmvn_4x4_kernelILj128ELj8EillaaiEEvT3_20rocsparse_direction_NS_24const_host_device_scalarIT1_EES1_PKS1_PKT2_SA_S7_PKT4_PKT5_S5_PT6_21rocsparse_index_base_b,comdat
	.globl	_ZN9rocsparseL18bsrxmvn_4x4_kernelILj128ELj8EillaaiEEvT3_20rocsparse_direction_NS_24const_host_device_scalarIT1_EES1_PKS1_PKT2_SA_S7_PKT4_PKT5_S5_PT6_21rocsparse_index_base_b ; -- Begin function _ZN9rocsparseL18bsrxmvn_4x4_kernelILj128ELj8EillaaiEEvT3_20rocsparse_direction_NS_24const_host_device_scalarIT1_EES1_PKS1_PKT2_SA_S7_PKT4_PKT5_S5_PT6_21rocsparse_index_base_b
	.p2align	8
	.type	_ZN9rocsparseL18bsrxmvn_4x4_kernelILj128ELj8EillaaiEEvT3_20rocsparse_direction_NS_24const_host_device_scalarIT1_EES1_PKS1_PKT2_SA_S7_PKT4_PKT5_S5_PT6_21rocsparse_index_base_b,@function
_ZN9rocsparseL18bsrxmvn_4x4_kernelILj128ELj8EillaaiEEvT3_20rocsparse_direction_NS_24const_host_device_scalarIT1_EES1_PKS1_PKT2_SA_S7_PKT4_PKT5_S5_PT6_21rocsparse_index_base_b: ; @_ZN9rocsparseL18bsrxmvn_4x4_kernelILj128ELj8EillaaiEEvT3_20rocsparse_direction_NS_24const_host_device_scalarIT1_EES1_PKS1_PKT2_SA_S7_PKT4_PKT5_S5_PT6_21rocsparse_index_base_b
; %bb.0:
	s_clause 0x1
	s_load_b64 s[2:3], s[0:1], 0x60
	s_load_b128 s[4:7], s[0:1], 0x10
	s_mov_b32 s10, -1
                                        ; implicit-def: $sgpr12
	s_wait_kmcnt 0x0
	s_bitcmp1_b32 s3, 0
	s_cselect_b32 s3, -1, 0
	s_delay_alu instid0(SALU_CYCLE_1) | instskip(NEXT) | instid1(SALU_CYCLE_1)
	s_xor_b32 s3, s3, -1
	s_and_b32 vcc_lo, exec_lo, s3
	s_cbranch_vccnz .LBB71_4
; %bb.1:
	s_load_b64 s[8:9], s[0:1], 0x50
	s_and_not1_b32 vcc_lo, exec_lo, s10
	s_cbranch_vccz .LBB71_5
.LBB71_2:
	s_and_b32 vcc_lo, exec_lo, s3
	s_cbranch_vccz .LBB71_6
.LBB71_3:
	s_wait_kmcnt 0x0
	s_load_b32 s13, s[8:9], 0x0
	s_cbranch_execz .LBB71_7
	s_branch .LBB71_8
.LBB71_4:
	s_load_b32 s12, s[4:5], 0x0
	s_load_b64 s[8:9], s[0:1], 0x50
	s_cbranch_execnz .LBB71_2
.LBB71_5:
	s_wait_kmcnt 0x0
	s_mov_b32 s12, s4
	s_and_b32 vcc_lo, exec_lo, s3
	s_cbranch_vccnz .LBB71_3
.LBB71_6:
                                        ; implicit-def: $sgpr13
.LBB71_7:
	s_wait_kmcnt 0x0
	s_mov_b32 s13, s8
.LBB71_8:
	s_wait_kmcnt 0x0
	s_cmp_lg_u32 s12, 0
	s_mov_b32 s8, 0
	s_cselect_b32 s3, -1, 0
	s_cmp_lg_u32 s13, 1
	s_cselect_b32 s4, -1, 0
	s_delay_alu instid0(SALU_CYCLE_1) | instskip(NEXT) | instid1(SALU_CYCLE_1)
	s_or_b32 s3, s3, s4
	s_and_not1_b32 vcc_lo, exec_lo, s3
	s_cbranch_vccnz .LBB71_14
; %bb.9:
	s_load_b64 s[4:5], s[0:1], 0x20
	v_lshrrev_b32_e32 v1, 3, v0
	v_mov_b32_e32 v2, 0
	s_delay_alu instid0(VALU_DEP_2)
	v_lshl_or_b32 v1, ttmp9, 4, v1
	s_wait_kmcnt 0x0
	s_cmp_lg_u64 s[4:5], 0
	s_cbranch_scc0 .LBB71_15
; %bb.10:
	s_delay_alu instid0(VALU_DEP_1) | instskip(SKIP_2) | instid1(SALU_CYCLE_1)
	v_cmp_gt_i64_e32 vcc_lo, s[6:7], v[1:2]
	s_mov_b32 s6, 0
                                        ; implicit-def: $vgpr8_vgpr9
                                        ; implicit-def: $vgpr10_vgpr11
	s_and_saveexec_b32 s3, vcc_lo
	s_xor_b32 s7, exec_lo, s3
	s_cbranch_execz .LBB71_12
; %bb.11:
	v_lshlrev_b64_e32 v[3:4], 3, v[1:2]
	s_mov_b32 s3, 0
	s_mov_b32 s8, exec_lo
	v_dual_mov_b32 v11, s3 :: v_dual_mov_b32 v10, s2
	s_delay_alu instid0(VALU_DEP_2) | instskip(NEXT) | instid1(VALU_DEP_1)
	v_add_co_u32 v3, vcc_lo, s4, v3
	v_add_co_ci_u32_e64 v4, null, s5, v4, vcc_lo
	global_load_b64 v[3:4], v[3:4], off
	s_wait_loadcnt 0x0
	v_sub_co_u32 v8, vcc_lo, v3, s2
	s_wait_alu 0xfffd
	v_subrev_co_ci_u32_e64 v9, null, 0, v4, vcc_lo
.LBB71_12:
	s_wait_alu 0xfffe
	s_or_b32 exec_lo, exec_lo, s7
	s_delay_alu instid0(SALU_CYCLE_1)
	s_and_b32 vcc_lo, exec_lo, s6
	s_wait_alu 0xfffe
	s_cbranch_vccnz .LBB71_16
.LBB71_13:
	s_and_saveexec_b32 s2, s8
	s_cbranch_execnz .LBB71_19
.LBB71_14:
	s_endpgm
.LBB71_15:
                                        ; implicit-def: $vgpr8_vgpr9
                                        ; implicit-def: $vgpr10_vgpr11
	s_cbranch_execz .LBB71_13
.LBB71_16:
	s_load_b64 s[4:5], s[0:1], 0x0
	s_wait_kmcnt 0x0
	v_cmp_gt_i64_e32 vcc_lo, s[4:5], v[1:2]
	s_and_saveexec_b32 s4, vcc_lo
; %bb.17:
	s_mov_b32 s3, 0
	s_or_b32 s8, s8, exec_lo
; %bb.18:
	s_wait_alu 0xfffe
	s_or_b32 exec_lo, exec_lo, s4
	v_dual_mov_b32 v11, s3 :: v_dual_mov_b32 v10, s2
	v_dual_mov_b32 v9, v2 :: v_dual_mov_b32 v8, v1
	s_and_saveexec_b32 s2, s8
	s_cbranch_execz .LBB71_14
.LBB71_19:
	s_load_b256 s[4:11], s[0:1], 0x28
	s_delay_alu instid0(VALU_DEP_1) | instskip(SKIP_3) | instid1(VALU_DEP_2)
	v_lshlrev_b64_e32 v[1:2], 3, v[8:9]
	v_and_b32_e32 v26, 7, v0
	s_load_b32 s3, s[0:1], 0x8
	s_wait_kmcnt 0x0
	v_add_co_u32 v3, vcc_lo, s4, v1
	s_wait_alu 0xfffd
	v_add_co_ci_u32_e64 v4, null, s5, v2, vcc_lo
	v_add_co_u32 v1, vcc_lo, s6, v1
	s_wait_alu 0xfffd
	v_add_co_ci_u32_e64 v2, null, s7, v2, vcc_lo
	v_add_co_u32 v5, vcc_lo, v3, 8
	global_load_b64 v[16:17], v[3:4], off
	s_wait_alu 0xfffd
	v_add_co_ci_u32_e64 v6, null, 0, v4, vcc_lo
	s_cmp_eq_u64 s[6:7], 0
	s_load_b64 s[4:5], s[0:1], 0x48
	s_cselect_b32 vcc_lo, -1, 0
	v_mov_b32_e32 v4, 0
	s_wait_alu 0xfffe
	v_dual_cndmask_b32 v2, v2, v6 :: v_dual_cndmask_b32 v1, v1, v5
	s_cmp_eq_u32 s3, 1
	global_load_b64 v[1:2], v[1:2], off
	s_wait_loadcnt 0x1
	v_sub_co_u32 v0, vcc_lo, v16, v10
	s_wait_alu 0xfffd
	v_sub_co_ci_u32_e64 v3, null, v17, v11, vcc_lo
	s_delay_alu instid0(VALU_DEP_2) | instskip(SKIP_1) | instid1(VALU_DEP_2)
	v_add_co_u32 v14, vcc_lo, v0, v26
	s_wait_alu 0xfffd
	v_add_co_ci_u32_e64 v15, null, 0, v3, vcc_lo
	s_wait_loadcnt 0x0
	v_sub_co_u32 v18, vcc_lo, v1, v10
	s_delay_alu instid0(VALU_DEP_2) | instskip(SKIP_2) | instid1(VALU_DEP_2)
	v_lshlrev_b64_e32 v[0:1], 4, v[14:15]
	s_wait_alu 0xfffd
	v_sub_co_ci_u32_e64 v19, null, v2, v11, vcc_lo
	v_add_co_u32 v12, vcc_lo, s10, v0
	s_delay_alu instid0(VALU_DEP_2)
	v_cmp_lt_i64_e64 s2, v[14:15], v[18:19]
	s_wait_alu 0xfffd
	v_add_co_ci_u32_e64 v13, null, s11, v1, vcc_lo
	s_cbranch_scc1 .LBB71_31
; %bb.20:
	v_dual_mov_b32 v2, 0 :: v_dual_mov_b32 v1, 0
	v_mov_b32_e32 v0, 0
	s_and_saveexec_b32 s6, s2
	s_cbranch_execz .LBB71_30
; %bb.21:
	v_or_b32_e32 v0, 8, v26
	v_not_b32_e32 v3, v16
	v_sub_co_u32 v4, s3, v10, v26
	v_not_b32_e32 v2, v17
	s_delay_alu instid0(VALU_DEP_4)
	v_sub_co_u32 v0, vcc_lo, v0, v10
	s_wait_alu 0xfffd
	v_sub_co_ci_u32_e64 v1, null, 0, v11, vcc_lo
	s_wait_alu 0xf1ff
	v_subrev_co_ci_u32_e64 v5, null, 0, v11, s3
	v_add_co_u32 v0, vcc_lo, v0, v16
	s_wait_alu 0xfffd
	v_add_co_ci_u32_e64 v1, null, v1, v17, vcc_lo
	s_mov_b32 s7, 0
	v_dual_mov_b32 v21, v15 :: v_dual_mov_b32 v20, v14
	v_cmp_gt_i64_e32 vcc_lo, v[0:1], v[18:19]
	s_wait_alu 0xfffd
	v_dual_cndmask_b32 v1, v19, v1 :: v_dual_cndmask_b32 v0, v18, v0
	v_add_co_u32 v3, vcc_lo, v4, v3
	s_wait_alu 0xfffd
	v_add_co_ci_u32_e64 v2, null, v5, v2, vcc_lo
	v_mov_b32_e32 v4, 0
	s_delay_alu instid0(VALU_DEP_3) | instskip(SKIP_1) | instid1(VALU_DEP_3)
	v_add_co_u32 v22, vcc_lo, v3, v0
	s_wait_alu 0xfffd
	v_add_co_ci_u32_e64 v23, null, v2, v1, vcc_lo
	s_delay_alu instid0(VALU_DEP_3) | instskip(SKIP_1) | instid1(VALU_DEP_3)
	v_dual_mov_b32 v5, v4 :: v_dual_mov_b32 v6, v4
	v_mov_b32_e32 v7, v4
	v_lshrrev_b64 v[24:25], 3, v[22:23]
	s_delay_alu instid0(VALU_DEP_3) | instskip(NEXT) | instid1(VALU_DEP_3)
	v_dual_mov_b32 v0, v4 :: v_dual_mov_b32 v1, v5
	v_dual_mov_b32 v2, v6 :: v_dual_mov_b32 v3, v7
	v_cmp_lt_u64_e32 vcc_lo, 23, v[22:23]
	s_delay_alu instid0(VALU_DEP_4)
	v_add_co_u32 v7, s3, v24, 1
	s_wait_alu 0xf1ff
	v_add_co_ci_u32_e64 v23, null, 0, v25, s3
	v_dual_mov_b32 v5, v12 :: v_dual_mov_b32 v6, v13
	s_and_saveexec_b32 s3, vcc_lo
	s_cbranch_execz .LBB71_25
; %bb.22:
	v_lshlrev_b64_e32 v[0:1], 3, v[14:15]
	v_dual_mov_b32 v2, 0 :: v_dual_mov_b32 v5, v12
	v_and_b32_e32 v22, -4, v7
	v_dual_mov_b32 v6, v13 :: v_dual_mov_b32 v21, v15
	s_delay_alu instid0(VALU_DEP_4) | instskip(SKIP_3) | instid1(VALU_DEP_3)
	v_add_co_u32 v0, vcc_lo, s8, v0
	s_wait_alu 0xfffd
	v_add_co_ci_u32_e64 v3, null, s9, v1, vcc_lo
	v_mov_b32_e32 v1, 0
	v_add_co_u32 v24, vcc_lo, 0x80, v0
	v_mov_b32_e32 v0, 0
	s_wait_alu 0xfffd
	v_add_co_ci_u32_e64 v25, null, 0, v3, vcc_lo
	v_mov_b32_e32 v20, v14
.LBB71_23:                              ; =>This Inner Loop Header: Depth=1
	s_clause 0x3
	global_load_b64 v[39:40], v[24:25], off offset:-128
	global_load_b64 v[41:42], v[24:25], off offset:-64
	global_load_b64 v[43:44], v[24:25], off
	global_load_b64 v[45:46], v[24:25], off offset:64
	s_clause 0x2
	global_load_b128 v[27:30], v[5:6], off
	global_load_b128 v[31:34], v[5:6], off offset:128
	global_load_b128 v[35:38], v[5:6], off offset:256
	s_wait_loadcnt 0x6
	v_sub_co_u32 v39, vcc_lo, v39, v10
	s_wait_alu 0xfffd
	v_sub_co_ci_u32_e64 v40, null, v40, v11, vcc_lo
	s_wait_loadcnt 0x5
	v_sub_co_u32 v41, vcc_lo, v41, v10
	s_wait_alu 0xfffd
	v_sub_co_ci_u32_e64 v42, null, v42, v11, vcc_lo
	;; [unrolled: 4-line block ×3, first 2 shown]
	v_lshlrev_b64_e32 v[39:40], 2, v[39:40]
	v_lshlrev_b64_e32 v[41:42], 2, v[41:42]
	s_wait_loadcnt 0x1
	v_lshrrev_b16 v49, 8, v34
	v_lshlrev_b64_e32 v[43:44], 2, v[43:44]
	v_ashrrev_i32_e32 v50, 24, v34
	v_bfe_i32 v51, v34, 16, 8
	s_wait_kmcnt 0x0
	v_add_co_u32 v39, vcc_lo, s4, v39
	s_wait_alu 0xfffd
	v_add_co_ci_u32_e64 v40, null, s5, v40, vcc_lo
	v_add_co_u32 v41, vcc_lo, s4, v41
	s_wait_alu 0xfffd
	v_add_co_ci_u32_e64 v42, null, s5, v42, vcc_lo
	;; [unrolled: 3-line block ×3, first 2 shown]
	s_clause 0x2
	global_load_b32 v3, v[39:40], off
	global_load_b32 v47, v[41:42], off
	;; [unrolled: 1-line block ×3, first 2 shown]
	v_sub_co_u32 v39, vcc_lo, v45, v10
	s_wait_alu 0xfffd
	v_sub_co_ci_u32_e64 v40, null, v46, v11, vcc_lo
	v_ashrrev_i32_e32 v45, 24, v30
	v_bfe_i32 v34, v34, 0, 8
	v_bfe_i32 v49, v49, 0, 8
	s_delay_alu instid0(VALU_DEP_4)
	v_lshlrev_b64_e32 v[39:40], 2, v[39:40]
	v_bfe_i32 v46, v30, 0, 8
	s_wait_loadcnt 0x3
	v_bfe_i32 v54, v38, 16, 8
	v_bfe_i32 v52, v38, 0, 8
	;; [unrolled: 1-line block ×3, first 2 shown]
	v_ashrrev_i32_e32 v38, 24, v38
	v_add_co_u32 v43, vcc_lo, s4, v39
	s_wait_alu 0xfffd
	v_add_co_ci_u32_e64 v44, null, s5, v40, vcc_lo
	global_load_b128 v[39:42], v[5:6], off offset:384
	global_load_b32 v43, v[43:44], off
	v_lshrrev_b16 v44, 8, v30
	v_bfe_i32 v30, v30, 16, 8
	v_add_co_u32 v5, vcc_lo, 0x200, v5
	s_wait_alu 0xfffd
	v_add_co_ci_u32_e64 v6, null, 0, v6, vcc_lo
	v_bfe_i32 v44, v44, 0, 8
	v_add_co_u32 v20, vcc_lo, v20, 32
	s_wait_alu 0xfffd
	v_add_co_ci_u32_e64 v21, null, 0, v21, vcc_lo
	v_add_co_u32 v22, vcc_lo, v22, -4
	s_wait_alu 0xfffd
	v_add_co_ci_u32_e64 v23, null, -1, v23, vcc_lo
	v_add_co_u32 v24, vcc_lo, 0x100, v24
	s_wait_alu 0xfffd
	v_add_co_ci_u32_e64 v25, null, 0, v25, vcc_lo
	s_delay_alu instid0(VALU_DEP_3)
	v_cmp_eq_u64_e32 vcc_lo, 0, v[22:23]
	s_wait_alu 0xfffe
	s_or_b32 s7, vcc_lo, s7
	s_wait_loadcnt 0x4
	v_lshrrev_b16 v55, 8, v3
	v_ashrrev_i32_e32 v56, 24, v3
	v_bfe_i32 v57, v3, 0, 8
	v_bfe_i32 v58, v3, 16, 8
	v_dot4_i32_iu8 v0, v3, v27, v0 neg_lo:[1,1,0]
	v_dot4_i32_iu8 v1, v3, v28, v1 neg_lo:[1,1,0]
	;; [unrolled: 1-line block ×3, first 2 shown]
	s_wait_loadcnt 0x3
	v_lshrrev_b16 v3, 8, v47
	v_ashrrev_i32_e32 v27, 24, v47
	v_bfe_i32 v28, v47, 16, 8
	v_bfe_i32 v29, v47, 0, 8
	;; [unrolled: 1-line block ×4, first 2 shown]
	v_mul_i32_i24_e32 v27, v50, v27
	s_wait_loadcnt 0x2
	v_bfe_i32 v59, v48, 16, 8
	v_mul_i32_i24_e32 v29, v34, v29
	v_mul_i32_i24_e32 v28, v51, v28
	;; [unrolled: 1-line block ×4, first 2 shown]
	v_mad_i32_i24 v27, v45, v56, v27
	v_bfe_i32 v61, v48, 8, 8
	v_bfe_i32 v62, v48, 0, 8
	v_mul_i32_i24_e32 v44, v54, v59
	v_mad_i32_i24 v28, v30, v58, v28
	v_mad_i32_i24 v29, v46, v57, v29
	v_add3_u32 v3, v34, v3, v27
	v_ashrrev_i32_e32 v60, 24, v48
	v_mul_i32_i24_e32 v27, v62, v52
	v_mad_i32_i24 v30, v61, v53, v44
	v_dot4_i32_iu8 v0, v47, v31, v0 neg_lo:[1,1,0]
	v_add3_u32 v3, v29, v28, v3
	v_dot4_i32_iu8 v1, v47, v32, v1 neg_lo:[1,1,0]
	v_dot4_i32_iu8 v2, v47, v33, v2 neg_lo:[1,1,0]
	v_mul_i32_i24_e32 v28, v38, v60
	v_dot4_i32_iu8 v0, v48, v35, v0 neg_lo:[1,1,0]
	v_add3_u32 v3, v3, v27, v30
	v_dot4_i32_iu8 v1, v36, v48, v1 neg_lo:[1,1,0]
	v_dot4_i32_iu8 v2, v37, v48, v2 neg_lo:[1,1,0]
	s_wait_loadcnt 0x0
	v_dot4_i32_iu8 v0, v43, v39, v0 neg_lo:[1,1,0]
	v_add3_u32 v3, v3, v4, v28
	v_dot4_i32_iu8 v1, v43, v40, v1 neg_lo:[1,1,0]
	v_dot4_i32_iu8 v2, v43, v41, v2 neg_lo:[1,1,0]
	s_delay_alu instid0(VALU_DEP_3)
	v_dot4_i32_iu8 v4, v43, v42, v3 neg_lo:[1,1,0]
	s_wait_alu 0xfffe
	s_and_not1_b32 exec_lo, exec_lo, s7
	s_cbranch_execnz .LBB71_23
; %bb.24:
	s_or_b32 exec_lo, exec_lo, s7
	v_mov_b32_e32 v3, v4
.LBB71_25:
	s_wait_alu 0xfffe
	s_or_b32 exec_lo, exec_lo, s3
	v_dual_mov_b32 v23, 0 :: v_dual_and_b32 v22, 3, v7
	s_mov_b32 s3, exec_lo
	s_delay_alu instid0(VALU_DEP_1)
	v_cmpx_ne_u64_e32 0, v[22:23]
	s_cbranch_execz .LBB71_29
; %bb.26:
	v_lshlrev_b64_e32 v[20:21], 3, v[20:21]
	v_lshlrev_b32_e32 v22, 1, v22
	s_mov_b32 s7, 0
	s_delay_alu instid0(VALU_DEP_2) | instskip(SKIP_1) | instid1(VALU_DEP_3)
	v_add_co_u32 v20, vcc_lo, s8, v20
	s_wait_alu 0xfffd
	v_add_co_ci_u32_e64 v21, null, s9, v21, vcc_lo
.LBB71_27:                              ; =>This Inner Loop Header: Depth=1
	global_load_b64 v[24:25], v[20:21], off
	s_wait_loadcnt 0x0
	v_sub_co_u32 v24, vcc_lo, v24, v10
	s_wait_alu 0xfffd
	v_sub_co_ci_u32_e64 v25, null, v25, v11, vcc_lo
	s_delay_alu instid0(VALU_DEP_1) | instskip(SKIP_1) | instid1(VALU_DEP_1)
	v_lshlrev_b64_e32 v[24:25], 2, v[24:25]
	s_wait_kmcnt 0x0
	v_add_co_u32 v24, vcc_lo, s4, v24
	s_wait_alu 0xfffd
	s_delay_alu instid0(VALU_DEP_2)
	v_add_co_ci_u32_e64 v25, null, s5, v25, vcc_lo
	global_load_b128 v[27:30], v[5:6], off
	global_load_b32 v4, v[24:25], off
	v_add_co_u32 v5, vcc_lo, 0x80, v5
	s_wait_alu 0xfffd
	v_add_co_ci_u32_e64 v6, null, 0, v6, vcc_lo
	v_add_co_u32 v22, vcc_lo, v22, -2
	s_wait_alu 0xfffd
	v_add_co_ci_u32_e64 v23, null, -1, v23, vcc_lo
	v_add_co_u32 v20, vcc_lo, v20, 64
	s_wait_alu 0xfffd
	v_add_co_ci_u32_e64 v21, null, 0, v21, vcc_lo
	s_delay_alu instid0(VALU_DEP_3)
	v_cmp_eq_u64_e32 vcc_lo, 0, v[22:23]
	s_wait_alu 0xfffe
	s_or_b32 s7, vcc_lo, s7
	s_wait_loadcnt 0x0
	v_dot4_i32_iu8 v3, v4, v30, v3 neg_lo:[1,1,0]
	v_dot4_i32_iu8 v2, v4, v29, v2 neg_lo:[1,1,0]
	;; [unrolled: 1-line block ×4, first 2 shown]
	s_wait_alu 0xfffe
	s_and_not1_b32 exec_lo, exec_lo, s7
	s_cbranch_execnz .LBB71_27
; %bb.28:
	s_or_b32 exec_lo, exec_lo, s7
	v_mov_b32_e32 v4, v3
.LBB71_29:
	s_wait_alu 0xfffe
	s_or_b32 exec_lo, exec_lo, s3
.LBB71_30:
	s_wait_alu 0xfffe
	s_or_b32 exec_lo, exec_lo, s6
	s_cbranch_execz .LBB71_32
	s_branch .LBB71_43
.LBB71_31:
                                        ; implicit-def: $vgpr4
                                        ; implicit-def: $vgpr2
.LBB71_32:
	v_dual_mov_b32 v4, 0 :: v_dual_mov_b32 v1, 0
	v_mov_b32_e32 v2, 0
	v_mov_b32_e32 v0, 0
	s_and_saveexec_b32 s3, s2
	s_cbranch_execz .LBB71_42
; %bb.33:
	v_or_b32_e32 v0, 8, v26
	v_not_b32_e32 v3, v16
	v_sub_co_u32 v4, s2, v10, v26
	v_not_b32_e32 v2, v17
	s_delay_alu instid0(VALU_DEP_4)
	v_sub_co_u32 v0, vcc_lo, v0, v10
	s_wait_alu 0xfffd
	v_sub_co_ci_u32_e64 v1, null, 0, v11, vcc_lo
	s_wait_alu 0xf1ff
	v_subrev_co_ci_u32_e64 v5, null, 0, v11, s2
	v_add_co_u32 v0, vcc_lo, v0, v16
	s_wait_alu 0xfffd
	v_add_co_ci_u32_e64 v1, null, v1, v17, vcc_lo
	s_mov_b32 s6, 0
	v_cmp_gt_i64_e32 vcc_lo, v[0:1], v[18:19]
	s_wait_alu 0xfffd
	v_dual_cndmask_b32 v1, v19, v1 :: v_dual_cndmask_b32 v0, v18, v0
	v_add_co_u32 v3, vcc_lo, v4, v3
	s_wait_alu 0xfffd
	v_add_co_ci_u32_e64 v2, null, v5, v2, vcc_lo
	v_mov_b32_e32 v4, 0
	s_delay_alu instid0(VALU_DEP_3) | instskip(SKIP_1) | instid1(VALU_DEP_3)
	v_add_co_u32 v0, vcc_lo, v3, v0
	s_wait_alu 0xfffd
	v_add_co_ci_u32_e64 v1, null, v2, v1, vcc_lo
	s_delay_alu instid0(VALU_DEP_3) | instskip(SKIP_1) | instid1(VALU_DEP_3)
	v_dual_mov_b32 v5, v4 :: v_dual_mov_b32 v6, v4
	v_mov_b32_e32 v7, v4
	v_lshrrev_b64 v[2:3], 3, v[0:1]
	v_cmp_lt_u64_e32 vcc_lo, 23, v[0:1]
	s_delay_alu instid0(VALU_DEP_2) | instskip(SKIP_1) | instid1(VALU_DEP_3)
	v_add_co_u32 v18, s2, v2, 1
	s_wait_alu 0xf1ff
	v_add_co_ci_u32_e64 v17, null, 0, v3, s2
	v_dual_mov_b32 v0, v4 :: v_dual_mov_b32 v1, v5
	v_dual_mov_b32 v2, v6 :: v_dual_mov_b32 v3, v7
	s_and_saveexec_b32 s2, vcc_lo
	s_cbranch_execz .LBB71_37
; %bb.34:
	v_lshlrev_b64_e32 v[0:1], 3, v[14:15]
	v_and_b32_e32 v16, -4, v18
	v_mov_b32_e32 v2, 0
	s_delay_alu instid0(VALU_DEP_3) | instskip(SKIP_1) | instid1(VALU_DEP_4)
	v_add_co_u32 v0, vcc_lo, s8, v0
	s_wait_alu 0xfffd
	v_add_co_ci_u32_e64 v3, null, s9, v1, vcc_lo
	v_mov_b32_e32 v1, 0
	s_delay_alu instid0(VALU_DEP_3) | instskip(SKIP_1) | instid1(VALU_DEP_3)
	v_add_co_u32 v5, vcc_lo, 0x80, v0
	s_wait_alu 0xfffd
	v_add_co_ci_u32_e64 v6, null, 0, v3, vcc_lo
	v_mov_b32_e32 v0, 0
.LBB71_35:                              ; =>This Inner Loop Header: Depth=1
	s_clause 0x3
	global_load_b64 v[23:24], v[5:6], off offset:-128
	global_load_b64 v[39:40], v[5:6], off offset:-64
	global_load_b64 v[41:42], v[5:6], off
	global_load_b64 v[43:44], v[5:6], off offset:64
	s_clause 0x3
	global_load_b128 v[19:22], v[12:13], off
	global_load_b128 v[27:30], v[12:13], off offset:128
	global_load_b128 v[31:34], v[12:13], off offset:256
	;; [unrolled: 1-line block ×3, first 2 shown]
	s_wait_loadcnt 0x7
	v_sub_co_u32 v23, vcc_lo, v23, v10
	s_wait_alu 0xfffd
	v_sub_co_ci_u32_e64 v24, null, v24, v11, vcc_lo
	s_wait_loadcnt 0x6
	v_sub_co_u32 v39, vcc_lo, v39, v10
	s_wait_alu 0xfffd
	v_sub_co_ci_u32_e64 v40, null, v40, v11, vcc_lo
	;; [unrolled: 4-line block ×3, first 2 shown]
	v_lshlrev_b64_e32 v[23:24], 2, v[23:24]
	v_lshlrev_b64_e32 v[39:40], 2, v[39:40]
	s_wait_loadcnt 0x2
	v_perm_b32 v45, v27, v22, 0xc0c0501
	v_lshlrev_b64_e32 v[41:42], 2, v[41:42]
	v_perm_b32 v46, v29, v28, 0x5010c0c
	v_perm_b32 v47, v27, v22, 0xc0c0602
	s_wait_kmcnt 0x0
	v_add_co_u32 v23, vcc_lo, s4, v23
	s_wait_alu 0xfffd
	v_add_co_ci_u32_e64 v24, null, s5, v24, vcc_lo
	v_add_co_u32 v39, vcc_lo, s4, v39
	s_wait_alu 0xfffd
	v_add_co_ci_u32_e64 v40, null, s5, v40, vcc_lo
	;; [unrolled: 3-line block ×3, first 2 shown]
	s_clause 0x2
	global_load_b32 v3, v[23:24], off
	global_load_b32 v7, v[39:40], off
	;; [unrolled: 1-line block ×3, first 2 shown]
	v_sub_co_u32 v23, vcc_lo, v43, v10
	s_wait_alu 0xfffd
	v_sub_co_ci_u32_e64 v24, null, v44, v11, vcc_lo
	v_perm_b32 v40, v21, v20, 0xc05010c
	v_perm_b32 v42, v21, v20, 0xc06020c
	;; [unrolled: 1-line block ×3, first 2 shown]
	s_delay_alu instid0(VALU_DEP_4)
	v_lshlrev_b64_e32 v[23:24], 2, v[23:24]
	v_perm_b32 v48, v29, v28, 0x6020c0c
	s_wait_loadcnt 0x4
	v_perm_b32 v50, v31, v30, 0xc0c0501
	v_perm_b32 v52, v31, v30, 0xc0c0602
	;; [unrolled: 1-line block ×4, first 2 shown]
	v_add_co_u32 v23, vcc_lo, s4, v23
	s_wait_alu 0xfffd
	v_add_co_ci_u32_e64 v24, null, s5, v24, vcc_lo
	v_perm_b32 v43, v19, v19, 0xc0c0c02
	v_perm_b32 v19, v19, v19, 0xc0c0c03
	;; [unrolled: 1-line block ×3, first 2 shown]
	global_load_b32 v23, v[23:24], off
	v_perm_b32 v24, v21, v20, 0xc04000c
	v_perm_b32 v20, v21, v20, 0xc07030c
	;; [unrolled: 1-line block ×5, first 2 shown]
	v_lshrrev_b32_e32 v28, 16, v34
	v_perm_b32 v29, v31, v30, 0xc0c0400
	v_perm_b32 v30, v31, v30, 0xc0c0703
	v_perm_b32 v31, v33, v32, 0x7030c0c
	v_perm_b32 v51, v33, v32, 0x5010c0c
	v_perm_b32 v53, v33, v32, 0x6020c0c
	v_ashrrev_i16 v32, 8, v34
	v_bfe_i32 v33, v34, 0, 8
	v_or_b32_e32 v30, v31, v30
	v_ashrrev_i16 v31, 8, v28
	v_bfe_i32 v28, v28, 0, 8
	s_wait_loadcnt 0x4
	v_perm_b32 v34, v36, v35, 0xc0c0703
	v_perm_b32 v54, v38, v37, 0x7030c0c
	;; [unrolled: 1-line block ×8, first 2 shown]
	v_or_b32_e32 v24, v24, v39
	v_or_b32_e32 v37, v40, v41
	;; [unrolled: 1-line block ×4, first 2 shown]
	v_perm_b32 v28, v31, v28, 0x5040100
	v_or_b32_e32 v20, v44, v21
	v_or_b32_e32 v21, v46, v45
	;; [unrolled: 1-line block ×4, first 2 shown]
	v_perm_b32 v32, v32, v33, 0x5040100
	v_or_b32_e32 v27, v49, v29
	v_or_b32_e32 v29, v51, v50
	;; [unrolled: 1-line block ×3, first 2 shown]
	v_add_co_u32 v12, vcc_lo, 0x200, v12
	s_wait_alu 0xfffd
	v_add_co_ci_u32_e64 v13, null, 0, v13, vcc_lo
	v_add_co_u32 v14, vcc_lo, v14, 32
	s_wait_alu 0xfffd
	v_add_co_ci_u32_e64 v15, null, 0, v15, vcc_lo
	v_add_co_u32 v16, vcc_lo, v16, -4
	s_wait_alu 0xfffd
	v_add_co_ci_u32_e64 v17, null, -1, v17, vcc_lo
	v_add_co_u32 v5, vcc_lo, 0x100, v5
	v_or_b32_e32 v33, v54, v34
	v_or_b32_e32 v34, v56, v55
	;; [unrolled: 1-line block ×3, first 2 shown]
	s_wait_alu 0xfffd
	v_add_co_ci_u32_e64 v6, null, 0, v6, vcc_lo
	v_cmp_eq_u64_e32 vcc_lo, 0, v[16:17]
	s_wait_alu 0xfffe
	s_or_b32 s6, vcc_lo, s6
	s_wait_loadcnt 0x3
	v_perm_b32 v31, v3, v3, 0xc020100
	s_wait_loadcnt 0x2
	v_perm_b32 v3, v7, v3, 0x6050403
	s_wait_loadcnt 0x1
	v_lshrrev_b32_e32 v42, 24, v25
	v_perm_b32 v7, v25, v7, 0x6050403
	v_dot4_i32_iu8 v0, v31, v24, v0 neg_lo:[1,1,0]
	v_dot4_i32_iu8 v1, v37, v31, v1 neg_lo:[1,1,0]
	;; [unrolled: 1-line block ×4, first 2 shown]
	v_bfe_i32 v19, v42, 0, 8
	v_dot4_i32_iu8 v0, v3, v20, v0 neg_lo:[1,1,0]
	v_dot4_i32_iu8 v1, v21, v3, v1 neg_lo:[1,1,0]
	;; [unrolled: 1-line block ×4, first 2 shown]
	v_pk_mul_lo_u16 v4, v19, v32 op_sel_hi:[0,1]
	v_pk_mul_lo_u16 v19, v19, v28 op_sel_hi:[0,1]
	v_dot4_i32_iu8 v0, v7, v27, v0 neg_lo:[1,1,0]
	v_dot4_i32_iu8 v1, v29, v7, v1 neg_lo:[1,1,0]
	;; [unrolled: 1-line block ×4, first 2 shown]
	v_ashrrev_i32_e32 v7, 16, v19
	v_bfe_i32 v19, v19, 0, 16
	v_ashrrev_i32_e32 v20, 16, v4
	v_bfe_i32 v4, v4, 0, 16
	v_or_b32_e32 v21, v36, v35
	v_add_nc_u32_e32 v3, v3, v7
	v_add_nc_u32_e32 v2, v2, v19
	;; [unrolled: 1-line block ×4, first 2 shown]
	s_wait_loadcnt 0x0
	v_dot4_i32_iu8 v4, v23, v33, v3 neg_lo:[1,1,0]
	v_dot4_i32_iu8 v2, v23, v34, v2 neg_lo:[1,1,0]
	;; [unrolled: 1-line block ×4, first 2 shown]
	s_wait_alu 0xfffe
	s_and_not1_b32 exec_lo, exec_lo, s6
	s_cbranch_execnz .LBB71_35
; %bb.36:
	s_or_b32 exec_lo, exec_lo, s6
	v_mov_b32_e32 v3, v4
.LBB71_37:
	s_wait_alu 0xfffe
	s_or_b32 exec_lo, exec_lo, s2
	v_dual_mov_b32 v6, 0 :: v_dual_and_b32 v5, 3, v18
	s_mov_b32 s2, exec_lo
	s_delay_alu instid0(VALU_DEP_1)
	v_cmpx_ne_u64_e32 0, v[5:6]
	s_cbranch_execz .LBB71_41
; %bb.38:
	v_lshlrev_b64_e32 v[14:15], 3, v[14:15]
	v_lshlrev_b32_e32 v5, 1, v5
	s_mov_b32 s6, 0
	s_delay_alu instid0(VALU_DEP_2) | instskip(SKIP_1) | instid1(VALU_DEP_3)
	v_add_co_u32 v14, vcc_lo, s8, v14
	s_wait_alu 0xfffd
	v_add_co_ci_u32_e64 v15, null, s9, v15, vcc_lo
.LBB71_39:                              ; =>This Inner Loop Header: Depth=1
	global_load_b64 v[20:21], v[14:15], off
	global_load_b128 v[16:19], v[12:13], off
	s_wait_loadcnt 0x1
	v_sub_co_u32 v20, vcc_lo, v20, v10
	s_wait_alu 0xfffd
	v_sub_co_ci_u32_e64 v21, null, v21, v11, vcc_lo
	s_wait_loadcnt 0x0
	v_perm_b32 v7, v17, v16, 0xc0c0703
	v_perm_b32 v22, v19, v18, 0x6020c0c
	;; [unrolled: 1-line block ×3, first 2 shown]
	v_lshlrev_b64_e32 v[20:21], 2, v[20:21]
	v_perm_b32 v24, v19, v18, 0x5010c0c
	s_wait_kmcnt 0x0
	s_delay_alu instid0(VALU_DEP_2) | instskip(SKIP_1) | instid1(VALU_DEP_3)
	v_add_co_u32 v20, vcc_lo, s4, v20
	s_wait_alu 0xfffd
	v_add_co_ci_u32_e64 v21, null, s5, v21, vcc_lo
	v_add_co_u32 v12, vcc_lo, 0x80, v12
	s_wait_alu 0xfffd
	v_add_co_ci_u32_e64 v13, null, 0, v13, vcc_lo
	global_load_b32 v4, v[20:21], off
	v_add_co_u32 v14, vcc_lo, v14, 64
	s_wait_alu 0xfffd
	v_add_co_ci_u32_e64 v15, null, 0, v15, vcc_lo
	v_add_co_u32 v5, vcc_lo, v5, -2
	v_perm_b32 v20, v19, v18, 0x7030c0c
	v_perm_b32 v21, v17, v16, 0xc0c0602
	v_perm_b32 v16, v17, v16, 0xc0c0400
	v_perm_b32 v17, v19, v18, 0x4000c0c
	s_wait_alu 0xfffd
	v_add_co_ci_u32_e64 v6, null, -1, v6, vcc_lo
	v_or_b32_e32 v7, v20, v7
	v_or_b32_e32 v18, v22, v21
	;; [unrolled: 1-line block ×4, first 2 shown]
	v_cmp_eq_u64_e32 vcc_lo, 0, v[5:6]
	s_wait_alu 0xfffe
	s_or_b32 s6, vcc_lo, s6
	s_wait_loadcnt 0x0
	v_dot4_i32_iu8 v3, v4, v7, v3 neg_lo:[1,1,0]
	v_dot4_i32_iu8 v2, v4, v18, v2 neg_lo:[1,1,0]
	;; [unrolled: 1-line block ×4, first 2 shown]
	s_wait_alu 0xfffe
	s_and_not1_b32 exec_lo, exec_lo, s6
	s_cbranch_execnz .LBB71_39
; %bb.40:
	s_or_b32 exec_lo, exec_lo, s6
	v_mov_b32_e32 v4, v3
.LBB71_41:
	s_wait_alu 0xfffe
	s_or_b32 exec_lo, exec_lo, s2
.LBB71_42:
	s_wait_alu 0xfffe
	s_or_b32 exec_lo, exec_lo, s3
.LBB71_43:
	v_mbcnt_lo_u32_b32 v3, -1, 0
	s_mov_b32 s2, -1
	s_delay_alu instid0(VALU_DEP_1) | instskip(SKIP_1) | instid1(VALU_DEP_2)
	v_xor_b32_e32 v5, 4, v3
	v_xor_b32_e32 v11, 2, v3
	v_cmp_gt_i32_e32 vcc_lo, 32, v5
	s_wait_alu 0xfffd
	v_cndmask_b32_e32 v5, v3, v5, vcc_lo
	s_delay_alu instid0(VALU_DEP_3) | instskip(NEXT) | instid1(VALU_DEP_2)
	v_cmp_gt_i32_e32 vcc_lo, 32, v11
	v_lshlrev_b32_e32 v5, 2, v5
	ds_bpermute_b32 v6, v5, v0
	ds_bpermute_b32 v7, v5, v1
	;; [unrolled: 1-line block ×4, first 2 shown]
	s_wait_dscnt 0x3
	s_wait_alu 0xfffd
	v_dual_cndmask_b32 v11, v3, v11 :: v_dual_add_nc_u32 v0, v6, v0
	s_wait_dscnt 0x2
	v_add_nc_u32_e32 v1, v7, v1
	s_wait_dscnt 0x1
	v_add_nc_u32_e32 v2, v10, v2
	v_lshlrev_b32_e32 v11, 2, v11
	s_wait_dscnt 0x0
	v_add_nc_u32_e32 v4, v5, v4
	ds_bpermute_b32 v5, v11, v0
	ds_bpermute_b32 v6, v11, v1
	ds_bpermute_b32 v7, v11, v2
	ds_bpermute_b32 v10, v11, v4
	v_xor_b32_e32 v11, 1, v3
	s_delay_alu instid0(VALU_DEP_1) | instskip(SKIP_3) | instid1(VALU_DEP_2)
	v_cmp_gt_i32_e32 vcc_lo, 32, v11
	s_wait_alu 0xfffd
	v_cndmask_b32_e32 v3, v3, v11, vcc_lo
	v_cmp_eq_u32_e32 vcc_lo, 7, v26
	v_lshlrev_b32_e32 v11, 2, v3
	s_wait_dscnt 0x3
	v_add_nc_u32_e32 v0, v5, v0
	s_wait_dscnt 0x2
	v_add_nc_u32_e32 v1, v6, v1
	;; [unrolled: 2-line block ×4, first 2 shown]
	ds_bpermute_b32 v4, v11, v0
	ds_bpermute_b32 v5, v11, v1
	;; [unrolled: 1-line block ×4, first 2 shown]
	s_and_b32 exec_lo, exec_lo, vcc_lo
	s_cbranch_execz .LBB71_14
; %bb.44:
	s_load_b64 s[0:1], s[0:1], 0x58
	s_wait_dscnt 0x3
	v_add_nc_u32_e32 v0, v4, v0
	s_wait_dscnt 0x2
	v_add_nc_u32_e32 v1, v5, v1
	s_wait_dscnt 0x1
	v_add_nc_u32_e32 v2, v6, v2
	s_wait_dscnt 0x0
	v_add_nc_u32_e32 v3, v7, v3
	v_lshlrev_b64_e32 v[4:5], 4, v[8:9]
	v_mul_lo_u32 v0, v0, s12
	v_mul_lo_u32 v1, v1, s12
	;; [unrolled: 1-line block ×4, first 2 shown]
	s_cmp_eq_u32 s13, 0
	s_cbranch_scc1 .LBB71_46
; %bb.45:
	s_wait_kmcnt 0x0
	v_add_co_u32 v13, vcc_lo, s0, v4
	s_wait_alu 0xfffd
	v_add_co_ci_u32_e64 v14, null, s1, v5, vcc_lo
	s_mov_b32 s2, 0
	global_load_b128 v[6:9], v[13:14], off
	s_wait_loadcnt 0x0
	v_mad_co_u64_u32 v[15:16], null, v9, s13, v[3:4]
	v_mad_co_u64_u32 v[9:10], null, v6, s13, v[0:1]
	v_mad_co_u64_u32 v[10:11], null, v7, s13, v[1:2]
	v_mad_co_u64_u32 v[11:12], null, v8, s13, v[2:3]
	s_delay_alu instid0(VALU_DEP_4)
	v_mov_b32_e32 v12, v15
	global_store_b128 v[13:14], v[9:12], off
.LBB71_46:
	s_wait_alu 0xfffe
	s_and_not1_b32 vcc_lo, exec_lo, s2
	s_wait_alu 0xfffe
	s_cbranch_vccnz .LBB71_14
; %bb.47:
	s_wait_kmcnt 0x0
	v_add_co_u32 v4, vcc_lo, s0, v4
	s_wait_alu 0xfffd
	v_add_co_ci_u32_e64 v5, null, s1, v5, vcc_lo
	global_store_b128 v[4:5], v[0:3], off
	s_endpgm
	.section	.rodata,"a",@progbits
	.p2align	6, 0x0
	.amdhsa_kernel _ZN9rocsparseL18bsrxmvn_4x4_kernelILj128ELj8EillaaiEEvT3_20rocsparse_direction_NS_24const_host_device_scalarIT1_EES1_PKS1_PKT2_SA_S7_PKT4_PKT5_S5_PT6_21rocsparse_index_base_b
		.amdhsa_group_segment_fixed_size 0
		.amdhsa_private_segment_fixed_size 0
		.amdhsa_kernarg_size 104
		.amdhsa_user_sgpr_count 2
		.amdhsa_user_sgpr_dispatch_ptr 0
		.amdhsa_user_sgpr_queue_ptr 0
		.amdhsa_user_sgpr_kernarg_segment_ptr 1
		.amdhsa_user_sgpr_dispatch_id 0
		.amdhsa_user_sgpr_private_segment_size 0
		.amdhsa_wavefront_size32 1
		.amdhsa_uses_dynamic_stack 0
		.amdhsa_enable_private_segment 0
		.amdhsa_system_sgpr_workgroup_id_x 1
		.amdhsa_system_sgpr_workgroup_id_y 0
		.amdhsa_system_sgpr_workgroup_id_z 0
		.amdhsa_system_sgpr_workgroup_info 0
		.amdhsa_system_vgpr_workitem_id 0
		.amdhsa_next_free_vgpr 63
		.amdhsa_next_free_sgpr 14
		.amdhsa_reserve_vcc 1
		.amdhsa_float_round_mode_32 0
		.amdhsa_float_round_mode_16_64 0
		.amdhsa_float_denorm_mode_32 3
		.amdhsa_float_denorm_mode_16_64 3
		.amdhsa_fp16_overflow 0
		.amdhsa_workgroup_processor_mode 1
		.amdhsa_memory_ordered 1
		.amdhsa_forward_progress 1
		.amdhsa_inst_pref_size 37
		.amdhsa_round_robin_scheduling 0
		.amdhsa_exception_fp_ieee_invalid_op 0
		.amdhsa_exception_fp_denorm_src 0
		.amdhsa_exception_fp_ieee_div_zero 0
		.amdhsa_exception_fp_ieee_overflow 0
		.amdhsa_exception_fp_ieee_underflow 0
		.amdhsa_exception_fp_ieee_inexact 0
		.amdhsa_exception_int_div_zero 0
	.end_amdhsa_kernel
	.section	.text._ZN9rocsparseL18bsrxmvn_4x4_kernelILj128ELj8EillaaiEEvT3_20rocsparse_direction_NS_24const_host_device_scalarIT1_EES1_PKS1_PKT2_SA_S7_PKT4_PKT5_S5_PT6_21rocsparse_index_base_b,"axG",@progbits,_ZN9rocsparseL18bsrxmvn_4x4_kernelILj128ELj8EillaaiEEvT3_20rocsparse_direction_NS_24const_host_device_scalarIT1_EES1_PKS1_PKT2_SA_S7_PKT4_PKT5_S5_PT6_21rocsparse_index_base_b,comdat
.Lfunc_end71:
	.size	_ZN9rocsparseL18bsrxmvn_4x4_kernelILj128ELj8EillaaiEEvT3_20rocsparse_direction_NS_24const_host_device_scalarIT1_EES1_PKS1_PKT2_SA_S7_PKT4_PKT5_S5_PT6_21rocsparse_index_base_b, .Lfunc_end71-_ZN9rocsparseL18bsrxmvn_4x4_kernelILj128ELj8EillaaiEEvT3_20rocsparse_direction_NS_24const_host_device_scalarIT1_EES1_PKS1_PKT2_SA_S7_PKT4_PKT5_S5_PT6_21rocsparse_index_base_b
                                        ; -- End function
	.set _ZN9rocsparseL18bsrxmvn_4x4_kernelILj128ELj8EillaaiEEvT3_20rocsparse_direction_NS_24const_host_device_scalarIT1_EES1_PKS1_PKT2_SA_S7_PKT4_PKT5_S5_PT6_21rocsparse_index_base_b.num_vgpr, 63
	.set _ZN9rocsparseL18bsrxmvn_4x4_kernelILj128ELj8EillaaiEEvT3_20rocsparse_direction_NS_24const_host_device_scalarIT1_EES1_PKS1_PKT2_SA_S7_PKT4_PKT5_S5_PT6_21rocsparse_index_base_b.num_agpr, 0
	.set _ZN9rocsparseL18bsrxmvn_4x4_kernelILj128ELj8EillaaiEEvT3_20rocsparse_direction_NS_24const_host_device_scalarIT1_EES1_PKS1_PKT2_SA_S7_PKT4_PKT5_S5_PT6_21rocsparse_index_base_b.numbered_sgpr, 14
	.set _ZN9rocsparseL18bsrxmvn_4x4_kernelILj128ELj8EillaaiEEvT3_20rocsparse_direction_NS_24const_host_device_scalarIT1_EES1_PKS1_PKT2_SA_S7_PKT4_PKT5_S5_PT6_21rocsparse_index_base_b.num_named_barrier, 0
	.set _ZN9rocsparseL18bsrxmvn_4x4_kernelILj128ELj8EillaaiEEvT3_20rocsparse_direction_NS_24const_host_device_scalarIT1_EES1_PKS1_PKT2_SA_S7_PKT4_PKT5_S5_PT6_21rocsparse_index_base_b.private_seg_size, 0
	.set _ZN9rocsparseL18bsrxmvn_4x4_kernelILj128ELj8EillaaiEEvT3_20rocsparse_direction_NS_24const_host_device_scalarIT1_EES1_PKS1_PKT2_SA_S7_PKT4_PKT5_S5_PT6_21rocsparse_index_base_b.uses_vcc, 1
	.set _ZN9rocsparseL18bsrxmvn_4x4_kernelILj128ELj8EillaaiEEvT3_20rocsparse_direction_NS_24const_host_device_scalarIT1_EES1_PKS1_PKT2_SA_S7_PKT4_PKT5_S5_PT6_21rocsparse_index_base_b.uses_flat_scratch, 0
	.set _ZN9rocsparseL18bsrxmvn_4x4_kernelILj128ELj8EillaaiEEvT3_20rocsparse_direction_NS_24const_host_device_scalarIT1_EES1_PKS1_PKT2_SA_S7_PKT4_PKT5_S5_PT6_21rocsparse_index_base_b.has_dyn_sized_stack, 0
	.set _ZN9rocsparseL18bsrxmvn_4x4_kernelILj128ELj8EillaaiEEvT3_20rocsparse_direction_NS_24const_host_device_scalarIT1_EES1_PKS1_PKT2_SA_S7_PKT4_PKT5_S5_PT6_21rocsparse_index_base_b.has_recursion, 0
	.set _ZN9rocsparseL18bsrxmvn_4x4_kernelILj128ELj8EillaaiEEvT3_20rocsparse_direction_NS_24const_host_device_scalarIT1_EES1_PKS1_PKT2_SA_S7_PKT4_PKT5_S5_PT6_21rocsparse_index_base_b.has_indirect_call, 0
	.section	.AMDGPU.csdata,"",@progbits
; Kernel info:
; codeLenInByte = 4732
; TotalNumSgprs: 16
; NumVgprs: 63
; ScratchSize: 0
; MemoryBound: 0
; FloatMode: 240
; IeeeMode: 1
; LDSByteSize: 0 bytes/workgroup (compile time only)
; SGPRBlocks: 0
; VGPRBlocks: 7
; NumSGPRsForWavesPerEU: 16
; NumVGPRsForWavesPerEU: 63
; Occupancy: 16
; WaveLimiterHint : 1
; COMPUTE_PGM_RSRC2:SCRATCH_EN: 0
; COMPUTE_PGM_RSRC2:USER_SGPR: 2
; COMPUTE_PGM_RSRC2:TRAP_HANDLER: 0
; COMPUTE_PGM_RSRC2:TGID_X_EN: 1
; COMPUTE_PGM_RSRC2:TGID_Y_EN: 0
; COMPUTE_PGM_RSRC2:TGID_Z_EN: 0
; COMPUTE_PGM_RSRC2:TIDIG_COMP_CNT: 0
	.section	.text._ZN9rocsparseL18bsrxmvn_4x4_kernelILj128ELj16EillaaiEEvT3_20rocsparse_direction_NS_24const_host_device_scalarIT1_EES1_PKS1_PKT2_SA_S7_PKT4_PKT5_S5_PT6_21rocsparse_index_base_b,"axG",@progbits,_ZN9rocsparseL18bsrxmvn_4x4_kernelILj128ELj16EillaaiEEvT3_20rocsparse_direction_NS_24const_host_device_scalarIT1_EES1_PKS1_PKT2_SA_S7_PKT4_PKT5_S5_PT6_21rocsparse_index_base_b,comdat
	.globl	_ZN9rocsparseL18bsrxmvn_4x4_kernelILj128ELj16EillaaiEEvT3_20rocsparse_direction_NS_24const_host_device_scalarIT1_EES1_PKS1_PKT2_SA_S7_PKT4_PKT5_S5_PT6_21rocsparse_index_base_b ; -- Begin function _ZN9rocsparseL18bsrxmvn_4x4_kernelILj128ELj16EillaaiEEvT3_20rocsparse_direction_NS_24const_host_device_scalarIT1_EES1_PKS1_PKT2_SA_S7_PKT4_PKT5_S5_PT6_21rocsparse_index_base_b
	.p2align	8
	.type	_ZN9rocsparseL18bsrxmvn_4x4_kernelILj128ELj16EillaaiEEvT3_20rocsparse_direction_NS_24const_host_device_scalarIT1_EES1_PKS1_PKT2_SA_S7_PKT4_PKT5_S5_PT6_21rocsparse_index_base_b,@function
_ZN9rocsparseL18bsrxmvn_4x4_kernelILj128ELj16EillaaiEEvT3_20rocsparse_direction_NS_24const_host_device_scalarIT1_EES1_PKS1_PKT2_SA_S7_PKT4_PKT5_S5_PT6_21rocsparse_index_base_b: ; @_ZN9rocsparseL18bsrxmvn_4x4_kernelILj128ELj16EillaaiEEvT3_20rocsparse_direction_NS_24const_host_device_scalarIT1_EES1_PKS1_PKT2_SA_S7_PKT4_PKT5_S5_PT6_21rocsparse_index_base_b
; %bb.0:
	s_clause 0x1
	s_load_b64 s[2:3], s[0:1], 0x60
	s_load_b128 s[4:7], s[0:1], 0x10
	s_mov_b32 s10, -1
                                        ; implicit-def: $sgpr12
	s_wait_kmcnt 0x0
	s_bitcmp1_b32 s3, 0
	s_cselect_b32 s3, -1, 0
	s_delay_alu instid0(SALU_CYCLE_1) | instskip(NEXT) | instid1(SALU_CYCLE_1)
	s_xor_b32 s3, s3, -1
	s_and_b32 vcc_lo, exec_lo, s3
	s_cbranch_vccnz .LBB72_4
; %bb.1:
	s_load_b64 s[8:9], s[0:1], 0x50
	s_and_not1_b32 vcc_lo, exec_lo, s10
	s_cbranch_vccz .LBB72_5
.LBB72_2:
	s_and_b32 vcc_lo, exec_lo, s3
	s_cbranch_vccz .LBB72_6
.LBB72_3:
	s_wait_kmcnt 0x0
	s_load_b32 s13, s[8:9], 0x0
	s_cbranch_execz .LBB72_7
	s_branch .LBB72_8
.LBB72_4:
	s_load_b32 s12, s[4:5], 0x0
	s_load_b64 s[8:9], s[0:1], 0x50
	s_cbranch_execnz .LBB72_2
.LBB72_5:
	s_wait_kmcnt 0x0
	s_mov_b32 s12, s4
	s_and_b32 vcc_lo, exec_lo, s3
	s_cbranch_vccnz .LBB72_3
.LBB72_6:
                                        ; implicit-def: $sgpr13
.LBB72_7:
	s_wait_kmcnt 0x0
	s_mov_b32 s13, s8
.LBB72_8:
	s_wait_kmcnt 0x0
	s_cmp_lg_u32 s12, 0
	s_mov_b32 s8, 0
	s_cselect_b32 s3, -1, 0
	s_cmp_lg_u32 s13, 1
	s_cselect_b32 s4, -1, 0
	s_delay_alu instid0(SALU_CYCLE_1) | instskip(NEXT) | instid1(SALU_CYCLE_1)
	s_or_b32 s3, s3, s4
	s_and_not1_b32 vcc_lo, exec_lo, s3
	s_cbranch_vccnz .LBB72_14
; %bb.9:
	s_load_b64 s[4:5], s[0:1], 0x20
	v_lshrrev_b32_e32 v1, 4, v0
	v_mov_b32_e32 v2, 0
	s_delay_alu instid0(VALU_DEP_2)
	v_lshl_or_b32 v1, ttmp9, 3, v1
	s_wait_kmcnt 0x0
	s_cmp_lg_u64 s[4:5], 0
	s_cbranch_scc0 .LBB72_15
; %bb.10:
	s_delay_alu instid0(VALU_DEP_1) | instskip(SKIP_2) | instid1(SALU_CYCLE_1)
	v_cmp_gt_i64_e32 vcc_lo, s[6:7], v[1:2]
	s_mov_b32 s6, 0
                                        ; implicit-def: $vgpr8_vgpr9
                                        ; implicit-def: $vgpr10_vgpr11
	s_and_saveexec_b32 s3, vcc_lo
	s_xor_b32 s7, exec_lo, s3
	s_cbranch_execz .LBB72_12
; %bb.11:
	v_lshlrev_b64_e32 v[3:4], 3, v[1:2]
	s_mov_b32 s3, 0
	s_mov_b32 s8, exec_lo
	v_dual_mov_b32 v11, s3 :: v_dual_mov_b32 v10, s2
	s_delay_alu instid0(VALU_DEP_2) | instskip(NEXT) | instid1(VALU_DEP_1)
	v_add_co_u32 v3, vcc_lo, s4, v3
	v_add_co_ci_u32_e64 v4, null, s5, v4, vcc_lo
	global_load_b64 v[3:4], v[3:4], off
	s_wait_loadcnt 0x0
	v_sub_co_u32 v8, vcc_lo, v3, s2
	s_wait_alu 0xfffd
	v_subrev_co_ci_u32_e64 v9, null, 0, v4, vcc_lo
.LBB72_12:
	s_wait_alu 0xfffe
	s_or_b32 exec_lo, exec_lo, s7
	s_delay_alu instid0(SALU_CYCLE_1)
	s_and_b32 vcc_lo, exec_lo, s6
	s_wait_alu 0xfffe
	s_cbranch_vccnz .LBB72_16
.LBB72_13:
	s_and_saveexec_b32 s2, s8
	s_cbranch_execnz .LBB72_19
.LBB72_14:
	s_endpgm
.LBB72_15:
                                        ; implicit-def: $vgpr8_vgpr9
                                        ; implicit-def: $vgpr10_vgpr11
	s_cbranch_execz .LBB72_13
.LBB72_16:
	s_load_b64 s[4:5], s[0:1], 0x0
	s_wait_kmcnt 0x0
	v_cmp_gt_i64_e32 vcc_lo, s[4:5], v[1:2]
	s_and_saveexec_b32 s4, vcc_lo
; %bb.17:
	s_mov_b32 s3, 0
	s_or_b32 s8, s8, exec_lo
; %bb.18:
	s_wait_alu 0xfffe
	s_or_b32 exec_lo, exec_lo, s4
	v_dual_mov_b32 v11, s3 :: v_dual_mov_b32 v10, s2
	v_dual_mov_b32 v9, v2 :: v_dual_mov_b32 v8, v1
	s_and_saveexec_b32 s2, s8
	s_cbranch_execz .LBB72_14
.LBB72_19:
	s_load_b256 s[4:11], s[0:1], 0x28
	s_delay_alu instid0(VALU_DEP_1) | instskip(SKIP_3) | instid1(VALU_DEP_2)
	v_lshlrev_b64_e32 v[1:2], 3, v[8:9]
	v_and_b32_e32 v26, 15, v0
	s_load_b32 s3, s[0:1], 0x8
	s_wait_kmcnt 0x0
	v_add_co_u32 v3, vcc_lo, s4, v1
	s_wait_alu 0xfffd
	v_add_co_ci_u32_e64 v4, null, s5, v2, vcc_lo
	v_add_co_u32 v1, vcc_lo, s6, v1
	s_wait_alu 0xfffd
	v_add_co_ci_u32_e64 v2, null, s7, v2, vcc_lo
	v_add_co_u32 v5, vcc_lo, v3, 8
	global_load_b64 v[16:17], v[3:4], off
	s_wait_alu 0xfffd
	v_add_co_ci_u32_e64 v6, null, 0, v4, vcc_lo
	s_cmp_eq_u64 s[6:7], 0
	s_load_b64 s[4:5], s[0:1], 0x48
	s_cselect_b32 vcc_lo, -1, 0
	v_mov_b32_e32 v4, 0
	s_wait_alu 0xfffe
	v_dual_cndmask_b32 v2, v2, v6 :: v_dual_cndmask_b32 v1, v1, v5
	s_cmp_eq_u32 s3, 1
	global_load_b64 v[1:2], v[1:2], off
	s_wait_loadcnt 0x1
	v_sub_co_u32 v0, vcc_lo, v16, v10
	s_wait_alu 0xfffd
	v_sub_co_ci_u32_e64 v3, null, v17, v11, vcc_lo
	s_delay_alu instid0(VALU_DEP_2) | instskip(SKIP_1) | instid1(VALU_DEP_2)
	v_add_co_u32 v14, vcc_lo, v0, v26
	s_wait_alu 0xfffd
	v_add_co_ci_u32_e64 v15, null, 0, v3, vcc_lo
	s_wait_loadcnt 0x0
	v_sub_co_u32 v18, vcc_lo, v1, v10
	s_delay_alu instid0(VALU_DEP_2) | instskip(SKIP_2) | instid1(VALU_DEP_2)
	v_lshlrev_b64_e32 v[0:1], 4, v[14:15]
	s_wait_alu 0xfffd
	v_sub_co_ci_u32_e64 v19, null, v2, v11, vcc_lo
	v_add_co_u32 v12, vcc_lo, s10, v0
	s_delay_alu instid0(VALU_DEP_2)
	v_cmp_lt_i64_e64 s2, v[14:15], v[18:19]
	s_wait_alu 0xfffd
	v_add_co_ci_u32_e64 v13, null, s11, v1, vcc_lo
	s_cbranch_scc1 .LBB72_31
; %bb.20:
	v_dual_mov_b32 v2, 0 :: v_dual_mov_b32 v1, 0
	v_mov_b32_e32 v0, 0
	s_and_saveexec_b32 s6, s2
	s_cbranch_execz .LBB72_30
; %bb.21:
	v_or_b32_e32 v0, 16, v26
	v_not_b32_e32 v3, v16
	v_sub_co_u32 v4, s3, v10, v26
	v_not_b32_e32 v2, v17
	s_delay_alu instid0(VALU_DEP_4)
	v_sub_co_u32 v0, vcc_lo, v0, v10
	s_wait_alu 0xfffd
	v_sub_co_ci_u32_e64 v1, null, 0, v11, vcc_lo
	s_wait_alu 0xf1ff
	v_subrev_co_ci_u32_e64 v5, null, 0, v11, s3
	v_add_co_u32 v0, vcc_lo, v0, v16
	s_wait_alu 0xfffd
	v_add_co_ci_u32_e64 v1, null, v1, v17, vcc_lo
	s_mov_b32 s7, 0
	v_dual_mov_b32 v21, v15 :: v_dual_mov_b32 v20, v14
	v_cmp_gt_i64_e32 vcc_lo, v[0:1], v[18:19]
	s_wait_alu 0xfffd
	v_dual_cndmask_b32 v1, v19, v1 :: v_dual_cndmask_b32 v0, v18, v0
	v_add_co_u32 v3, vcc_lo, v4, v3
	s_wait_alu 0xfffd
	v_add_co_ci_u32_e64 v2, null, v5, v2, vcc_lo
	v_mov_b32_e32 v4, 0
	s_delay_alu instid0(VALU_DEP_3) | instskip(SKIP_1) | instid1(VALU_DEP_3)
	v_add_co_u32 v22, vcc_lo, v3, v0
	s_wait_alu 0xfffd
	v_add_co_ci_u32_e64 v23, null, v2, v1, vcc_lo
	s_delay_alu instid0(VALU_DEP_3) | instskip(SKIP_1) | instid1(VALU_DEP_3)
	v_dual_mov_b32 v5, v4 :: v_dual_mov_b32 v6, v4
	v_mov_b32_e32 v7, v4
	v_lshrrev_b64 v[24:25], 4, v[22:23]
	s_delay_alu instid0(VALU_DEP_3) | instskip(NEXT) | instid1(VALU_DEP_3)
	v_dual_mov_b32 v0, v4 :: v_dual_mov_b32 v1, v5
	v_dual_mov_b32 v2, v6 :: v_dual_mov_b32 v3, v7
	v_cmp_lt_u64_e32 vcc_lo, 47, v[22:23]
	s_delay_alu instid0(VALU_DEP_4)
	v_add_co_u32 v7, s3, v24, 1
	s_wait_alu 0xf1ff
	v_add_co_ci_u32_e64 v23, null, 0, v25, s3
	v_dual_mov_b32 v5, v12 :: v_dual_mov_b32 v6, v13
	s_and_saveexec_b32 s3, vcc_lo
	s_cbranch_execz .LBB72_25
; %bb.22:
	v_lshlrev_b64_e32 v[0:1], 3, v[14:15]
	v_dual_mov_b32 v2, 0 :: v_dual_mov_b32 v5, v12
	v_and_b32_e32 v22, -4, v7
	v_dual_mov_b32 v6, v13 :: v_dual_mov_b32 v21, v15
	s_delay_alu instid0(VALU_DEP_4) | instskip(SKIP_3) | instid1(VALU_DEP_3)
	v_add_co_u32 v0, vcc_lo, s8, v0
	s_wait_alu 0xfffd
	v_add_co_ci_u32_e64 v3, null, s9, v1, vcc_lo
	v_mov_b32_e32 v1, 0
	v_add_co_u32 v24, vcc_lo, 0x100, v0
	v_mov_b32_e32 v0, 0
	s_wait_alu 0xfffd
	v_add_co_ci_u32_e64 v25, null, 0, v3, vcc_lo
	v_mov_b32_e32 v20, v14
.LBB72_23:                              ; =>This Inner Loop Header: Depth=1
	s_clause 0x3
	global_load_b64 v[39:40], v[24:25], off offset:-256
	global_load_b64 v[41:42], v[24:25], off offset:-128
	global_load_b64 v[43:44], v[24:25], off
	global_load_b64 v[45:46], v[24:25], off offset:128
	s_clause 0x2
	global_load_b128 v[27:30], v[5:6], off
	global_load_b128 v[31:34], v[5:6], off offset:256
	global_load_b128 v[35:38], v[5:6], off offset:512
	s_wait_loadcnt 0x6
	v_sub_co_u32 v39, vcc_lo, v39, v10
	s_wait_alu 0xfffd
	v_sub_co_ci_u32_e64 v40, null, v40, v11, vcc_lo
	s_wait_loadcnt 0x5
	v_sub_co_u32 v41, vcc_lo, v41, v10
	s_wait_alu 0xfffd
	v_sub_co_ci_u32_e64 v42, null, v42, v11, vcc_lo
	;; [unrolled: 4-line block ×3, first 2 shown]
	v_lshlrev_b64_e32 v[39:40], 2, v[39:40]
	v_lshlrev_b64_e32 v[41:42], 2, v[41:42]
	s_wait_loadcnt 0x1
	v_lshrrev_b16 v49, 8, v34
	v_lshlrev_b64_e32 v[43:44], 2, v[43:44]
	v_ashrrev_i32_e32 v50, 24, v34
	v_bfe_i32 v51, v34, 16, 8
	s_wait_kmcnt 0x0
	v_add_co_u32 v39, vcc_lo, s4, v39
	s_wait_alu 0xfffd
	v_add_co_ci_u32_e64 v40, null, s5, v40, vcc_lo
	v_add_co_u32 v41, vcc_lo, s4, v41
	s_wait_alu 0xfffd
	v_add_co_ci_u32_e64 v42, null, s5, v42, vcc_lo
	;; [unrolled: 3-line block ×3, first 2 shown]
	s_clause 0x2
	global_load_b32 v3, v[39:40], off
	global_load_b32 v47, v[41:42], off
	;; [unrolled: 1-line block ×3, first 2 shown]
	v_sub_co_u32 v39, vcc_lo, v45, v10
	s_wait_alu 0xfffd
	v_sub_co_ci_u32_e64 v40, null, v46, v11, vcc_lo
	v_ashrrev_i32_e32 v45, 24, v30
	v_bfe_i32 v34, v34, 0, 8
	v_bfe_i32 v49, v49, 0, 8
	s_delay_alu instid0(VALU_DEP_4)
	v_lshlrev_b64_e32 v[39:40], 2, v[39:40]
	v_bfe_i32 v46, v30, 0, 8
	s_wait_loadcnt 0x3
	v_bfe_i32 v54, v38, 16, 8
	v_bfe_i32 v52, v38, 0, 8
	;; [unrolled: 1-line block ×3, first 2 shown]
	v_ashrrev_i32_e32 v38, 24, v38
	v_add_co_u32 v43, vcc_lo, s4, v39
	s_wait_alu 0xfffd
	v_add_co_ci_u32_e64 v44, null, s5, v40, vcc_lo
	global_load_b128 v[39:42], v[5:6], off offset:768
	global_load_b32 v43, v[43:44], off
	v_lshrrev_b16 v44, 8, v30
	v_bfe_i32 v30, v30, 16, 8
	v_add_co_u32 v5, vcc_lo, 0x400, v5
	s_wait_alu 0xfffd
	v_add_co_ci_u32_e64 v6, null, 0, v6, vcc_lo
	v_bfe_i32 v44, v44, 0, 8
	v_add_co_u32 v20, vcc_lo, v20, 64
	s_wait_alu 0xfffd
	v_add_co_ci_u32_e64 v21, null, 0, v21, vcc_lo
	v_add_co_u32 v22, vcc_lo, v22, -4
	s_wait_alu 0xfffd
	v_add_co_ci_u32_e64 v23, null, -1, v23, vcc_lo
	v_add_co_u32 v24, vcc_lo, 0x200, v24
	s_wait_alu 0xfffd
	v_add_co_ci_u32_e64 v25, null, 0, v25, vcc_lo
	s_delay_alu instid0(VALU_DEP_3)
	v_cmp_eq_u64_e32 vcc_lo, 0, v[22:23]
	s_wait_alu 0xfffe
	s_or_b32 s7, vcc_lo, s7
	s_wait_loadcnt 0x4
	v_lshrrev_b16 v55, 8, v3
	v_ashrrev_i32_e32 v56, 24, v3
	v_bfe_i32 v57, v3, 0, 8
	v_bfe_i32 v58, v3, 16, 8
	v_dot4_i32_iu8 v0, v3, v27, v0 neg_lo:[1,1,0]
	v_dot4_i32_iu8 v1, v3, v28, v1 neg_lo:[1,1,0]
	;; [unrolled: 1-line block ×3, first 2 shown]
	s_wait_loadcnt 0x3
	v_lshrrev_b16 v3, 8, v47
	v_ashrrev_i32_e32 v27, 24, v47
	v_bfe_i32 v28, v47, 16, 8
	v_bfe_i32 v29, v47, 0, 8
	;; [unrolled: 1-line block ×4, first 2 shown]
	v_mul_i32_i24_e32 v27, v50, v27
	s_wait_loadcnt 0x2
	v_bfe_i32 v59, v48, 16, 8
	v_mul_i32_i24_e32 v29, v34, v29
	v_mul_i32_i24_e32 v28, v51, v28
	;; [unrolled: 1-line block ×4, first 2 shown]
	v_mad_i32_i24 v27, v45, v56, v27
	v_bfe_i32 v61, v48, 8, 8
	v_bfe_i32 v62, v48, 0, 8
	v_mul_i32_i24_e32 v44, v54, v59
	v_mad_i32_i24 v28, v30, v58, v28
	v_mad_i32_i24 v29, v46, v57, v29
	v_add3_u32 v3, v34, v3, v27
	v_ashrrev_i32_e32 v60, 24, v48
	v_mul_i32_i24_e32 v27, v62, v52
	v_mad_i32_i24 v30, v61, v53, v44
	v_dot4_i32_iu8 v0, v47, v31, v0 neg_lo:[1,1,0]
	v_add3_u32 v3, v29, v28, v3
	v_dot4_i32_iu8 v1, v47, v32, v1 neg_lo:[1,1,0]
	v_dot4_i32_iu8 v2, v47, v33, v2 neg_lo:[1,1,0]
	v_mul_i32_i24_e32 v28, v38, v60
	v_dot4_i32_iu8 v0, v48, v35, v0 neg_lo:[1,1,0]
	v_add3_u32 v3, v3, v27, v30
	v_dot4_i32_iu8 v1, v36, v48, v1 neg_lo:[1,1,0]
	v_dot4_i32_iu8 v2, v37, v48, v2 neg_lo:[1,1,0]
	s_wait_loadcnt 0x0
	v_dot4_i32_iu8 v0, v43, v39, v0 neg_lo:[1,1,0]
	v_add3_u32 v3, v3, v4, v28
	v_dot4_i32_iu8 v1, v43, v40, v1 neg_lo:[1,1,0]
	v_dot4_i32_iu8 v2, v43, v41, v2 neg_lo:[1,1,0]
	s_delay_alu instid0(VALU_DEP_3)
	v_dot4_i32_iu8 v4, v43, v42, v3 neg_lo:[1,1,0]
	s_wait_alu 0xfffe
	s_and_not1_b32 exec_lo, exec_lo, s7
	s_cbranch_execnz .LBB72_23
; %bb.24:
	s_or_b32 exec_lo, exec_lo, s7
	v_mov_b32_e32 v3, v4
.LBB72_25:
	s_wait_alu 0xfffe
	s_or_b32 exec_lo, exec_lo, s3
	v_dual_mov_b32 v23, 0 :: v_dual_and_b32 v22, 3, v7
	s_mov_b32 s3, exec_lo
	s_delay_alu instid0(VALU_DEP_1)
	v_cmpx_ne_u64_e32 0, v[22:23]
	s_cbranch_execz .LBB72_29
; %bb.26:
	v_lshlrev_b64_e32 v[20:21], 3, v[20:21]
	v_lshlrev_b32_e32 v22, 1, v22
	s_mov_b32 s7, 0
	s_delay_alu instid0(VALU_DEP_2) | instskip(SKIP_1) | instid1(VALU_DEP_3)
	v_add_co_u32 v20, vcc_lo, s8, v20
	s_wait_alu 0xfffd
	v_add_co_ci_u32_e64 v21, null, s9, v21, vcc_lo
.LBB72_27:                              ; =>This Inner Loop Header: Depth=1
	global_load_b64 v[24:25], v[20:21], off
	s_wait_loadcnt 0x0
	v_sub_co_u32 v24, vcc_lo, v24, v10
	s_wait_alu 0xfffd
	v_sub_co_ci_u32_e64 v25, null, v25, v11, vcc_lo
	s_delay_alu instid0(VALU_DEP_1) | instskip(SKIP_1) | instid1(VALU_DEP_1)
	v_lshlrev_b64_e32 v[24:25], 2, v[24:25]
	s_wait_kmcnt 0x0
	v_add_co_u32 v24, vcc_lo, s4, v24
	s_wait_alu 0xfffd
	s_delay_alu instid0(VALU_DEP_2)
	v_add_co_ci_u32_e64 v25, null, s5, v25, vcc_lo
	global_load_b128 v[27:30], v[5:6], off
	global_load_b32 v4, v[24:25], off
	v_add_co_u32 v5, vcc_lo, 0x100, v5
	s_wait_alu 0xfffd
	v_add_co_ci_u32_e64 v6, null, 0, v6, vcc_lo
	v_add_co_u32 v22, vcc_lo, v22, -2
	s_wait_alu 0xfffd
	v_add_co_ci_u32_e64 v23, null, -1, v23, vcc_lo
	v_add_co_u32 v20, vcc_lo, 0x80, v20
	s_wait_alu 0xfffd
	v_add_co_ci_u32_e64 v21, null, 0, v21, vcc_lo
	s_delay_alu instid0(VALU_DEP_3)
	v_cmp_eq_u64_e32 vcc_lo, 0, v[22:23]
	s_wait_alu 0xfffe
	s_or_b32 s7, vcc_lo, s7
	s_wait_loadcnt 0x0
	v_dot4_i32_iu8 v3, v4, v30, v3 neg_lo:[1,1,0]
	v_dot4_i32_iu8 v2, v4, v29, v2 neg_lo:[1,1,0]
	;; [unrolled: 1-line block ×4, first 2 shown]
	s_wait_alu 0xfffe
	s_and_not1_b32 exec_lo, exec_lo, s7
	s_cbranch_execnz .LBB72_27
; %bb.28:
	s_or_b32 exec_lo, exec_lo, s7
	v_mov_b32_e32 v4, v3
.LBB72_29:
	s_wait_alu 0xfffe
	s_or_b32 exec_lo, exec_lo, s3
.LBB72_30:
	s_wait_alu 0xfffe
	s_or_b32 exec_lo, exec_lo, s6
	s_cbranch_execz .LBB72_32
	s_branch .LBB72_43
.LBB72_31:
                                        ; implicit-def: $vgpr4
                                        ; implicit-def: $vgpr2
.LBB72_32:
	v_dual_mov_b32 v4, 0 :: v_dual_mov_b32 v1, 0
	v_mov_b32_e32 v2, 0
	v_mov_b32_e32 v0, 0
	s_and_saveexec_b32 s3, s2
	s_cbranch_execz .LBB72_42
; %bb.33:
	v_or_b32_e32 v0, 16, v26
	v_not_b32_e32 v3, v16
	v_sub_co_u32 v4, s2, v10, v26
	v_not_b32_e32 v2, v17
	s_delay_alu instid0(VALU_DEP_4)
	v_sub_co_u32 v0, vcc_lo, v0, v10
	s_wait_alu 0xfffd
	v_sub_co_ci_u32_e64 v1, null, 0, v11, vcc_lo
	s_wait_alu 0xf1ff
	v_subrev_co_ci_u32_e64 v5, null, 0, v11, s2
	v_add_co_u32 v0, vcc_lo, v0, v16
	s_wait_alu 0xfffd
	v_add_co_ci_u32_e64 v1, null, v1, v17, vcc_lo
	s_mov_b32 s6, 0
	v_cmp_gt_i64_e32 vcc_lo, v[0:1], v[18:19]
	s_wait_alu 0xfffd
	v_dual_cndmask_b32 v1, v19, v1 :: v_dual_cndmask_b32 v0, v18, v0
	v_add_co_u32 v3, vcc_lo, v4, v3
	s_wait_alu 0xfffd
	v_add_co_ci_u32_e64 v2, null, v5, v2, vcc_lo
	v_mov_b32_e32 v4, 0
	s_delay_alu instid0(VALU_DEP_3) | instskip(SKIP_1) | instid1(VALU_DEP_3)
	v_add_co_u32 v0, vcc_lo, v3, v0
	s_wait_alu 0xfffd
	v_add_co_ci_u32_e64 v1, null, v2, v1, vcc_lo
	s_delay_alu instid0(VALU_DEP_3) | instskip(SKIP_1) | instid1(VALU_DEP_3)
	v_dual_mov_b32 v5, v4 :: v_dual_mov_b32 v6, v4
	v_mov_b32_e32 v7, v4
	v_lshrrev_b64 v[2:3], 4, v[0:1]
	v_cmp_lt_u64_e32 vcc_lo, 47, v[0:1]
	s_delay_alu instid0(VALU_DEP_2) | instskip(SKIP_1) | instid1(VALU_DEP_3)
	v_add_co_u32 v18, s2, v2, 1
	s_wait_alu 0xf1ff
	v_add_co_ci_u32_e64 v17, null, 0, v3, s2
	v_dual_mov_b32 v0, v4 :: v_dual_mov_b32 v1, v5
	v_dual_mov_b32 v2, v6 :: v_dual_mov_b32 v3, v7
	s_and_saveexec_b32 s2, vcc_lo
	s_cbranch_execz .LBB72_37
; %bb.34:
	v_lshlrev_b64_e32 v[0:1], 3, v[14:15]
	v_and_b32_e32 v16, -4, v18
	v_mov_b32_e32 v2, 0
	s_delay_alu instid0(VALU_DEP_3) | instskip(SKIP_1) | instid1(VALU_DEP_4)
	v_add_co_u32 v0, vcc_lo, s8, v0
	s_wait_alu 0xfffd
	v_add_co_ci_u32_e64 v3, null, s9, v1, vcc_lo
	v_mov_b32_e32 v1, 0
	s_delay_alu instid0(VALU_DEP_3) | instskip(SKIP_1) | instid1(VALU_DEP_3)
	v_add_co_u32 v5, vcc_lo, 0x100, v0
	s_wait_alu 0xfffd
	v_add_co_ci_u32_e64 v6, null, 0, v3, vcc_lo
	v_mov_b32_e32 v0, 0
.LBB72_35:                              ; =>This Inner Loop Header: Depth=1
	s_clause 0x3
	global_load_b64 v[23:24], v[5:6], off offset:-256
	global_load_b64 v[39:40], v[5:6], off offset:-128
	global_load_b64 v[41:42], v[5:6], off
	global_load_b64 v[43:44], v[5:6], off offset:128
	s_clause 0x3
	global_load_b128 v[19:22], v[12:13], off
	global_load_b128 v[27:30], v[12:13], off offset:256
	global_load_b128 v[31:34], v[12:13], off offset:512
	global_load_b128 v[35:38], v[12:13], off offset:768
	s_wait_loadcnt 0x7
	v_sub_co_u32 v23, vcc_lo, v23, v10
	s_wait_alu 0xfffd
	v_sub_co_ci_u32_e64 v24, null, v24, v11, vcc_lo
	s_wait_loadcnt 0x6
	v_sub_co_u32 v39, vcc_lo, v39, v10
	s_wait_alu 0xfffd
	v_sub_co_ci_u32_e64 v40, null, v40, v11, vcc_lo
	;; [unrolled: 4-line block ×3, first 2 shown]
	v_lshlrev_b64_e32 v[23:24], 2, v[23:24]
	v_lshlrev_b64_e32 v[39:40], 2, v[39:40]
	s_wait_loadcnt 0x2
	v_perm_b32 v45, v27, v22, 0xc0c0501
	v_lshlrev_b64_e32 v[41:42], 2, v[41:42]
	v_perm_b32 v46, v29, v28, 0x5010c0c
	v_perm_b32 v47, v27, v22, 0xc0c0602
	s_wait_kmcnt 0x0
	v_add_co_u32 v23, vcc_lo, s4, v23
	s_wait_alu 0xfffd
	v_add_co_ci_u32_e64 v24, null, s5, v24, vcc_lo
	v_add_co_u32 v39, vcc_lo, s4, v39
	s_wait_alu 0xfffd
	v_add_co_ci_u32_e64 v40, null, s5, v40, vcc_lo
	;; [unrolled: 3-line block ×3, first 2 shown]
	s_clause 0x2
	global_load_b32 v3, v[23:24], off
	global_load_b32 v7, v[39:40], off
	;; [unrolled: 1-line block ×3, first 2 shown]
	v_sub_co_u32 v23, vcc_lo, v43, v10
	s_wait_alu 0xfffd
	v_sub_co_ci_u32_e64 v24, null, v44, v11, vcc_lo
	v_perm_b32 v40, v21, v20, 0xc05010c
	v_perm_b32 v42, v21, v20, 0xc06020c
	;; [unrolled: 1-line block ×3, first 2 shown]
	s_delay_alu instid0(VALU_DEP_4)
	v_lshlrev_b64_e32 v[23:24], 2, v[23:24]
	v_perm_b32 v48, v29, v28, 0x6020c0c
	s_wait_loadcnt 0x4
	v_perm_b32 v50, v31, v30, 0xc0c0501
	v_perm_b32 v52, v31, v30, 0xc0c0602
	v_perm_b32 v39, v19, v19, 0xc0c0c00
	v_perm_b32 v41, v19, v19, 0xc0c0c01
	v_add_co_u32 v23, vcc_lo, s4, v23
	s_wait_alu 0xfffd
	v_add_co_ci_u32_e64 v24, null, s5, v24, vcc_lo
	v_perm_b32 v43, v19, v19, 0xc0c0c02
	v_perm_b32 v19, v19, v19, 0xc0c0c03
	v_perm_b32 v49, v33, v32, 0x4000c0c
	global_load_b32 v23, v[23:24], off
	v_perm_b32 v24, v21, v20, 0xc04000c
	v_perm_b32 v20, v21, v20, 0xc07030c
	;; [unrolled: 1-line block ×5, first 2 shown]
	v_lshrrev_b32_e32 v28, 16, v34
	v_perm_b32 v29, v31, v30, 0xc0c0400
	v_perm_b32 v30, v31, v30, 0xc0c0703
	;; [unrolled: 1-line block ×5, first 2 shown]
	v_ashrrev_i16 v32, 8, v34
	v_bfe_i32 v33, v34, 0, 8
	v_or_b32_e32 v30, v31, v30
	v_ashrrev_i16 v31, 8, v28
	v_bfe_i32 v28, v28, 0, 8
	s_wait_loadcnt 0x4
	v_perm_b32 v34, v36, v35, 0xc0c0703
	v_perm_b32 v54, v38, v37, 0x7030c0c
	;; [unrolled: 1-line block ×8, first 2 shown]
	v_or_b32_e32 v24, v24, v39
	v_or_b32_e32 v37, v40, v41
	v_or_b32_e32 v38, v42, v43
	v_or_b32_e32 v19, v20, v19
	v_perm_b32 v28, v31, v28, 0x5040100
	v_or_b32_e32 v20, v44, v21
	v_or_b32_e32 v21, v46, v45
	;; [unrolled: 1-line block ×4, first 2 shown]
	v_perm_b32 v32, v32, v33, 0x5040100
	v_or_b32_e32 v27, v49, v29
	v_or_b32_e32 v29, v51, v50
	v_or_b32_e32 v40, v53, v52
	v_add_co_u32 v12, vcc_lo, 0x400, v12
	s_wait_alu 0xfffd
	v_add_co_ci_u32_e64 v13, null, 0, v13, vcc_lo
	v_add_co_u32 v14, vcc_lo, v14, 64
	s_wait_alu 0xfffd
	v_add_co_ci_u32_e64 v15, null, 0, v15, vcc_lo
	v_add_co_u32 v16, vcc_lo, v16, -4
	s_wait_alu 0xfffd
	v_add_co_ci_u32_e64 v17, null, -1, v17, vcc_lo
	v_add_co_u32 v5, vcc_lo, 0x200, v5
	v_or_b32_e32 v33, v54, v34
	v_or_b32_e32 v34, v56, v55
	;; [unrolled: 1-line block ×3, first 2 shown]
	s_wait_alu 0xfffd
	v_add_co_ci_u32_e64 v6, null, 0, v6, vcc_lo
	v_cmp_eq_u64_e32 vcc_lo, 0, v[16:17]
	s_wait_alu 0xfffe
	s_or_b32 s6, vcc_lo, s6
	s_wait_loadcnt 0x3
	v_perm_b32 v31, v3, v3, 0xc020100
	s_wait_loadcnt 0x2
	v_perm_b32 v3, v7, v3, 0x6050403
	s_wait_loadcnt 0x1
	v_lshrrev_b32_e32 v42, 24, v25
	v_perm_b32 v7, v25, v7, 0x6050403
	v_dot4_i32_iu8 v0, v31, v24, v0 neg_lo:[1,1,0]
	v_dot4_i32_iu8 v1, v37, v31, v1 neg_lo:[1,1,0]
	;; [unrolled: 1-line block ×4, first 2 shown]
	v_bfe_i32 v19, v42, 0, 8
	v_dot4_i32_iu8 v0, v3, v20, v0 neg_lo:[1,1,0]
	v_dot4_i32_iu8 v1, v21, v3, v1 neg_lo:[1,1,0]
	;; [unrolled: 1-line block ×4, first 2 shown]
	v_pk_mul_lo_u16 v4, v19, v32 op_sel_hi:[0,1]
	v_pk_mul_lo_u16 v19, v19, v28 op_sel_hi:[0,1]
	v_dot4_i32_iu8 v0, v7, v27, v0 neg_lo:[1,1,0]
	v_dot4_i32_iu8 v1, v29, v7, v1 neg_lo:[1,1,0]
	v_dot4_i32_iu8 v2, v40, v7, v2 neg_lo:[1,1,0]
	v_dot4_i32_iu8 v3, v30, v7, v3 neg_lo:[1,1,0]
	v_ashrrev_i32_e32 v7, 16, v19
	v_bfe_i32 v19, v19, 0, 16
	v_ashrrev_i32_e32 v20, 16, v4
	v_bfe_i32 v4, v4, 0, 16
	v_or_b32_e32 v21, v36, v35
	v_add_nc_u32_e32 v3, v3, v7
	v_add_nc_u32_e32 v2, v2, v19
	;; [unrolled: 1-line block ×4, first 2 shown]
	s_wait_loadcnt 0x0
	v_dot4_i32_iu8 v4, v23, v33, v3 neg_lo:[1,1,0]
	v_dot4_i32_iu8 v2, v23, v34, v2 neg_lo:[1,1,0]
	;; [unrolled: 1-line block ×4, first 2 shown]
	s_wait_alu 0xfffe
	s_and_not1_b32 exec_lo, exec_lo, s6
	s_cbranch_execnz .LBB72_35
; %bb.36:
	s_or_b32 exec_lo, exec_lo, s6
	v_mov_b32_e32 v3, v4
.LBB72_37:
	s_wait_alu 0xfffe
	s_or_b32 exec_lo, exec_lo, s2
	v_dual_mov_b32 v6, 0 :: v_dual_and_b32 v5, 3, v18
	s_mov_b32 s2, exec_lo
	s_delay_alu instid0(VALU_DEP_1)
	v_cmpx_ne_u64_e32 0, v[5:6]
	s_cbranch_execz .LBB72_41
; %bb.38:
	v_lshlrev_b64_e32 v[14:15], 3, v[14:15]
	v_lshlrev_b32_e32 v5, 1, v5
	s_mov_b32 s6, 0
	s_delay_alu instid0(VALU_DEP_2) | instskip(SKIP_1) | instid1(VALU_DEP_3)
	v_add_co_u32 v14, vcc_lo, s8, v14
	s_wait_alu 0xfffd
	v_add_co_ci_u32_e64 v15, null, s9, v15, vcc_lo
.LBB72_39:                              ; =>This Inner Loop Header: Depth=1
	global_load_b64 v[20:21], v[14:15], off
	global_load_b128 v[16:19], v[12:13], off
	s_wait_loadcnt 0x1
	v_sub_co_u32 v20, vcc_lo, v20, v10
	s_wait_alu 0xfffd
	v_sub_co_ci_u32_e64 v21, null, v21, v11, vcc_lo
	s_wait_loadcnt 0x0
	v_perm_b32 v7, v17, v16, 0xc0c0703
	v_perm_b32 v22, v19, v18, 0x6020c0c
	;; [unrolled: 1-line block ×3, first 2 shown]
	v_lshlrev_b64_e32 v[20:21], 2, v[20:21]
	v_perm_b32 v24, v19, v18, 0x5010c0c
	s_wait_kmcnt 0x0
	s_delay_alu instid0(VALU_DEP_2) | instskip(SKIP_1) | instid1(VALU_DEP_3)
	v_add_co_u32 v20, vcc_lo, s4, v20
	s_wait_alu 0xfffd
	v_add_co_ci_u32_e64 v21, null, s5, v21, vcc_lo
	v_add_co_u32 v12, vcc_lo, 0x100, v12
	s_wait_alu 0xfffd
	v_add_co_ci_u32_e64 v13, null, 0, v13, vcc_lo
	global_load_b32 v4, v[20:21], off
	v_add_co_u32 v14, vcc_lo, 0x80, v14
	s_wait_alu 0xfffd
	v_add_co_ci_u32_e64 v15, null, 0, v15, vcc_lo
	v_add_co_u32 v5, vcc_lo, v5, -2
	v_perm_b32 v20, v19, v18, 0x7030c0c
	v_perm_b32 v21, v17, v16, 0xc0c0602
	v_perm_b32 v16, v17, v16, 0xc0c0400
	v_perm_b32 v17, v19, v18, 0x4000c0c
	s_wait_alu 0xfffd
	v_add_co_ci_u32_e64 v6, null, -1, v6, vcc_lo
	v_or_b32_e32 v7, v20, v7
	v_or_b32_e32 v18, v22, v21
	v_or_b32_e32 v19, v24, v23
	v_or_b32_e32 v16, v17, v16
	v_cmp_eq_u64_e32 vcc_lo, 0, v[5:6]
	s_wait_alu 0xfffe
	s_or_b32 s6, vcc_lo, s6
	s_wait_loadcnt 0x0
	v_dot4_i32_iu8 v3, v4, v7, v3 neg_lo:[1,1,0]
	v_dot4_i32_iu8 v2, v4, v18, v2 neg_lo:[1,1,0]
	;; [unrolled: 1-line block ×4, first 2 shown]
	s_wait_alu 0xfffe
	s_and_not1_b32 exec_lo, exec_lo, s6
	s_cbranch_execnz .LBB72_39
; %bb.40:
	s_or_b32 exec_lo, exec_lo, s6
	v_mov_b32_e32 v4, v3
.LBB72_41:
	s_wait_alu 0xfffe
	s_or_b32 exec_lo, exec_lo, s2
.LBB72_42:
	s_wait_alu 0xfffe
	s_or_b32 exec_lo, exec_lo, s3
.LBB72_43:
	v_mbcnt_lo_u32_b32 v3, -1, 0
	s_mov_b32 s2, -1
	s_delay_alu instid0(VALU_DEP_1) | instskip(SKIP_1) | instid1(VALU_DEP_2)
	v_xor_b32_e32 v5, 8, v3
	v_xor_b32_e32 v11, 4, v3
	v_cmp_gt_i32_e32 vcc_lo, 32, v5
	s_wait_alu 0xfffd
	v_cndmask_b32_e32 v5, v3, v5, vcc_lo
	s_delay_alu instid0(VALU_DEP_3) | instskip(NEXT) | instid1(VALU_DEP_2)
	v_cmp_gt_i32_e32 vcc_lo, 32, v11
	v_lshlrev_b32_e32 v5, 2, v5
	ds_bpermute_b32 v6, v5, v0
	ds_bpermute_b32 v7, v5, v1
	;; [unrolled: 1-line block ×4, first 2 shown]
	s_wait_dscnt 0x3
	s_wait_alu 0xfffd
	v_dual_cndmask_b32 v11, v3, v11 :: v_dual_add_nc_u32 v0, v6, v0
	s_wait_dscnt 0x2
	v_add_nc_u32_e32 v1, v7, v1
	s_wait_dscnt 0x1
	v_add_nc_u32_e32 v2, v10, v2
	v_lshlrev_b32_e32 v11, 2, v11
	s_wait_dscnt 0x0
	v_add_nc_u32_e32 v4, v5, v4
	ds_bpermute_b32 v5, v11, v0
	ds_bpermute_b32 v6, v11, v1
	;; [unrolled: 1-line block ×4, first 2 shown]
	v_xor_b32_e32 v11, 2, v3
	s_delay_alu instid0(VALU_DEP_1) | instskip(SKIP_2) | instid1(VALU_DEP_1)
	v_cmp_gt_i32_e32 vcc_lo, 32, v11
	s_wait_alu 0xfffd
	v_cndmask_b32_e32 v11, v3, v11, vcc_lo
	v_lshlrev_b32_e32 v11, 2, v11
	s_wait_dscnt 0x3
	v_add_nc_u32_e32 v0, v5, v0
	s_wait_dscnt 0x2
	v_add_nc_u32_e32 v1, v6, v1
	;; [unrolled: 2-line block ×4, first 2 shown]
	ds_bpermute_b32 v5, v11, v0
	ds_bpermute_b32 v6, v11, v1
	;; [unrolled: 1-line block ×4, first 2 shown]
	v_xor_b32_e32 v11, 1, v3
	s_delay_alu instid0(VALU_DEP_1) | instskip(SKIP_3) | instid1(VALU_DEP_2)
	v_cmp_gt_i32_e32 vcc_lo, 32, v11
	s_wait_alu 0xfffd
	v_cndmask_b32_e32 v3, v3, v11, vcc_lo
	v_cmp_eq_u32_e32 vcc_lo, 15, v26
	v_lshlrev_b32_e32 v11, 2, v3
	s_wait_dscnt 0x3
	v_add_nc_u32_e32 v0, v5, v0
	s_wait_dscnt 0x2
	v_add_nc_u32_e32 v1, v6, v1
	;; [unrolled: 2-line block ×4, first 2 shown]
	ds_bpermute_b32 v4, v11, v0
	ds_bpermute_b32 v5, v11, v1
	;; [unrolled: 1-line block ×4, first 2 shown]
	s_and_b32 exec_lo, exec_lo, vcc_lo
	s_cbranch_execz .LBB72_14
; %bb.44:
	s_load_b64 s[0:1], s[0:1], 0x58
	s_wait_dscnt 0x3
	v_add_nc_u32_e32 v0, v4, v0
	s_wait_dscnt 0x2
	v_add_nc_u32_e32 v1, v5, v1
	;; [unrolled: 2-line block ×4, first 2 shown]
	v_lshlrev_b64_e32 v[4:5], 4, v[8:9]
	v_mul_lo_u32 v0, v0, s12
	v_mul_lo_u32 v1, v1, s12
	v_mul_lo_u32 v2, v2, s12
	v_mul_lo_u32 v3, v3, s12
	s_cmp_eq_u32 s13, 0
	s_cbranch_scc1 .LBB72_46
; %bb.45:
	s_wait_kmcnt 0x0
	v_add_co_u32 v13, vcc_lo, s0, v4
	s_wait_alu 0xfffd
	v_add_co_ci_u32_e64 v14, null, s1, v5, vcc_lo
	s_mov_b32 s2, 0
	global_load_b128 v[6:9], v[13:14], off
	s_wait_loadcnt 0x0
	v_mad_co_u64_u32 v[15:16], null, v9, s13, v[3:4]
	v_mad_co_u64_u32 v[9:10], null, v6, s13, v[0:1]
	;; [unrolled: 1-line block ×4, first 2 shown]
	s_delay_alu instid0(VALU_DEP_4)
	v_mov_b32_e32 v12, v15
	global_store_b128 v[13:14], v[9:12], off
.LBB72_46:
	s_wait_alu 0xfffe
	s_and_not1_b32 vcc_lo, exec_lo, s2
	s_wait_alu 0xfffe
	s_cbranch_vccnz .LBB72_14
; %bb.47:
	s_wait_kmcnt 0x0
	v_add_co_u32 v4, vcc_lo, s0, v4
	s_wait_alu 0xfffd
	v_add_co_ci_u32_e64 v5, null, s1, v5, vcc_lo
	global_store_b128 v[4:5], v[0:3], off
	s_endpgm
	.section	.rodata,"a",@progbits
	.p2align	6, 0x0
	.amdhsa_kernel _ZN9rocsparseL18bsrxmvn_4x4_kernelILj128ELj16EillaaiEEvT3_20rocsparse_direction_NS_24const_host_device_scalarIT1_EES1_PKS1_PKT2_SA_S7_PKT4_PKT5_S5_PT6_21rocsparse_index_base_b
		.amdhsa_group_segment_fixed_size 0
		.amdhsa_private_segment_fixed_size 0
		.amdhsa_kernarg_size 104
		.amdhsa_user_sgpr_count 2
		.amdhsa_user_sgpr_dispatch_ptr 0
		.amdhsa_user_sgpr_queue_ptr 0
		.amdhsa_user_sgpr_kernarg_segment_ptr 1
		.amdhsa_user_sgpr_dispatch_id 0
		.amdhsa_user_sgpr_private_segment_size 0
		.amdhsa_wavefront_size32 1
		.amdhsa_uses_dynamic_stack 0
		.amdhsa_enable_private_segment 0
		.amdhsa_system_sgpr_workgroup_id_x 1
		.amdhsa_system_sgpr_workgroup_id_y 0
		.amdhsa_system_sgpr_workgroup_id_z 0
		.amdhsa_system_sgpr_workgroup_info 0
		.amdhsa_system_vgpr_workitem_id 0
		.amdhsa_next_free_vgpr 63
		.amdhsa_next_free_sgpr 14
		.amdhsa_reserve_vcc 1
		.amdhsa_float_round_mode_32 0
		.amdhsa_float_round_mode_16_64 0
		.amdhsa_float_denorm_mode_32 3
		.amdhsa_float_denorm_mode_16_64 3
		.amdhsa_fp16_overflow 0
		.amdhsa_workgroup_processor_mode 1
		.amdhsa_memory_ordered 1
		.amdhsa_forward_progress 1
		.amdhsa_inst_pref_size 38
		.amdhsa_round_robin_scheduling 0
		.amdhsa_exception_fp_ieee_invalid_op 0
		.amdhsa_exception_fp_denorm_src 0
		.amdhsa_exception_fp_ieee_div_zero 0
		.amdhsa_exception_fp_ieee_overflow 0
		.amdhsa_exception_fp_ieee_underflow 0
		.amdhsa_exception_fp_ieee_inexact 0
		.amdhsa_exception_int_div_zero 0
	.end_amdhsa_kernel
	.section	.text._ZN9rocsparseL18bsrxmvn_4x4_kernelILj128ELj16EillaaiEEvT3_20rocsparse_direction_NS_24const_host_device_scalarIT1_EES1_PKS1_PKT2_SA_S7_PKT4_PKT5_S5_PT6_21rocsparse_index_base_b,"axG",@progbits,_ZN9rocsparseL18bsrxmvn_4x4_kernelILj128ELj16EillaaiEEvT3_20rocsparse_direction_NS_24const_host_device_scalarIT1_EES1_PKS1_PKT2_SA_S7_PKT4_PKT5_S5_PT6_21rocsparse_index_base_b,comdat
.Lfunc_end72:
	.size	_ZN9rocsparseL18bsrxmvn_4x4_kernelILj128ELj16EillaaiEEvT3_20rocsparse_direction_NS_24const_host_device_scalarIT1_EES1_PKS1_PKT2_SA_S7_PKT4_PKT5_S5_PT6_21rocsparse_index_base_b, .Lfunc_end72-_ZN9rocsparseL18bsrxmvn_4x4_kernelILj128ELj16EillaaiEEvT3_20rocsparse_direction_NS_24const_host_device_scalarIT1_EES1_PKS1_PKT2_SA_S7_PKT4_PKT5_S5_PT6_21rocsparse_index_base_b
                                        ; -- End function
	.set _ZN9rocsparseL18bsrxmvn_4x4_kernelILj128ELj16EillaaiEEvT3_20rocsparse_direction_NS_24const_host_device_scalarIT1_EES1_PKS1_PKT2_SA_S7_PKT4_PKT5_S5_PT6_21rocsparse_index_base_b.num_vgpr, 63
	.set _ZN9rocsparseL18bsrxmvn_4x4_kernelILj128ELj16EillaaiEEvT3_20rocsparse_direction_NS_24const_host_device_scalarIT1_EES1_PKS1_PKT2_SA_S7_PKT4_PKT5_S5_PT6_21rocsparse_index_base_b.num_agpr, 0
	.set _ZN9rocsparseL18bsrxmvn_4x4_kernelILj128ELj16EillaaiEEvT3_20rocsparse_direction_NS_24const_host_device_scalarIT1_EES1_PKS1_PKT2_SA_S7_PKT4_PKT5_S5_PT6_21rocsparse_index_base_b.numbered_sgpr, 14
	.set _ZN9rocsparseL18bsrxmvn_4x4_kernelILj128ELj16EillaaiEEvT3_20rocsparse_direction_NS_24const_host_device_scalarIT1_EES1_PKS1_PKT2_SA_S7_PKT4_PKT5_S5_PT6_21rocsparse_index_base_b.num_named_barrier, 0
	.set _ZN9rocsparseL18bsrxmvn_4x4_kernelILj128ELj16EillaaiEEvT3_20rocsparse_direction_NS_24const_host_device_scalarIT1_EES1_PKS1_PKT2_SA_S7_PKT4_PKT5_S5_PT6_21rocsparse_index_base_b.private_seg_size, 0
	.set _ZN9rocsparseL18bsrxmvn_4x4_kernelILj128ELj16EillaaiEEvT3_20rocsparse_direction_NS_24const_host_device_scalarIT1_EES1_PKS1_PKT2_SA_S7_PKT4_PKT5_S5_PT6_21rocsparse_index_base_b.uses_vcc, 1
	.set _ZN9rocsparseL18bsrxmvn_4x4_kernelILj128ELj16EillaaiEEvT3_20rocsparse_direction_NS_24const_host_device_scalarIT1_EES1_PKS1_PKT2_SA_S7_PKT4_PKT5_S5_PT6_21rocsparse_index_base_b.uses_flat_scratch, 0
	.set _ZN9rocsparseL18bsrxmvn_4x4_kernelILj128ELj16EillaaiEEvT3_20rocsparse_direction_NS_24const_host_device_scalarIT1_EES1_PKS1_PKT2_SA_S7_PKT4_PKT5_S5_PT6_21rocsparse_index_base_b.has_dyn_sized_stack, 0
	.set _ZN9rocsparseL18bsrxmvn_4x4_kernelILj128ELj16EillaaiEEvT3_20rocsparse_direction_NS_24const_host_device_scalarIT1_EES1_PKS1_PKT2_SA_S7_PKT4_PKT5_S5_PT6_21rocsparse_index_base_b.has_recursion, 0
	.set _ZN9rocsparseL18bsrxmvn_4x4_kernelILj128ELj16EillaaiEEvT3_20rocsparse_direction_NS_24const_host_device_scalarIT1_EES1_PKS1_PKT2_SA_S7_PKT4_PKT5_S5_PT6_21rocsparse_index_base_b.has_indirect_call, 0
	.section	.AMDGPU.csdata,"",@progbits
; Kernel info:
; codeLenInByte = 4828
; TotalNumSgprs: 16
; NumVgprs: 63
; ScratchSize: 0
; MemoryBound: 0
; FloatMode: 240
; IeeeMode: 1
; LDSByteSize: 0 bytes/workgroup (compile time only)
; SGPRBlocks: 0
; VGPRBlocks: 7
; NumSGPRsForWavesPerEU: 16
; NumVGPRsForWavesPerEU: 63
; Occupancy: 16
; WaveLimiterHint : 1
; COMPUTE_PGM_RSRC2:SCRATCH_EN: 0
; COMPUTE_PGM_RSRC2:USER_SGPR: 2
; COMPUTE_PGM_RSRC2:TRAP_HANDLER: 0
; COMPUTE_PGM_RSRC2:TGID_X_EN: 1
; COMPUTE_PGM_RSRC2:TGID_Y_EN: 0
; COMPUTE_PGM_RSRC2:TGID_Z_EN: 0
; COMPUTE_PGM_RSRC2:TIDIG_COMP_CNT: 0
	.section	.text._ZN9rocsparseL18bsrxmvn_4x4_kernelILj128ELj32EillaaiEEvT3_20rocsparse_direction_NS_24const_host_device_scalarIT1_EES1_PKS1_PKT2_SA_S7_PKT4_PKT5_S5_PT6_21rocsparse_index_base_b,"axG",@progbits,_ZN9rocsparseL18bsrxmvn_4x4_kernelILj128ELj32EillaaiEEvT3_20rocsparse_direction_NS_24const_host_device_scalarIT1_EES1_PKS1_PKT2_SA_S7_PKT4_PKT5_S5_PT6_21rocsparse_index_base_b,comdat
	.globl	_ZN9rocsparseL18bsrxmvn_4x4_kernelILj128ELj32EillaaiEEvT3_20rocsparse_direction_NS_24const_host_device_scalarIT1_EES1_PKS1_PKT2_SA_S7_PKT4_PKT5_S5_PT6_21rocsparse_index_base_b ; -- Begin function _ZN9rocsparseL18bsrxmvn_4x4_kernelILj128ELj32EillaaiEEvT3_20rocsparse_direction_NS_24const_host_device_scalarIT1_EES1_PKS1_PKT2_SA_S7_PKT4_PKT5_S5_PT6_21rocsparse_index_base_b
	.p2align	8
	.type	_ZN9rocsparseL18bsrxmvn_4x4_kernelILj128ELj32EillaaiEEvT3_20rocsparse_direction_NS_24const_host_device_scalarIT1_EES1_PKS1_PKT2_SA_S7_PKT4_PKT5_S5_PT6_21rocsparse_index_base_b,@function
_ZN9rocsparseL18bsrxmvn_4x4_kernelILj128ELj32EillaaiEEvT3_20rocsparse_direction_NS_24const_host_device_scalarIT1_EES1_PKS1_PKT2_SA_S7_PKT4_PKT5_S5_PT6_21rocsparse_index_base_b: ; @_ZN9rocsparseL18bsrxmvn_4x4_kernelILj128ELj32EillaaiEEvT3_20rocsparse_direction_NS_24const_host_device_scalarIT1_EES1_PKS1_PKT2_SA_S7_PKT4_PKT5_S5_PT6_21rocsparse_index_base_b
; %bb.0:
	s_clause 0x1
	s_load_b64 s[2:3], s[0:1], 0x60
	s_load_b128 s[4:7], s[0:1], 0x10
	s_mov_b32 s10, -1
                                        ; implicit-def: $sgpr12
	s_wait_kmcnt 0x0
	s_bitcmp1_b32 s3, 0
	s_cselect_b32 s3, -1, 0
	s_delay_alu instid0(SALU_CYCLE_1) | instskip(NEXT) | instid1(SALU_CYCLE_1)
	s_xor_b32 s3, s3, -1
	s_and_b32 vcc_lo, exec_lo, s3
	s_cbranch_vccnz .LBB73_4
; %bb.1:
	s_load_b64 s[8:9], s[0:1], 0x50
	s_and_not1_b32 vcc_lo, exec_lo, s10
	s_cbranch_vccz .LBB73_5
.LBB73_2:
	s_and_b32 vcc_lo, exec_lo, s3
	s_cbranch_vccz .LBB73_6
.LBB73_3:
	s_wait_kmcnt 0x0
	s_load_b32 s13, s[8:9], 0x0
	s_cbranch_execz .LBB73_7
	s_branch .LBB73_8
.LBB73_4:
	s_load_b32 s12, s[4:5], 0x0
	s_load_b64 s[8:9], s[0:1], 0x50
	s_cbranch_execnz .LBB73_2
.LBB73_5:
	s_wait_kmcnt 0x0
	s_mov_b32 s12, s4
	s_and_b32 vcc_lo, exec_lo, s3
	s_cbranch_vccnz .LBB73_3
.LBB73_6:
                                        ; implicit-def: $sgpr13
.LBB73_7:
	s_wait_kmcnt 0x0
	s_mov_b32 s13, s8
.LBB73_8:
	s_wait_kmcnt 0x0
	s_cmp_lg_u32 s12, 0
	s_mov_b32 s8, 0
	s_cselect_b32 s3, -1, 0
	s_cmp_lg_u32 s13, 1
	s_cselect_b32 s4, -1, 0
	s_delay_alu instid0(SALU_CYCLE_1) | instskip(NEXT) | instid1(SALU_CYCLE_1)
	s_or_b32 s3, s3, s4
	s_and_not1_b32 vcc_lo, exec_lo, s3
	s_cbranch_vccnz .LBB73_14
; %bb.9:
	s_load_b64 s[4:5], s[0:1], 0x20
	v_lshrrev_b32_e32 v1, 5, v0
	v_mov_b32_e32 v2, 0
	s_delay_alu instid0(VALU_DEP_2)
	v_lshl_or_b32 v1, ttmp9, 2, v1
	s_wait_kmcnt 0x0
	s_cmp_lg_u64 s[4:5], 0
	s_cbranch_scc0 .LBB73_15
; %bb.10:
	s_delay_alu instid0(VALU_DEP_1) | instskip(SKIP_2) | instid1(SALU_CYCLE_1)
	v_cmp_gt_i64_e32 vcc_lo, s[6:7], v[1:2]
	s_mov_b32 s6, 0
                                        ; implicit-def: $vgpr8_vgpr9
                                        ; implicit-def: $vgpr10_vgpr11
	s_and_saveexec_b32 s3, vcc_lo
	s_xor_b32 s7, exec_lo, s3
	s_cbranch_execz .LBB73_12
; %bb.11:
	v_lshlrev_b64_e32 v[3:4], 3, v[1:2]
	s_mov_b32 s3, 0
	s_mov_b32 s8, exec_lo
	v_dual_mov_b32 v11, s3 :: v_dual_mov_b32 v10, s2
	s_delay_alu instid0(VALU_DEP_2) | instskip(NEXT) | instid1(VALU_DEP_1)
	v_add_co_u32 v3, vcc_lo, s4, v3
	v_add_co_ci_u32_e64 v4, null, s5, v4, vcc_lo
	global_load_b64 v[3:4], v[3:4], off
	s_wait_loadcnt 0x0
	v_sub_co_u32 v8, vcc_lo, v3, s2
	s_wait_alu 0xfffd
	v_subrev_co_ci_u32_e64 v9, null, 0, v4, vcc_lo
.LBB73_12:
	s_wait_alu 0xfffe
	s_or_b32 exec_lo, exec_lo, s7
	s_delay_alu instid0(SALU_CYCLE_1)
	s_and_b32 vcc_lo, exec_lo, s6
	s_wait_alu 0xfffe
	s_cbranch_vccnz .LBB73_16
.LBB73_13:
	s_and_saveexec_b32 s2, s8
	s_cbranch_execnz .LBB73_19
.LBB73_14:
	s_endpgm
.LBB73_15:
                                        ; implicit-def: $vgpr8_vgpr9
                                        ; implicit-def: $vgpr10_vgpr11
	s_cbranch_execz .LBB73_13
.LBB73_16:
	s_load_b64 s[4:5], s[0:1], 0x0
	s_wait_kmcnt 0x0
	v_cmp_gt_i64_e32 vcc_lo, s[4:5], v[1:2]
	s_and_saveexec_b32 s4, vcc_lo
; %bb.17:
	s_mov_b32 s3, 0
	s_or_b32 s8, s8, exec_lo
; %bb.18:
	s_wait_alu 0xfffe
	s_or_b32 exec_lo, exec_lo, s4
	v_dual_mov_b32 v11, s3 :: v_dual_mov_b32 v10, s2
	v_dual_mov_b32 v9, v2 :: v_dual_mov_b32 v8, v1
	s_and_saveexec_b32 s2, s8
	s_cbranch_execz .LBB73_14
.LBB73_19:
	s_load_b256 s[4:11], s[0:1], 0x28
	s_delay_alu instid0(VALU_DEP_1) | instskip(SKIP_3) | instid1(VALU_DEP_2)
	v_lshlrev_b64_e32 v[1:2], 3, v[8:9]
	v_and_b32_e32 v26, 31, v0
	s_load_b32 s3, s[0:1], 0x8
	s_wait_kmcnt 0x0
	v_add_co_u32 v3, vcc_lo, s4, v1
	s_wait_alu 0xfffd
	v_add_co_ci_u32_e64 v4, null, s5, v2, vcc_lo
	v_add_co_u32 v1, vcc_lo, s6, v1
	s_wait_alu 0xfffd
	v_add_co_ci_u32_e64 v2, null, s7, v2, vcc_lo
	v_add_co_u32 v5, vcc_lo, v3, 8
	global_load_b64 v[16:17], v[3:4], off
	s_wait_alu 0xfffd
	v_add_co_ci_u32_e64 v6, null, 0, v4, vcc_lo
	s_cmp_eq_u64 s[6:7], 0
	s_load_b64 s[4:5], s[0:1], 0x48
	s_cselect_b32 vcc_lo, -1, 0
	v_mov_b32_e32 v4, 0
	s_wait_alu 0xfffe
	v_dual_cndmask_b32 v2, v2, v6 :: v_dual_cndmask_b32 v1, v1, v5
	s_cmp_eq_u32 s3, 1
	global_load_b64 v[1:2], v[1:2], off
	s_wait_loadcnt 0x1
	v_sub_co_u32 v0, vcc_lo, v16, v10
	s_wait_alu 0xfffd
	v_sub_co_ci_u32_e64 v3, null, v17, v11, vcc_lo
	s_delay_alu instid0(VALU_DEP_2) | instskip(SKIP_1) | instid1(VALU_DEP_2)
	v_add_co_u32 v14, vcc_lo, v0, v26
	s_wait_alu 0xfffd
	v_add_co_ci_u32_e64 v15, null, 0, v3, vcc_lo
	s_wait_loadcnt 0x0
	v_sub_co_u32 v18, vcc_lo, v1, v10
	s_delay_alu instid0(VALU_DEP_2) | instskip(SKIP_2) | instid1(VALU_DEP_2)
	v_lshlrev_b64_e32 v[0:1], 4, v[14:15]
	s_wait_alu 0xfffd
	v_sub_co_ci_u32_e64 v19, null, v2, v11, vcc_lo
	v_add_co_u32 v12, vcc_lo, s10, v0
	s_delay_alu instid0(VALU_DEP_2)
	v_cmp_lt_i64_e64 s2, v[14:15], v[18:19]
	s_wait_alu 0xfffd
	v_add_co_ci_u32_e64 v13, null, s11, v1, vcc_lo
	s_cbranch_scc1 .LBB73_31
; %bb.20:
	v_dual_mov_b32 v2, 0 :: v_dual_mov_b32 v1, 0
	v_mov_b32_e32 v0, 0
	s_and_saveexec_b32 s6, s2
	s_cbranch_execz .LBB73_30
; %bb.21:
	v_or_b32_e32 v0, 32, v26
	v_not_b32_e32 v3, v16
	v_sub_co_u32 v4, s3, v10, v26
	v_not_b32_e32 v2, v17
	s_delay_alu instid0(VALU_DEP_4)
	v_sub_co_u32 v0, vcc_lo, v0, v10
	s_wait_alu 0xfffd
	v_sub_co_ci_u32_e64 v1, null, 0, v11, vcc_lo
	s_wait_alu 0xf1ff
	v_subrev_co_ci_u32_e64 v5, null, 0, v11, s3
	v_add_co_u32 v0, vcc_lo, v0, v16
	s_wait_alu 0xfffd
	v_add_co_ci_u32_e64 v1, null, v1, v17, vcc_lo
	s_mov_b32 s7, 0
	v_dual_mov_b32 v21, v15 :: v_dual_mov_b32 v20, v14
	v_cmp_gt_i64_e32 vcc_lo, v[0:1], v[18:19]
	s_wait_alu 0xfffd
	v_dual_cndmask_b32 v1, v19, v1 :: v_dual_cndmask_b32 v0, v18, v0
	v_add_co_u32 v3, vcc_lo, v4, v3
	s_wait_alu 0xfffd
	v_add_co_ci_u32_e64 v2, null, v5, v2, vcc_lo
	v_mov_b32_e32 v4, 0
	s_delay_alu instid0(VALU_DEP_3) | instskip(SKIP_1) | instid1(VALU_DEP_3)
	v_add_co_u32 v22, vcc_lo, v3, v0
	s_wait_alu 0xfffd
	v_add_co_ci_u32_e64 v23, null, v2, v1, vcc_lo
	s_delay_alu instid0(VALU_DEP_3) | instskip(SKIP_1) | instid1(VALU_DEP_3)
	v_dual_mov_b32 v5, v4 :: v_dual_mov_b32 v6, v4
	v_mov_b32_e32 v7, v4
	v_lshrrev_b64 v[24:25], 5, v[22:23]
	s_delay_alu instid0(VALU_DEP_3) | instskip(NEXT) | instid1(VALU_DEP_3)
	v_dual_mov_b32 v0, v4 :: v_dual_mov_b32 v1, v5
	v_dual_mov_b32 v2, v6 :: v_dual_mov_b32 v3, v7
	v_cmp_lt_u64_e32 vcc_lo, 0x5f, v[22:23]
	s_delay_alu instid0(VALU_DEP_4)
	v_add_co_u32 v7, s3, v24, 1
	s_wait_alu 0xf1ff
	v_add_co_ci_u32_e64 v23, null, 0, v25, s3
	v_dual_mov_b32 v5, v12 :: v_dual_mov_b32 v6, v13
	s_and_saveexec_b32 s3, vcc_lo
	s_cbranch_execz .LBB73_25
; %bb.22:
	v_lshlrev_b64_e32 v[0:1], 3, v[14:15]
	v_dual_mov_b32 v2, 0 :: v_dual_mov_b32 v5, v12
	v_and_b32_e32 v22, -4, v7
	v_dual_mov_b32 v6, v13 :: v_dual_mov_b32 v21, v15
	s_delay_alu instid0(VALU_DEP_4) | instskip(SKIP_3) | instid1(VALU_DEP_3)
	v_add_co_u32 v0, vcc_lo, s8, v0
	s_wait_alu 0xfffd
	v_add_co_ci_u32_e64 v3, null, s9, v1, vcc_lo
	v_mov_b32_e32 v1, 0
	v_add_co_u32 v24, vcc_lo, 0x200, v0
	v_mov_b32_e32 v0, 0
	s_wait_alu 0xfffd
	v_add_co_ci_u32_e64 v25, null, 0, v3, vcc_lo
	v_mov_b32_e32 v20, v14
.LBB73_23:                              ; =>This Inner Loop Header: Depth=1
	s_clause 0x3
	global_load_b64 v[39:40], v[24:25], off offset:-512
	global_load_b64 v[41:42], v[24:25], off offset:-256
	global_load_b64 v[43:44], v[24:25], off
	global_load_b64 v[45:46], v[24:25], off offset:256
	s_clause 0x2
	global_load_b128 v[27:30], v[5:6], off
	global_load_b128 v[31:34], v[5:6], off offset:512
	global_load_b128 v[35:38], v[5:6], off offset:1024
	s_wait_loadcnt 0x6
	v_sub_co_u32 v39, vcc_lo, v39, v10
	s_wait_alu 0xfffd
	v_sub_co_ci_u32_e64 v40, null, v40, v11, vcc_lo
	s_wait_loadcnt 0x5
	v_sub_co_u32 v41, vcc_lo, v41, v10
	s_wait_alu 0xfffd
	v_sub_co_ci_u32_e64 v42, null, v42, v11, vcc_lo
	;; [unrolled: 4-line block ×3, first 2 shown]
	v_lshlrev_b64_e32 v[39:40], 2, v[39:40]
	v_lshlrev_b64_e32 v[41:42], 2, v[41:42]
	s_wait_loadcnt 0x1
	v_lshrrev_b16 v49, 8, v34
	v_lshlrev_b64_e32 v[43:44], 2, v[43:44]
	v_ashrrev_i32_e32 v50, 24, v34
	v_bfe_i32 v51, v34, 16, 8
	s_wait_kmcnt 0x0
	v_add_co_u32 v39, vcc_lo, s4, v39
	s_wait_alu 0xfffd
	v_add_co_ci_u32_e64 v40, null, s5, v40, vcc_lo
	v_add_co_u32 v41, vcc_lo, s4, v41
	s_wait_alu 0xfffd
	v_add_co_ci_u32_e64 v42, null, s5, v42, vcc_lo
	;; [unrolled: 3-line block ×3, first 2 shown]
	s_clause 0x2
	global_load_b32 v3, v[39:40], off
	global_load_b32 v47, v[41:42], off
	;; [unrolled: 1-line block ×3, first 2 shown]
	v_sub_co_u32 v39, vcc_lo, v45, v10
	s_wait_alu 0xfffd
	v_sub_co_ci_u32_e64 v40, null, v46, v11, vcc_lo
	v_ashrrev_i32_e32 v45, 24, v30
	v_bfe_i32 v34, v34, 0, 8
	v_bfe_i32 v49, v49, 0, 8
	s_delay_alu instid0(VALU_DEP_4)
	v_lshlrev_b64_e32 v[39:40], 2, v[39:40]
	v_bfe_i32 v46, v30, 0, 8
	s_wait_loadcnt 0x3
	v_bfe_i32 v54, v38, 16, 8
	v_bfe_i32 v52, v38, 0, 8
	;; [unrolled: 1-line block ×3, first 2 shown]
	v_ashrrev_i32_e32 v38, 24, v38
	v_add_co_u32 v43, vcc_lo, s4, v39
	s_wait_alu 0xfffd
	v_add_co_ci_u32_e64 v44, null, s5, v40, vcc_lo
	global_load_b128 v[39:42], v[5:6], off offset:1536
	global_load_b32 v43, v[43:44], off
	v_lshrrev_b16 v44, 8, v30
	v_bfe_i32 v30, v30, 16, 8
	v_add_co_u32 v5, vcc_lo, 0x800, v5
	s_wait_alu 0xfffd
	v_add_co_ci_u32_e64 v6, null, 0, v6, vcc_lo
	v_bfe_i32 v44, v44, 0, 8
	v_add_co_u32 v20, vcc_lo, 0x80, v20
	s_wait_alu 0xfffd
	v_add_co_ci_u32_e64 v21, null, 0, v21, vcc_lo
	v_add_co_u32 v22, vcc_lo, v22, -4
	s_wait_alu 0xfffd
	v_add_co_ci_u32_e64 v23, null, -1, v23, vcc_lo
	v_add_co_u32 v24, vcc_lo, 0x400, v24
	s_wait_alu 0xfffd
	v_add_co_ci_u32_e64 v25, null, 0, v25, vcc_lo
	s_delay_alu instid0(VALU_DEP_3)
	v_cmp_eq_u64_e32 vcc_lo, 0, v[22:23]
	s_wait_alu 0xfffe
	s_or_b32 s7, vcc_lo, s7
	s_wait_loadcnt 0x4
	v_lshrrev_b16 v55, 8, v3
	v_ashrrev_i32_e32 v56, 24, v3
	v_bfe_i32 v57, v3, 0, 8
	v_bfe_i32 v58, v3, 16, 8
	v_dot4_i32_iu8 v0, v3, v27, v0 neg_lo:[1,1,0]
	v_dot4_i32_iu8 v1, v3, v28, v1 neg_lo:[1,1,0]
	;; [unrolled: 1-line block ×3, first 2 shown]
	s_wait_loadcnt 0x3
	v_lshrrev_b16 v3, 8, v47
	v_ashrrev_i32_e32 v27, 24, v47
	v_bfe_i32 v28, v47, 16, 8
	v_bfe_i32 v29, v47, 0, 8
	;; [unrolled: 1-line block ×4, first 2 shown]
	v_mul_i32_i24_e32 v27, v50, v27
	s_wait_loadcnt 0x2
	v_bfe_i32 v59, v48, 16, 8
	v_mul_i32_i24_e32 v29, v34, v29
	v_mul_i32_i24_e32 v28, v51, v28
	;; [unrolled: 1-line block ×4, first 2 shown]
	v_mad_i32_i24 v27, v45, v56, v27
	v_bfe_i32 v61, v48, 8, 8
	v_bfe_i32 v62, v48, 0, 8
	v_mul_i32_i24_e32 v44, v54, v59
	v_mad_i32_i24 v28, v30, v58, v28
	v_mad_i32_i24 v29, v46, v57, v29
	v_add3_u32 v3, v34, v3, v27
	v_ashrrev_i32_e32 v60, 24, v48
	v_mul_i32_i24_e32 v27, v62, v52
	v_mad_i32_i24 v30, v61, v53, v44
	v_dot4_i32_iu8 v0, v47, v31, v0 neg_lo:[1,1,0]
	v_add3_u32 v3, v29, v28, v3
	v_dot4_i32_iu8 v1, v47, v32, v1 neg_lo:[1,1,0]
	v_dot4_i32_iu8 v2, v47, v33, v2 neg_lo:[1,1,0]
	v_mul_i32_i24_e32 v28, v38, v60
	v_dot4_i32_iu8 v0, v48, v35, v0 neg_lo:[1,1,0]
	v_add3_u32 v3, v3, v27, v30
	v_dot4_i32_iu8 v1, v36, v48, v1 neg_lo:[1,1,0]
	v_dot4_i32_iu8 v2, v37, v48, v2 neg_lo:[1,1,0]
	s_wait_loadcnt 0x0
	v_dot4_i32_iu8 v0, v43, v39, v0 neg_lo:[1,1,0]
	v_add3_u32 v3, v3, v4, v28
	v_dot4_i32_iu8 v1, v43, v40, v1 neg_lo:[1,1,0]
	v_dot4_i32_iu8 v2, v43, v41, v2 neg_lo:[1,1,0]
	s_delay_alu instid0(VALU_DEP_3)
	v_dot4_i32_iu8 v4, v43, v42, v3 neg_lo:[1,1,0]
	s_wait_alu 0xfffe
	s_and_not1_b32 exec_lo, exec_lo, s7
	s_cbranch_execnz .LBB73_23
; %bb.24:
	s_or_b32 exec_lo, exec_lo, s7
	v_mov_b32_e32 v3, v4
.LBB73_25:
	s_wait_alu 0xfffe
	s_or_b32 exec_lo, exec_lo, s3
	v_dual_mov_b32 v23, 0 :: v_dual_and_b32 v22, 3, v7
	s_mov_b32 s3, exec_lo
	s_delay_alu instid0(VALU_DEP_1)
	v_cmpx_ne_u64_e32 0, v[22:23]
	s_cbranch_execz .LBB73_29
; %bb.26:
	v_lshlrev_b64_e32 v[20:21], 3, v[20:21]
	v_lshlrev_b32_e32 v22, 1, v22
	s_mov_b32 s7, 0
	s_delay_alu instid0(VALU_DEP_2) | instskip(SKIP_1) | instid1(VALU_DEP_3)
	v_add_co_u32 v20, vcc_lo, s8, v20
	s_wait_alu 0xfffd
	v_add_co_ci_u32_e64 v21, null, s9, v21, vcc_lo
.LBB73_27:                              ; =>This Inner Loop Header: Depth=1
	global_load_b64 v[24:25], v[20:21], off
	s_wait_loadcnt 0x0
	v_sub_co_u32 v24, vcc_lo, v24, v10
	s_wait_alu 0xfffd
	v_sub_co_ci_u32_e64 v25, null, v25, v11, vcc_lo
	s_delay_alu instid0(VALU_DEP_1) | instskip(SKIP_1) | instid1(VALU_DEP_1)
	v_lshlrev_b64_e32 v[24:25], 2, v[24:25]
	s_wait_kmcnt 0x0
	v_add_co_u32 v24, vcc_lo, s4, v24
	s_wait_alu 0xfffd
	s_delay_alu instid0(VALU_DEP_2)
	v_add_co_ci_u32_e64 v25, null, s5, v25, vcc_lo
	global_load_b128 v[27:30], v[5:6], off
	global_load_b32 v4, v[24:25], off
	v_add_co_u32 v5, vcc_lo, 0x200, v5
	s_wait_alu 0xfffd
	v_add_co_ci_u32_e64 v6, null, 0, v6, vcc_lo
	v_add_co_u32 v22, vcc_lo, v22, -2
	s_wait_alu 0xfffd
	v_add_co_ci_u32_e64 v23, null, -1, v23, vcc_lo
	v_add_co_u32 v20, vcc_lo, 0x100, v20
	s_wait_alu 0xfffd
	v_add_co_ci_u32_e64 v21, null, 0, v21, vcc_lo
	s_delay_alu instid0(VALU_DEP_3)
	v_cmp_eq_u64_e32 vcc_lo, 0, v[22:23]
	s_wait_alu 0xfffe
	s_or_b32 s7, vcc_lo, s7
	s_wait_loadcnt 0x0
	v_dot4_i32_iu8 v3, v4, v30, v3 neg_lo:[1,1,0]
	v_dot4_i32_iu8 v2, v4, v29, v2 neg_lo:[1,1,0]
	;; [unrolled: 1-line block ×4, first 2 shown]
	s_wait_alu 0xfffe
	s_and_not1_b32 exec_lo, exec_lo, s7
	s_cbranch_execnz .LBB73_27
; %bb.28:
	s_or_b32 exec_lo, exec_lo, s7
	v_mov_b32_e32 v4, v3
.LBB73_29:
	s_wait_alu 0xfffe
	s_or_b32 exec_lo, exec_lo, s3
.LBB73_30:
	s_wait_alu 0xfffe
	s_or_b32 exec_lo, exec_lo, s6
	s_cbranch_execz .LBB73_32
	s_branch .LBB73_43
.LBB73_31:
                                        ; implicit-def: $vgpr4
                                        ; implicit-def: $vgpr2
.LBB73_32:
	v_dual_mov_b32 v4, 0 :: v_dual_mov_b32 v1, 0
	v_mov_b32_e32 v2, 0
	v_mov_b32_e32 v0, 0
	s_and_saveexec_b32 s3, s2
	s_cbranch_execz .LBB73_42
; %bb.33:
	v_or_b32_e32 v0, 32, v26
	v_not_b32_e32 v3, v16
	v_sub_co_u32 v4, s2, v10, v26
	v_not_b32_e32 v2, v17
	s_delay_alu instid0(VALU_DEP_4)
	v_sub_co_u32 v0, vcc_lo, v0, v10
	s_wait_alu 0xfffd
	v_sub_co_ci_u32_e64 v1, null, 0, v11, vcc_lo
	s_wait_alu 0xf1ff
	v_subrev_co_ci_u32_e64 v5, null, 0, v11, s2
	v_add_co_u32 v0, vcc_lo, v0, v16
	s_wait_alu 0xfffd
	v_add_co_ci_u32_e64 v1, null, v1, v17, vcc_lo
	s_mov_b32 s6, 0
	v_cmp_gt_i64_e32 vcc_lo, v[0:1], v[18:19]
	s_wait_alu 0xfffd
	v_dual_cndmask_b32 v1, v19, v1 :: v_dual_cndmask_b32 v0, v18, v0
	v_add_co_u32 v3, vcc_lo, v4, v3
	s_wait_alu 0xfffd
	v_add_co_ci_u32_e64 v2, null, v5, v2, vcc_lo
	v_mov_b32_e32 v4, 0
	s_delay_alu instid0(VALU_DEP_3) | instskip(SKIP_1) | instid1(VALU_DEP_3)
	v_add_co_u32 v0, vcc_lo, v3, v0
	s_wait_alu 0xfffd
	v_add_co_ci_u32_e64 v1, null, v2, v1, vcc_lo
	s_delay_alu instid0(VALU_DEP_3) | instskip(SKIP_1) | instid1(VALU_DEP_3)
	v_dual_mov_b32 v5, v4 :: v_dual_mov_b32 v6, v4
	v_mov_b32_e32 v7, v4
	v_lshrrev_b64 v[2:3], 5, v[0:1]
	v_cmp_lt_u64_e32 vcc_lo, 0x5f, v[0:1]
	s_delay_alu instid0(VALU_DEP_2) | instskip(SKIP_1) | instid1(VALU_DEP_3)
	v_add_co_u32 v18, s2, v2, 1
	s_wait_alu 0xf1ff
	v_add_co_ci_u32_e64 v17, null, 0, v3, s2
	v_dual_mov_b32 v0, v4 :: v_dual_mov_b32 v1, v5
	v_dual_mov_b32 v2, v6 :: v_dual_mov_b32 v3, v7
	s_and_saveexec_b32 s2, vcc_lo
	s_cbranch_execz .LBB73_37
; %bb.34:
	v_lshlrev_b64_e32 v[0:1], 3, v[14:15]
	v_and_b32_e32 v16, -4, v18
	v_mov_b32_e32 v2, 0
	s_delay_alu instid0(VALU_DEP_3) | instskip(SKIP_1) | instid1(VALU_DEP_4)
	v_add_co_u32 v0, vcc_lo, s8, v0
	s_wait_alu 0xfffd
	v_add_co_ci_u32_e64 v3, null, s9, v1, vcc_lo
	v_mov_b32_e32 v1, 0
	s_delay_alu instid0(VALU_DEP_3) | instskip(SKIP_1) | instid1(VALU_DEP_3)
	v_add_co_u32 v5, vcc_lo, 0x200, v0
	s_wait_alu 0xfffd
	v_add_co_ci_u32_e64 v6, null, 0, v3, vcc_lo
	v_mov_b32_e32 v0, 0
.LBB73_35:                              ; =>This Inner Loop Header: Depth=1
	s_clause 0x3
	global_load_b64 v[23:24], v[5:6], off offset:-512
	global_load_b64 v[39:40], v[5:6], off offset:-256
	global_load_b64 v[41:42], v[5:6], off
	global_load_b64 v[43:44], v[5:6], off offset:256
	s_clause 0x3
	global_load_b128 v[19:22], v[12:13], off
	global_load_b128 v[27:30], v[12:13], off offset:512
	global_load_b128 v[31:34], v[12:13], off offset:1024
	;; [unrolled: 1-line block ×3, first 2 shown]
	s_wait_loadcnt 0x7
	v_sub_co_u32 v23, vcc_lo, v23, v10
	s_wait_alu 0xfffd
	v_sub_co_ci_u32_e64 v24, null, v24, v11, vcc_lo
	s_wait_loadcnt 0x6
	v_sub_co_u32 v39, vcc_lo, v39, v10
	s_wait_alu 0xfffd
	v_sub_co_ci_u32_e64 v40, null, v40, v11, vcc_lo
	;; [unrolled: 4-line block ×3, first 2 shown]
	v_lshlrev_b64_e32 v[23:24], 2, v[23:24]
	v_lshlrev_b64_e32 v[39:40], 2, v[39:40]
	s_wait_loadcnt 0x2
	v_perm_b32 v45, v27, v22, 0xc0c0501
	v_lshlrev_b64_e32 v[41:42], 2, v[41:42]
	v_perm_b32 v46, v29, v28, 0x5010c0c
	v_perm_b32 v47, v27, v22, 0xc0c0602
	s_wait_kmcnt 0x0
	v_add_co_u32 v23, vcc_lo, s4, v23
	s_wait_alu 0xfffd
	v_add_co_ci_u32_e64 v24, null, s5, v24, vcc_lo
	v_add_co_u32 v39, vcc_lo, s4, v39
	s_wait_alu 0xfffd
	v_add_co_ci_u32_e64 v40, null, s5, v40, vcc_lo
	;; [unrolled: 3-line block ×3, first 2 shown]
	s_clause 0x2
	global_load_b32 v3, v[23:24], off
	global_load_b32 v7, v[39:40], off
	;; [unrolled: 1-line block ×3, first 2 shown]
	v_sub_co_u32 v23, vcc_lo, v43, v10
	s_wait_alu 0xfffd
	v_sub_co_ci_u32_e64 v24, null, v44, v11, vcc_lo
	v_perm_b32 v40, v21, v20, 0xc05010c
	v_perm_b32 v42, v21, v20, 0xc06020c
	;; [unrolled: 1-line block ×3, first 2 shown]
	s_delay_alu instid0(VALU_DEP_4)
	v_lshlrev_b64_e32 v[23:24], 2, v[23:24]
	v_perm_b32 v48, v29, v28, 0x6020c0c
	s_wait_loadcnt 0x4
	v_perm_b32 v50, v31, v30, 0xc0c0501
	v_perm_b32 v52, v31, v30, 0xc0c0602
	;; [unrolled: 1-line block ×4, first 2 shown]
	v_add_co_u32 v23, vcc_lo, s4, v23
	s_wait_alu 0xfffd
	v_add_co_ci_u32_e64 v24, null, s5, v24, vcc_lo
	v_perm_b32 v43, v19, v19, 0xc0c0c02
	v_perm_b32 v19, v19, v19, 0xc0c0c03
	;; [unrolled: 1-line block ×3, first 2 shown]
	global_load_b32 v23, v[23:24], off
	v_perm_b32 v24, v21, v20, 0xc04000c
	v_perm_b32 v20, v21, v20, 0xc07030c
	;; [unrolled: 1-line block ×5, first 2 shown]
	v_lshrrev_b32_e32 v28, 16, v34
	v_perm_b32 v29, v31, v30, 0xc0c0400
	v_perm_b32 v30, v31, v30, 0xc0c0703
	;; [unrolled: 1-line block ×5, first 2 shown]
	v_ashrrev_i16 v32, 8, v34
	v_bfe_i32 v33, v34, 0, 8
	v_or_b32_e32 v30, v31, v30
	v_ashrrev_i16 v31, 8, v28
	v_bfe_i32 v28, v28, 0, 8
	s_wait_loadcnt 0x4
	v_perm_b32 v34, v36, v35, 0xc0c0703
	v_perm_b32 v54, v38, v37, 0x7030c0c
	;; [unrolled: 1-line block ×8, first 2 shown]
	v_or_b32_e32 v24, v24, v39
	v_or_b32_e32 v37, v40, v41
	;; [unrolled: 1-line block ×4, first 2 shown]
	v_perm_b32 v28, v31, v28, 0x5040100
	v_or_b32_e32 v20, v44, v21
	v_or_b32_e32 v21, v46, v45
	v_or_b32_e32 v39, v48, v47
	v_or_b32_e32 v22, v27, v22
	v_perm_b32 v32, v32, v33, 0x5040100
	v_or_b32_e32 v27, v49, v29
	v_or_b32_e32 v29, v51, v50
	;; [unrolled: 1-line block ×3, first 2 shown]
	v_add_co_u32 v12, vcc_lo, 0x800, v12
	s_wait_alu 0xfffd
	v_add_co_ci_u32_e64 v13, null, 0, v13, vcc_lo
	v_add_co_u32 v14, vcc_lo, 0x80, v14
	s_wait_alu 0xfffd
	v_add_co_ci_u32_e64 v15, null, 0, v15, vcc_lo
	v_add_co_u32 v16, vcc_lo, v16, -4
	s_wait_alu 0xfffd
	v_add_co_ci_u32_e64 v17, null, -1, v17, vcc_lo
	v_add_co_u32 v5, vcc_lo, 0x400, v5
	v_or_b32_e32 v33, v54, v34
	v_or_b32_e32 v34, v56, v55
	;; [unrolled: 1-line block ×3, first 2 shown]
	s_wait_alu 0xfffd
	v_add_co_ci_u32_e64 v6, null, 0, v6, vcc_lo
	v_cmp_eq_u64_e32 vcc_lo, 0, v[16:17]
	s_wait_alu 0xfffe
	s_or_b32 s6, vcc_lo, s6
	s_wait_loadcnt 0x3
	v_perm_b32 v31, v3, v3, 0xc020100
	s_wait_loadcnt 0x2
	v_perm_b32 v3, v7, v3, 0x6050403
	s_wait_loadcnt 0x1
	v_lshrrev_b32_e32 v42, 24, v25
	v_perm_b32 v7, v25, v7, 0x6050403
	v_dot4_i32_iu8 v0, v31, v24, v0 neg_lo:[1,1,0]
	v_dot4_i32_iu8 v1, v37, v31, v1 neg_lo:[1,1,0]
	v_dot4_i32_iu8 v2, v38, v31, v2 neg_lo:[1,1,0]
	v_dot4_i32_iu8 v4, v19, v31, v4 neg_lo:[1,1,0]
	v_bfe_i32 v19, v42, 0, 8
	v_dot4_i32_iu8 v0, v3, v20, v0 neg_lo:[1,1,0]
	v_dot4_i32_iu8 v1, v21, v3, v1 neg_lo:[1,1,0]
	;; [unrolled: 1-line block ×4, first 2 shown]
	v_pk_mul_lo_u16 v4, v19, v32 op_sel_hi:[0,1]
	v_pk_mul_lo_u16 v19, v19, v28 op_sel_hi:[0,1]
	v_dot4_i32_iu8 v0, v7, v27, v0 neg_lo:[1,1,0]
	v_dot4_i32_iu8 v1, v29, v7, v1 neg_lo:[1,1,0]
	;; [unrolled: 1-line block ×4, first 2 shown]
	v_ashrrev_i32_e32 v7, 16, v19
	v_bfe_i32 v19, v19, 0, 16
	v_ashrrev_i32_e32 v20, 16, v4
	v_bfe_i32 v4, v4, 0, 16
	v_or_b32_e32 v21, v36, v35
	v_add_nc_u32_e32 v3, v3, v7
	v_add_nc_u32_e32 v2, v2, v19
	;; [unrolled: 1-line block ×4, first 2 shown]
	s_wait_loadcnt 0x0
	v_dot4_i32_iu8 v4, v23, v33, v3 neg_lo:[1,1,0]
	v_dot4_i32_iu8 v2, v23, v34, v2 neg_lo:[1,1,0]
	;; [unrolled: 1-line block ×4, first 2 shown]
	s_wait_alu 0xfffe
	s_and_not1_b32 exec_lo, exec_lo, s6
	s_cbranch_execnz .LBB73_35
; %bb.36:
	s_or_b32 exec_lo, exec_lo, s6
	v_mov_b32_e32 v3, v4
.LBB73_37:
	s_wait_alu 0xfffe
	s_or_b32 exec_lo, exec_lo, s2
	v_dual_mov_b32 v6, 0 :: v_dual_and_b32 v5, 3, v18
	s_mov_b32 s2, exec_lo
	s_delay_alu instid0(VALU_DEP_1)
	v_cmpx_ne_u64_e32 0, v[5:6]
	s_cbranch_execz .LBB73_41
; %bb.38:
	v_lshlrev_b64_e32 v[14:15], 3, v[14:15]
	v_lshlrev_b32_e32 v5, 1, v5
	s_mov_b32 s6, 0
	s_delay_alu instid0(VALU_DEP_2) | instskip(SKIP_1) | instid1(VALU_DEP_3)
	v_add_co_u32 v14, vcc_lo, s8, v14
	s_wait_alu 0xfffd
	v_add_co_ci_u32_e64 v15, null, s9, v15, vcc_lo
.LBB73_39:                              ; =>This Inner Loop Header: Depth=1
	global_load_b64 v[20:21], v[14:15], off
	global_load_b128 v[16:19], v[12:13], off
	s_wait_loadcnt 0x1
	v_sub_co_u32 v20, vcc_lo, v20, v10
	s_wait_alu 0xfffd
	v_sub_co_ci_u32_e64 v21, null, v21, v11, vcc_lo
	s_wait_loadcnt 0x0
	v_perm_b32 v7, v17, v16, 0xc0c0703
	v_perm_b32 v22, v19, v18, 0x6020c0c
	;; [unrolled: 1-line block ×3, first 2 shown]
	v_lshlrev_b64_e32 v[20:21], 2, v[20:21]
	v_perm_b32 v24, v19, v18, 0x5010c0c
	s_wait_kmcnt 0x0
	s_delay_alu instid0(VALU_DEP_2) | instskip(SKIP_1) | instid1(VALU_DEP_3)
	v_add_co_u32 v20, vcc_lo, s4, v20
	s_wait_alu 0xfffd
	v_add_co_ci_u32_e64 v21, null, s5, v21, vcc_lo
	v_add_co_u32 v12, vcc_lo, 0x200, v12
	s_wait_alu 0xfffd
	v_add_co_ci_u32_e64 v13, null, 0, v13, vcc_lo
	global_load_b32 v4, v[20:21], off
	v_add_co_u32 v14, vcc_lo, 0x100, v14
	s_wait_alu 0xfffd
	v_add_co_ci_u32_e64 v15, null, 0, v15, vcc_lo
	v_add_co_u32 v5, vcc_lo, v5, -2
	v_perm_b32 v20, v19, v18, 0x7030c0c
	v_perm_b32 v21, v17, v16, 0xc0c0602
	;; [unrolled: 1-line block ×4, first 2 shown]
	s_wait_alu 0xfffd
	v_add_co_ci_u32_e64 v6, null, -1, v6, vcc_lo
	v_or_b32_e32 v7, v20, v7
	v_or_b32_e32 v18, v22, v21
	;; [unrolled: 1-line block ×4, first 2 shown]
	v_cmp_eq_u64_e32 vcc_lo, 0, v[5:6]
	s_wait_alu 0xfffe
	s_or_b32 s6, vcc_lo, s6
	s_wait_loadcnt 0x0
	v_dot4_i32_iu8 v3, v4, v7, v3 neg_lo:[1,1,0]
	v_dot4_i32_iu8 v2, v4, v18, v2 neg_lo:[1,1,0]
	;; [unrolled: 1-line block ×4, first 2 shown]
	s_wait_alu 0xfffe
	s_and_not1_b32 exec_lo, exec_lo, s6
	s_cbranch_execnz .LBB73_39
; %bb.40:
	s_or_b32 exec_lo, exec_lo, s6
	v_mov_b32_e32 v4, v3
.LBB73_41:
	s_wait_alu 0xfffe
	s_or_b32 exec_lo, exec_lo, s2
.LBB73_42:
	s_wait_alu 0xfffe
	s_or_b32 exec_lo, exec_lo, s3
.LBB73_43:
	v_mbcnt_lo_u32_b32 v3, -1, 0
	s_mov_b32 s2, -1
	s_delay_alu instid0(VALU_DEP_1) | instskip(SKIP_1) | instid1(VALU_DEP_2)
	v_xor_b32_e32 v5, 16, v3
	v_xor_b32_e32 v11, 8, v3
	v_cmp_gt_i32_e32 vcc_lo, 32, v5
	s_wait_alu 0xfffd
	v_cndmask_b32_e32 v5, v3, v5, vcc_lo
	s_delay_alu instid0(VALU_DEP_3) | instskip(NEXT) | instid1(VALU_DEP_2)
	v_cmp_gt_i32_e32 vcc_lo, 32, v11
	v_lshlrev_b32_e32 v5, 2, v5
	ds_bpermute_b32 v6, v5, v0
	ds_bpermute_b32 v7, v5, v1
	;; [unrolled: 1-line block ×4, first 2 shown]
	s_wait_dscnt 0x3
	s_wait_alu 0xfffd
	v_dual_cndmask_b32 v11, v3, v11 :: v_dual_add_nc_u32 v0, v6, v0
	s_wait_dscnt 0x2
	v_add_nc_u32_e32 v1, v7, v1
	s_wait_dscnt 0x1
	v_add_nc_u32_e32 v2, v10, v2
	v_lshlrev_b32_e32 v11, 2, v11
	s_wait_dscnt 0x0
	v_add_nc_u32_e32 v4, v5, v4
	ds_bpermute_b32 v5, v11, v0
	ds_bpermute_b32 v6, v11, v1
	;; [unrolled: 1-line block ×4, first 2 shown]
	v_xor_b32_e32 v11, 4, v3
	s_delay_alu instid0(VALU_DEP_1) | instskip(SKIP_2) | instid1(VALU_DEP_1)
	v_cmp_gt_i32_e32 vcc_lo, 32, v11
	s_wait_alu 0xfffd
	v_cndmask_b32_e32 v11, v3, v11, vcc_lo
	v_lshlrev_b32_e32 v11, 2, v11
	s_wait_dscnt 0x3
	v_add_nc_u32_e32 v0, v5, v0
	s_wait_dscnt 0x2
	v_add_nc_u32_e32 v1, v6, v1
	;; [unrolled: 2-line block ×4, first 2 shown]
	ds_bpermute_b32 v5, v11, v0
	ds_bpermute_b32 v6, v11, v1
	;; [unrolled: 1-line block ×4, first 2 shown]
	v_xor_b32_e32 v11, 2, v3
	s_delay_alu instid0(VALU_DEP_1) | instskip(SKIP_2) | instid1(VALU_DEP_1)
	v_cmp_gt_i32_e32 vcc_lo, 32, v11
	s_wait_alu 0xfffd
	v_cndmask_b32_e32 v11, v3, v11, vcc_lo
	v_lshlrev_b32_e32 v11, 2, v11
	s_wait_dscnt 0x3
	v_add_nc_u32_e32 v0, v5, v0
	s_wait_dscnt 0x2
	v_add_nc_u32_e32 v1, v6, v1
	;; [unrolled: 2-line block ×4, first 2 shown]
	ds_bpermute_b32 v5, v11, v0
	ds_bpermute_b32 v6, v11, v1
	;; [unrolled: 1-line block ×4, first 2 shown]
	v_xor_b32_e32 v11, 1, v3
	s_delay_alu instid0(VALU_DEP_1) | instskip(SKIP_3) | instid1(VALU_DEP_2)
	v_cmp_gt_i32_e32 vcc_lo, 32, v11
	s_wait_alu 0xfffd
	v_cndmask_b32_e32 v3, v3, v11, vcc_lo
	v_cmp_eq_u32_e32 vcc_lo, 31, v26
	v_lshlrev_b32_e32 v11, 2, v3
	s_wait_dscnt 0x3
	v_add_nc_u32_e32 v0, v5, v0
	s_wait_dscnt 0x2
	v_add_nc_u32_e32 v1, v6, v1
	;; [unrolled: 2-line block ×4, first 2 shown]
	ds_bpermute_b32 v4, v11, v0
	ds_bpermute_b32 v5, v11, v1
	;; [unrolled: 1-line block ×4, first 2 shown]
	s_and_b32 exec_lo, exec_lo, vcc_lo
	s_cbranch_execz .LBB73_14
; %bb.44:
	s_load_b64 s[0:1], s[0:1], 0x58
	s_wait_dscnt 0x3
	v_add_nc_u32_e32 v0, v4, v0
	s_wait_dscnt 0x2
	v_add_nc_u32_e32 v1, v5, v1
	;; [unrolled: 2-line block ×4, first 2 shown]
	v_lshlrev_b64_e32 v[4:5], 4, v[8:9]
	v_mul_lo_u32 v0, v0, s12
	v_mul_lo_u32 v1, v1, s12
	;; [unrolled: 1-line block ×4, first 2 shown]
	s_cmp_eq_u32 s13, 0
	s_cbranch_scc1 .LBB73_46
; %bb.45:
	s_wait_kmcnt 0x0
	v_add_co_u32 v13, vcc_lo, s0, v4
	s_wait_alu 0xfffd
	v_add_co_ci_u32_e64 v14, null, s1, v5, vcc_lo
	s_mov_b32 s2, 0
	global_load_b128 v[6:9], v[13:14], off
	s_wait_loadcnt 0x0
	v_mad_co_u64_u32 v[15:16], null, v9, s13, v[3:4]
	v_mad_co_u64_u32 v[9:10], null, v6, s13, v[0:1]
	;; [unrolled: 1-line block ×4, first 2 shown]
	s_delay_alu instid0(VALU_DEP_4)
	v_mov_b32_e32 v12, v15
	global_store_b128 v[13:14], v[9:12], off
.LBB73_46:
	s_wait_alu 0xfffe
	s_and_not1_b32 vcc_lo, exec_lo, s2
	s_wait_alu 0xfffe
	s_cbranch_vccnz .LBB73_14
; %bb.47:
	s_wait_kmcnt 0x0
	v_add_co_u32 v4, vcc_lo, s0, v4
	s_wait_alu 0xfffd
	v_add_co_ci_u32_e64 v5, null, s1, v5, vcc_lo
	global_store_b128 v[4:5], v[0:3], off
	s_endpgm
	.section	.rodata,"a",@progbits
	.p2align	6, 0x0
	.amdhsa_kernel _ZN9rocsparseL18bsrxmvn_4x4_kernelILj128ELj32EillaaiEEvT3_20rocsparse_direction_NS_24const_host_device_scalarIT1_EES1_PKS1_PKT2_SA_S7_PKT4_PKT5_S5_PT6_21rocsparse_index_base_b
		.amdhsa_group_segment_fixed_size 0
		.amdhsa_private_segment_fixed_size 0
		.amdhsa_kernarg_size 104
		.amdhsa_user_sgpr_count 2
		.amdhsa_user_sgpr_dispatch_ptr 0
		.amdhsa_user_sgpr_queue_ptr 0
		.amdhsa_user_sgpr_kernarg_segment_ptr 1
		.amdhsa_user_sgpr_dispatch_id 0
		.amdhsa_user_sgpr_private_segment_size 0
		.amdhsa_wavefront_size32 1
		.amdhsa_uses_dynamic_stack 0
		.amdhsa_enable_private_segment 0
		.amdhsa_system_sgpr_workgroup_id_x 1
		.amdhsa_system_sgpr_workgroup_id_y 0
		.amdhsa_system_sgpr_workgroup_id_z 0
		.amdhsa_system_sgpr_workgroup_info 0
		.amdhsa_system_vgpr_workitem_id 0
		.amdhsa_next_free_vgpr 63
		.amdhsa_next_free_sgpr 14
		.amdhsa_reserve_vcc 1
		.amdhsa_float_round_mode_32 0
		.amdhsa_float_round_mode_16_64 0
		.amdhsa_float_denorm_mode_32 3
		.amdhsa_float_denorm_mode_16_64 3
		.amdhsa_fp16_overflow 0
		.amdhsa_workgroup_processor_mode 1
		.amdhsa_memory_ordered 1
		.amdhsa_forward_progress 1
		.amdhsa_inst_pref_size 39
		.amdhsa_round_robin_scheduling 0
		.amdhsa_exception_fp_ieee_invalid_op 0
		.amdhsa_exception_fp_denorm_src 0
		.amdhsa_exception_fp_ieee_div_zero 0
		.amdhsa_exception_fp_ieee_overflow 0
		.amdhsa_exception_fp_ieee_underflow 0
		.amdhsa_exception_fp_ieee_inexact 0
		.amdhsa_exception_int_div_zero 0
	.end_amdhsa_kernel
	.section	.text._ZN9rocsparseL18bsrxmvn_4x4_kernelILj128ELj32EillaaiEEvT3_20rocsparse_direction_NS_24const_host_device_scalarIT1_EES1_PKS1_PKT2_SA_S7_PKT4_PKT5_S5_PT6_21rocsparse_index_base_b,"axG",@progbits,_ZN9rocsparseL18bsrxmvn_4x4_kernelILj128ELj32EillaaiEEvT3_20rocsparse_direction_NS_24const_host_device_scalarIT1_EES1_PKS1_PKT2_SA_S7_PKT4_PKT5_S5_PT6_21rocsparse_index_base_b,comdat
.Lfunc_end73:
	.size	_ZN9rocsparseL18bsrxmvn_4x4_kernelILj128ELj32EillaaiEEvT3_20rocsparse_direction_NS_24const_host_device_scalarIT1_EES1_PKS1_PKT2_SA_S7_PKT4_PKT5_S5_PT6_21rocsparse_index_base_b, .Lfunc_end73-_ZN9rocsparseL18bsrxmvn_4x4_kernelILj128ELj32EillaaiEEvT3_20rocsparse_direction_NS_24const_host_device_scalarIT1_EES1_PKS1_PKT2_SA_S7_PKT4_PKT5_S5_PT6_21rocsparse_index_base_b
                                        ; -- End function
	.set _ZN9rocsparseL18bsrxmvn_4x4_kernelILj128ELj32EillaaiEEvT3_20rocsparse_direction_NS_24const_host_device_scalarIT1_EES1_PKS1_PKT2_SA_S7_PKT4_PKT5_S5_PT6_21rocsparse_index_base_b.num_vgpr, 63
	.set _ZN9rocsparseL18bsrxmvn_4x4_kernelILj128ELj32EillaaiEEvT3_20rocsparse_direction_NS_24const_host_device_scalarIT1_EES1_PKS1_PKT2_SA_S7_PKT4_PKT5_S5_PT6_21rocsparse_index_base_b.num_agpr, 0
	.set _ZN9rocsparseL18bsrxmvn_4x4_kernelILj128ELj32EillaaiEEvT3_20rocsparse_direction_NS_24const_host_device_scalarIT1_EES1_PKS1_PKT2_SA_S7_PKT4_PKT5_S5_PT6_21rocsparse_index_base_b.numbered_sgpr, 14
	.set _ZN9rocsparseL18bsrxmvn_4x4_kernelILj128ELj32EillaaiEEvT3_20rocsparse_direction_NS_24const_host_device_scalarIT1_EES1_PKS1_PKT2_SA_S7_PKT4_PKT5_S5_PT6_21rocsparse_index_base_b.num_named_barrier, 0
	.set _ZN9rocsparseL18bsrxmvn_4x4_kernelILj128ELj32EillaaiEEvT3_20rocsparse_direction_NS_24const_host_device_scalarIT1_EES1_PKS1_PKT2_SA_S7_PKT4_PKT5_S5_PT6_21rocsparse_index_base_b.private_seg_size, 0
	.set _ZN9rocsparseL18bsrxmvn_4x4_kernelILj128ELj32EillaaiEEvT3_20rocsparse_direction_NS_24const_host_device_scalarIT1_EES1_PKS1_PKT2_SA_S7_PKT4_PKT5_S5_PT6_21rocsparse_index_base_b.uses_vcc, 1
	.set _ZN9rocsparseL18bsrxmvn_4x4_kernelILj128ELj32EillaaiEEvT3_20rocsparse_direction_NS_24const_host_device_scalarIT1_EES1_PKS1_PKT2_SA_S7_PKT4_PKT5_S5_PT6_21rocsparse_index_base_b.uses_flat_scratch, 0
	.set _ZN9rocsparseL18bsrxmvn_4x4_kernelILj128ELj32EillaaiEEvT3_20rocsparse_direction_NS_24const_host_device_scalarIT1_EES1_PKS1_PKT2_SA_S7_PKT4_PKT5_S5_PT6_21rocsparse_index_base_b.has_dyn_sized_stack, 0
	.set _ZN9rocsparseL18bsrxmvn_4x4_kernelILj128ELj32EillaaiEEvT3_20rocsparse_direction_NS_24const_host_device_scalarIT1_EES1_PKS1_PKT2_SA_S7_PKT4_PKT5_S5_PT6_21rocsparse_index_base_b.has_recursion, 0
	.set _ZN9rocsparseL18bsrxmvn_4x4_kernelILj128ELj32EillaaiEEvT3_20rocsparse_direction_NS_24const_host_device_scalarIT1_EES1_PKS1_PKT2_SA_S7_PKT4_PKT5_S5_PT6_21rocsparse_index_base_b.has_indirect_call, 0
	.section	.AMDGPU.csdata,"",@progbits
; Kernel info:
; codeLenInByte = 4932
; TotalNumSgprs: 16
; NumVgprs: 63
; ScratchSize: 0
; MemoryBound: 0
; FloatMode: 240
; IeeeMode: 1
; LDSByteSize: 0 bytes/workgroup (compile time only)
; SGPRBlocks: 0
; VGPRBlocks: 7
; NumSGPRsForWavesPerEU: 16
; NumVGPRsForWavesPerEU: 63
; Occupancy: 16
; WaveLimiterHint : 1
; COMPUTE_PGM_RSRC2:SCRATCH_EN: 0
; COMPUTE_PGM_RSRC2:USER_SGPR: 2
; COMPUTE_PGM_RSRC2:TRAP_HANDLER: 0
; COMPUTE_PGM_RSRC2:TGID_X_EN: 1
; COMPUTE_PGM_RSRC2:TGID_Y_EN: 0
; COMPUTE_PGM_RSRC2:TGID_Z_EN: 0
; COMPUTE_PGM_RSRC2:TIDIG_COMP_CNT: 0
	.section	.text._ZN9rocsparseL18bsrxmvn_4x4_kernelILj128ELj64EillaaiEEvT3_20rocsparse_direction_NS_24const_host_device_scalarIT1_EES1_PKS1_PKT2_SA_S7_PKT4_PKT5_S5_PT6_21rocsparse_index_base_b,"axG",@progbits,_ZN9rocsparseL18bsrxmvn_4x4_kernelILj128ELj64EillaaiEEvT3_20rocsparse_direction_NS_24const_host_device_scalarIT1_EES1_PKS1_PKT2_SA_S7_PKT4_PKT5_S5_PT6_21rocsparse_index_base_b,comdat
	.globl	_ZN9rocsparseL18bsrxmvn_4x4_kernelILj128ELj64EillaaiEEvT3_20rocsparse_direction_NS_24const_host_device_scalarIT1_EES1_PKS1_PKT2_SA_S7_PKT4_PKT5_S5_PT6_21rocsparse_index_base_b ; -- Begin function _ZN9rocsparseL18bsrxmvn_4x4_kernelILj128ELj64EillaaiEEvT3_20rocsparse_direction_NS_24const_host_device_scalarIT1_EES1_PKS1_PKT2_SA_S7_PKT4_PKT5_S5_PT6_21rocsparse_index_base_b
	.p2align	8
	.type	_ZN9rocsparseL18bsrxmvn_4x4_kernelILj128ELj64EillaaiEEvT3_20rocsparse_direction_NS_24const_host_device_scalarIT1_EES1_PKS1_PKT2_SA_S7_PKT4_PKT5_S5_PT6_21rocsparse_index_base_b,@function
_ZN9rocsparseL18bsrxmvn_4x4_kernelILj128ELj64EillaaiEEvT3_20rocsparse_direction_NS_24const_host_device_scalarIT1_EES1_PKS1_PKT2_SA_S7_PKT4_PKT5_S5_PT6_21rocsparse_index_base_b: ; @_ZN9rocsparseL18bsrxmvn_4x4_kernelILj128ELj64EillaaiEEvT3_20rocsparse_direction_NS_24const_host_device_scalarIT1_EES1_PKS1_PKT2_SA_S7_PKT4_PKT5_S5_PT6_21rocsparse_index_base_b
; %bb.0:
	s_clause 0x1
	s_load_b64 s[2:3], s[0:1], 0x60
	s_load_b128 s[4:7], s[0:1], 0x10
	s_mov_b32 s10, -1
                                        ; implicit-def: $sgpr12
	s_wait_kmcnt 0x0
	s_bitcmp1_b32 s3, 0
	s_cselect_b32 s3, -1, 0
	s_delay_alu instid0(SALU_CYCLE_1) | instskip(NEXT) | instid1(SALU_CYCLE_1)
	s_xor_b32 s3, s3, -1
	s_and_b32 vcc_lo, exec_lo, s3
	s_cbranch_vccnz .LBB74_4
; %bb.1:
	s_load_b64 s[8:9], s[0:1], 0x50
	s_and_not1_b32 vcc_lo, exec_lo, s10
	s_cbranch_vccz .LBB74_5
.LBB74_2:
	s_and_b32 vcc_lo, exec_lo, s3
	s_cbranch_vccz .LBB74_6
.LBB74_3:
	s_wait_kmcnt 0x0
	s_load_b32 s13, s[8:9], 0x0
	s_cbranch_execz .LBB74_7
	s_branch .LBB74_8
.LBB74_4:
	s_load_b32 s12, s[4:5], 0x0
	s_load_b64 s[8:9], s[0:1], 0x50
	s_cbranch_execnz .LBB74_2
.LBB74_5:
	s_wait_kmcnt 0x0
	s_mov_b32 s12, s4
	s_and_b32 vcc_lo, exec_lo, s3
	s_cbranch_vccnz .LBB74_3
.LBB74_6:
                                        ; implicit-def: $sgpr13
.LBB74_7:
	s_wait_kmcnt 0x0
	s_mov_b32 s13, s8
.LBB74_8:
	s_wait_kmcnt 0x0
	s_cmp_lg_u32 s12, 0
	s_mov_b32 s8, 0
	s_cselect_b32 s3, -1, 0
	s_cmp_lg_u32 s13, 1
	s_cselect_b32 s4, -1, 0
	s_delay_alu instid0(SALU_CYCLE_1) | instskip(NEXT) | instid1(SALU_CYCLE_1)
	s_or_b32 s3, s3, s4
	s_and_not1_b32 vcc_lo, exec_lo, s3
	s_cbranch_vccnz .LBB74_14
; %bb.9:
	s_load_b64 s[4:5], s[0:1], 0x20
	v_lshrrev_b32_e32 v1, 6, v0
	v_mov_b32_e32 v2, 0
	s_delay_alu instid0(VALU_DEP_2)
	v_lshl_or_b32 v1, ttmp9, 1, v1
	s_wait_kmcnt 0x0
	s_cmp_lg_u64 s[4:5], 0
	s_cbranch_scc0 .LBB74_15
; %bb.10:
	s_delay_alu instid0(VALU_DEP_1) | instskip(SKIP_2) | instid1(SALU_CYCLE_1)
	v_cmp_gt_i64_e32 vcc_lo, s[6:7], v[1:2]
	s_mov_b32 s6, 0
                                        ; implicit-def: $vgpr8_vgpr9
                                        ; implicit-def: $vgpr10_vgpr11
	s_and_saveexec_b32 s3, vcc_lo
	s_xor_b32 s7, exec_lo, s3
	s_cbranch_execz .LBB74_12
; %bb.11:
	v_lshlrev_b64_e32 v[3:4], 3, v[1:2]
	s_mov_b32 s3, 0
	s_mov_b32 s8, exec_lo
	v_dual_mov_b32 v11, s3 :: v_dual_mov_b32 v10, s2
	s_delay_alu instid0(VALU_DEP_2) | instskip(NEXT) | instid1(VALU_DEP_1)
	v_add_co_u32 v3, vcc_lo, s4, v3
	v_add_co_ci_u32_e64 v4, null, s5, v4, vcc_lo
	global_load_b64 v[3:4], v[3:4], off
	s_wait_loadcnt 0x0
	v_sub_co_u32 v8, vcc_lo, v3, s2
	s_wait_alu 0xfffd
	v_subrev_co_ci_u32_e64 v9, null, 0, v4, vcc_lo
.LBB74_12:
	s_wait_alu 0xfffe
	s_or_b32 exec_lo, exec_lo, s7
	s_delay_alu instid0(SALU_CYCLE_1)
	s_and_b32 vcc_lo, exec_lo, s6
	s_wait_alu 0xfffe
	s_cbranch_vccnz .LBB74_16
.LBB74_13:
	s_and_saveexec_b32 s2, s8
	s_cbranch_execnz .LBB74_19
.LBB74_14:
	s_endpgm
.LBB74_15:
                                        ; implicit-def: $vgpr8_vgpr9
                                        ; implicit-def: $vgpr10_vgpr11
	s_cbranch_execz .LBB74_13
.LBB74_16:
	s_load_b64 s[4:5], s[0:1], 0x0
	s_wait_kmcnt 0x0
	v_cmp_gt_i64_e32 vcc_lo, s[4:5], v[1:2]
	s_and_saveexec_b32 s4, vcc_lo
; %bb.17:
	s_mov_b32 s3, 0
	s_or_b32 s8, s8, exec_lo
; %bb.18:
	s_wait_alu 0xfffe
	s_or_b32 exec_lo, exec_lo, s4
	v_dual_mov_b32 v11, s3 :: v_dual_mov_b32 v10, s2
	v_dual_mov_b32 v9, v2 :: v_dual_mov_b32 v8, v1
	s_and_saveexec_b32 s2, s8
	s_cbranch_execz .LBB74_14
.LBB74_19:
	s_load_b256 s[4:11], s[0:1], 0x28
	s_delay_alu instid0(VALU_DEP_1) | instskip(SKIP_3) | instid1(VALU_DEP_2)
	v_lshlrev_b64_e32 v[1:2], 3, v[8:9]
	v_and_b32_e32 v26, 63, v0
	s_load_b32 s3, s[0:1], 0x8
	s_wait_kmcnt 0x0
	v_add_co_u32 v3, vcc_lo, s4, v1
	s_wait_alu 0xfffd
	v_add_co_ci_u32_e64 v4, null, s5, v2, vcc_lo
	v_add_co_u32 v1, vcc_lo, s6, v1
	s_wait_alu 0xfffd
	v_add_co_ci_u32_e64 v2, null, s7, v2, vcc_lo
	v_add_co_u32 v5, vcc_lo, v3, 8
	global_load_b64 v[16:17], v[3:4], off
	s_wait_alu 0xfffd
	v_add_co_ci_u32_e64 v6, null, 0, v4, vcc_lo
	s_cmp_eq_u64 s[6:7], 0
	s_load_b64 s[4:5], s[0:1], 0x48
	s_cselect_b32 vcc_lo, -1, 0
	v_mov_b32_e32 v4, 0
	s_wait_alu 0xfffe
	v_dual_cndmask_b32 v2, v2, v6 :: v_dual_cndmask_b32 v1, v1, v5
	s_cmp_eq_u32 s3, 1
	global_load_b64 v[1:2], v[1:2], off
	s_wait_loadcnt 0x1
	v_sub_co_u32 v0, vcc_lo, v16, v10
	s_wait_alu 0xfffd
	v_sub_co_ci_u32_e64 v3, null, v17, v11, vcc_lo
	s_delay_alu instid0(VALU_DEP_2) | instskip(SKIP_1) | instid1(VALU_DEP_2)
	v_add_co_u32 v14, vcc_lo, v0, v26
	s_wait_alu 0xfffd
	v_add_co_ci_u32_e64 v15, null, 0, v3, vcc_lo
	s_wait_loadcnt 0x0
	v_sub_co_u32 v18, vcc_lo, v1, v10
	s_delay_alu instid0(VALU_DEP_2) | instskip(SKIP_2) | instid1(VALU_DEP_2)
	v_lshlrev_b64_e32 v[0:1], 4, v[14:15]
	s_wait_alu 0xfffd
	v_sub_co_ci_u32_e64 v19, null, v2, v11, vcc_lo
	v_add_co_u32 v12, vcc_lo, s10, v0
	s_delay_alu instid0(VALU_DEP_2)
	v_cmp_lt_i64_e64 s2, v[14:15], v[18:19]
	s_wait_alu 0xfffd
	v_add_co_ci_u32_e64 v13, null, s11, v1, vcc_lo
	s_cbranch_scc1 .LBB74_31
; %bb.20:
	v_dual_mov_b32 v2, 0 :: v_dual_mov_b32 v1, 0
	v_mov_b32_e32 v0, 0
	s_and_saveexec_b32 s6, s2
	s_cbranch_execz .LBB74_30
; %bb.21:
	v_or_b32_e32 v0, 64, v26
	v_not_b32_e32 v3, v16
	v_sub_co_u32 v4, s3, v10, v26
	v_not_b32_e32 v2, v17
	s_delay_alu instid0(VALU_DEP_4)
	v_sub_co_u32 v0, vcc_lo, v0, v10
	s_wait_alu 0xfffd
	v_sub_co_ci_u32_e64 v1, null, 0, v11, vcc_lo
	s_wait_alu 0xf1ff
	v_subrev_co_ci_u32_e64 v5, null, 0, v11, s3
	v_add_co_u32 v0, vcc_lo, v0, v16
	s_wait_alu 0xfffd
	v_add_co_ci_u32_e64 v1, null, v1, v17, vcc_lo
	s_mov_b32 s7, 0
	v_dual_mov_b32 v21, v15 :: v_dual_mov_b32 v20, v14
	v_cmp_gt_i64_e32 vcc_lo, v[0:1], v[18:19]
	s_wait_alu 0xfffd
	v_dual_cndmask_b32 v1, v19, v1 :: v_dual_cndmask_b32 v0, v18, v0
	v_add_co_u32 v3, vcc_lo, v4, v3
	s_wait_alu 0xfffd
	v_add_co_ci_u32_e64 v2, null, v5, v2, vcc_lo
	v_mov_b32_e32 v4, 0
	s_delay_alu instid0(VALU_DEP_3) | instskip(SKIP_1) | instid1(VALU_DEP_3)
	v_add_co_u32 v22, vcc_lo, v3, v0
	s_wait_alu 0xfffd
	v_add_co_ci_u32_e64 v23, null, v2, v1, vcc_lo
	s_delay_alu instid0(VALU_DEP_3) | instskip(SKIP_1) | instid1(VALU_DEP_3)
	v_dual_mov_b32 v5, v4 :: v_dual_mov_b32 v6, v4
	v_mov_b32_e32 v7, v4
	v_lshrrev_b64 v[24:25], 6, v[22:23]
	s_delay_alu instid0(VALU_DEP_3) | instskip(NEXT) | instid1(VALU_DEP_3)
	v_dual_mov_b32 v0, v4 :: v_dual_mov_b32 v1, v5
	v_dual_mov_b32 v2, v6 :: v_dual_mov_b32 v3, v7
	v_cmp_lt_u64_e32 vcc_lo, 0xbf, v[22:23]
	s_delay_alu instid0(VALU_DEP_4)
	v_add_co_u32 v7, s3, v24, 1
	s_wait_alu 0xf1ff
	v_add_co_ci_u32_e64 v23, null, 0, v25, s3
	v_dual_mov_b32 v5, v12 :: v_dual_mov_b32 v6, v13
	s_and_saveexec_b32 s3, vcc_lo
	s_cbranch_execz .LBB74_25
; %bb.22:
	v_lshlrev_b64_e32 v[0:1], 3, v[14:15]
	v_dual_mov_b32 v2, 0 :: v_dual_mov_b32 v5, v12
	v_and_b32_e32 v22, -4, v7
	v_dual_mov_b32 v6, v13 :: v_dual_mov_b32 v21, v15
	s_delay_alu instid0(VALU_DEP_4) | instskip(SKIP_3) | instid1(VALU_DEP_3)
	v_add_co_u32 v0, vcc_lo, s8, v0
	s_wait_alu 0xfffd
	v_add_co_ci_u32_e64 v3, null, s9, v1, vcc_lo
	v_mov_b32_e32 v1, 0
	v_add_co_u32 v24, vcc_lo, 0x400, v0
	v_mov_b32_e32 v0, 0
	s_wait_alu 0xfffd
	v_add_co_ci_u32_e64 v25, null, 0, v3, vcc_lo
	v_mov_b32_e32 v20, v14
.LBB74_23:                              ; =>This Inner Loop Header: Depth=1
	s_clause 0x3
	global_load_b64 v[39:40], v[24:25], off offset:-1024
	global_load_b64 v[41:42], v[24:25], off offset:-512
	global_load_b64 v[43:44], v[24:25], off
	global_load_b64 v[45:46], v[24:25], off offset:512
	s_clause 0x2
	global_load_b128 v[27:30], v[5:6], off
	global_load_b128 v[31:34], v[5:6], off offset:1024
	global_load_b128 v[35:38], v[5:6], off offset:2048
	s_wait_loadcnt 0x6
	v_sub_co_u32 v39, vcc_lo, v39, v10
	s_wait_alu 0xfffd
	v_sub_co_ci_u32_e64 v40, null, v40, v11, vcc_lo
	s_wait_loadcnt 0x5
	v_sub_co_u32 v41, vcc_lo, v41, v10
	s_wait_alu 0xfffd
	v_sub_co_ci_u32_e64 v42, null, v42, v11, vcc_lo
	;; [unrolled: 4-line block ×3, first 2 shown]
	v_lshlrev_b64_e32 v[39:40], 2, v[39:40]
	v_lshlrev_b64_e32 v[41:42], 2, v[41:42]
	s_wait_loadcnt 0x1
	v_lshrrev_b16 v49, 8, v34
	v_lshlrev_b64_e32 v[43:44], 2, v[43:44]
	v_ashrrev_i32_e32 v50, 24, v34
	v_bfe_i32 v51, v34, 16, 8
	s_wait_kmcnt 0x0
	v_add_co_u32 v39, vcc_lo, s4, v39
	s_wait_alu 0xfffd
	v_add_co_ci_u32_e64 v40, null, s5, v40, vcc_lo
	v_add_co_u32 v41, vcc_lo, s4, v41
	s_wait_alu 0xfffd
	v_add_co_ci_u32_e64 v42, null, s5, v42, vcc_lo
	;; [unrolled: 3-line block ×3, first 2 shown]
	s_clause 0x2
	global_load_b32 v3, v[39:40], off
	global_load_b32 v47, v[41:42], off
	;; [unrolled: 1-line block ×3, first 2 shown]
	v_sub_co_u32 v39, vcc_lo, v45, v10
	s_wait_alu 0xfffd
	v_sub_co_ci_u32_e64 v40, null, v46, v11, vcc_lo
	v_ashrrev_i32_e32 v45, 24, v30
	v_bfe_i32 v34, v34, 0, 8
	v_bfe_i32 v49, v49, 0, 8
	s_delay_alu instid0(VALU_DEP_4)
	v_lshlrev_b64_e32 v[39:40], 2, v[39:40]
	v_bfe_i32 v46, v30, 0, 8
	s_wait_loadcnt 0x3
	v_bfe_i32 v54, v38, 16, 8
	v_bfe_i32 v52, v38, 0, 8
	;; [unrolled: 1-line block ×3, first 2 shown]
	v_ashrrev_i32_e32 v38, 24, v38
	v_add_co_u32 v43, vcc_lo, s4, v39
	s_wait_alu 0xfffd
	v_add_co_ci_u32_e64 v44, null, s5, v40, vcc_lo
	global_load_b128 v[39:42], v[5:6], off offset:3072
	global_load_b32 v43, v[43:44], off
	v_lshrrev_b16 v44, 8, v30
	v_bfe_i32 v30, v30, 16, 8
	v_add_co_u32 v5, vcc_lo, 0x1000, v5
	s_wait_alu 0xfffd
	v_add_co_ci_u32_e64 v6, null, 0, v6, vcc_lo
	v_bfe_i32 v44, v44, 0, 8
	v_add_co_u32 v20, vcc_lo, 0x100, v20
	s_wait_alu 0xfffd
	v_add_co_ci_u32_e64 v21, null, 0, v21, vcc_lo
	v_add_co_u32 v22, vcc_lo, v22, -4
	s_wait_alu 0xfffd
	v_add_co_ci_u32_e64 v23, null, -1, v23, vcc_lo
	v_add_co_u32 v24, vcc_lo, 0x800, v24
	s_wait_alu 0xfffd
	v_add_co_ci_u32_e64 v25, null, 0, v25, vcc_lo
	s_delay_alu instid0(VALU_DEP_3)
	v_cmp_eq_u64_e32 vcc_lo, 0, v[22:23]
	s_wait_alu 0xfffe
	s_or_b32 s7, vcc_lo, s7
	s_wait_loadcnt 0x4
	v_lshrrev_b16 v55, 8, v3
	v_ashrrev_i32_e32 v56, 24, v3
	v_bfe_i32 v57, v3, 0, 8
	v_bfe_i32 v58, v3, 16, 8
	v_dot4_i32_iu8 v0, v3, v27, v0 neg_lo:[1,1,0]
	v_dot4_i32_iu8 v1, v3, v28, v1 neg_lo:[1,1,0]
	;; [unrolled: 1-line block ×3, first 2 shown]
	s_wait_loadcnt 0x3
	v_lshrrev_b16 v3, 8, v47
	v_ashrrev_i32_e32 v27, 24, v47
	v_bfe_i32 v28, v47, 16, 8
	v_bfe_i32 v29, v47, 0, 8
	;; [unrolled: 1-line block ×4, first 2 shown]
	v_mul_i32_i24_e32 v27, v50, v27
	s_wait_loadcnt 0x2
	v_bfe_i32 v59, v48, 16, 8
	v_mul_i32_i24_e32 v29, v34, v29
	v_mul_i32_i24_e32 v28, v51, v28
	;; [unrolled: 1-line block ×4, first 2 shown]
	v_mad_i32_i24 v27, v45, v56, v27
	v_bfe_i32 v61, v48, 8, 8
	v_bfe_i32 v62, v48, 0, 8
	v_mul_i32_i24_e32 v44, v54, v59
	v_mad_i32_i24 v28, v30, v58, v28
	v_mad_i32_i24 v29, v46, v57, v29
	v_add3_u32 v3, v34, v3, v27
	v_ashrrev_i32_e32 v60, 24, v48
	v_mul_i32_i24_e32 v27, v62, v52
	v_mad_i32_i24 v30, v61, v53, v44
	v_dot4_i32_iu8 v0, v47, v31, v0 neg_lo:[1,1,0]
	v_add3_u32 v3, v29, v28, v3
	v_dot4_i32_iu8 v1, v47, v32, v1 neg_lo:[1,1,0]
	v_dot4_i32_iu8 v2, v47, v33, v2 neg_lo:[1,1,0]
	v_mul_i32_i24_e32 v28, v38, v60
	v_dot4_i32_iu8 v0, v48, v35, v0 neg_lo:[1,1,0]
	v_add3_u32 v3, v3, v27, v30
	v_dot4_i32_iu8 v1, v36, v48, v1 neg_lo:[1,1,0]
	v_dot4_i32_iu8 v2, v37, v48, v2 neg_lo:[1,1,0]
	s_wait_loadcnt 0x0
	v_dot4_i32_iu8 v0, v43, v39, v0 neg_lo:[1,1,0]
	v_add3_u32 v3, v3, v4, v28
	v_dot4_i32_iu8 v1, v43, v40, v1 neg_lo:[1,1,0]
	v_dot4_i32_iu8 v2, v43, v41, v2 neg_lo:[1,1,0]
	s_delay_alu instid0(VALU_DEP_3)
	v_dot4_i32_iu8 v4, v43, v42, v3 neg_lo:[1,1,0]
	s_wait_alu 0xfffe
	s_and_not1_b32 exec_lo, exec_lo, s7
	s_cbranch_execnz .LBB74_23
; %bb.24:
	s_or_b32 exec_lo, exec_lo, s7
	v_mov_b32_e32 v3, v4
.LBB74_25:
	s_wait_alu 0xfffe
	s_or_b32 exec_lo, exec_lo, s3
	v_dual_mov_b32 v23, 0 :: v_dual_and_b32 v22, 3, v7
	s_mov_b32 s3, exec_lo
	s_delay_alu instid0(VALU_DEP_1)
	v_cmpx_ne_u64_e32 0, v[22:23]
	s_cbranch_execz .LBB74_29
; %bb.26:
	v_lshlrev_b64_e32 v[20:21], 3, v[20:21]
	v_lshlrev_b32_e32 v22, 1, v22
	s_mov_b32 s7, 0
	s_delay_alu instid0(VALU_DEP_2) | instskip(SKIP_1) | instid1(VALU_DEP_3)
	v_add_co_u32 v20, vcc_lo, s8, v20
	s_wait_alu 0xfffd
	v_add_co_ci_u32_e64 v21, null, s9, v21, vcc_lo
.LBB74_27:                              ; =>This Inner Loop Header: Depth=1
	global_load_b64 v[24:25], v[20:21], off
	s_wait_loadcnt 0x0
	v_sub_co_u32 v24, vcc_lo, v24, v10
	s_wait_alu 0xfffd
	v_sub_co_ci_u32_e64 v25, null, v25, v11, vcc_lo
	s_delay_alu instid0(VALU_DEP_1) | instskip(SKIP_1) | instid1(VALU_DEP_1)
	v_lshlrev_b64_e32 v[24:25], 2, v[24:25]
	s_wait_kmcnt 0x0
	v_add_co_u32 v24, vcc_lo, s4, v24
	s_wait_alu 0xfffd
	s_delay_alu instid0(VALU_DEP_2)
	v_add_co_ci_u32_e64 v25, null, s5, v25, vcc_lo
	global_load_b128 v[27:30], v[5:6], off
	global_load_b32 v4, v[24:25], off
	v_add_co_u32 v5, vcc_lo, 0x400, v5
	s_wait_alu 0xfffd
	v_add_co_ci_u32_e64 v6, null, 0, v6, vcc_lo
	v_add_co_u32 v22, vcc_lo, v22, -2
	s_wait_alu 0xfffd
	v_add_co_ci_u32_e64 v23, null, -1, v23, vcc_lo
	v_add_co_u32 v20, vcc_lo, 0x200, v20
	s_wait_alu 0xfffd
	v_add_co_ci_u32_e64 v21, null, 0, v21, vcc_lo
	s_delay_alu instid0(VALU_DEP_3)
	v_cmp_eq_u64_e32 vcc_lo, 0, v[22:23]
	s_wait_alu 0xfffe
	s_or_b32 s7, vcc_lo, s7
	s_wait_loadcnt 0x0
	v_dot4_i32_iu8 v3, v4, v30, v3 neg_lo:[1,1,0]
	v_dot4_i32_iu8 v2, v4, v29, v2 neg_lo:[1,1,0]
	;; [unrolled: 1-line block ×4, first 2 shown]
	s_wait_alu 0xfffe
	s_and_not1_b32 exec_lo, exec_lo, s7
	s_cbranch_execnz .LBB74_27
; %bb.28:
	s_or_b32 exec_lo, exec_lo, s7
	v_mov_b32_e32 v4, v3
.LBB74_29:
	s_wait_alu 0xfffe
	s_or_b32 exec_lo, exec_lo, s3
.LBB74_30:
	s_wait_alu 0xfffe
	s_or_b32 exec_lo, exec_lo, s6
	s_cbranch_execz .LBB74_32
	s_branch .LBB74_43
.LBB74_31:
                                        ; implicit-def: $vgpr4
                                        ; implicit-def: $vgpr2
.LBB74_32:
	v_dual_mov_b32 v4, 0 :: v_dual_mov_b32 v1, 0
	v_mov_b32_e32 v2, 0
	v_mov_b32_e32 v0, 0
	s_and_saveexec_b32 s3, s2
	s_cbranch_execz .LBB74_42
; %bb.33:
	v_or_b32_e32 v0, 64, v26
	v_not_b32_e32 v3, v16
	v_sub_co_u32 v4, s2, v10, v26
	v_not_b32_e32 v2, v17
	s_delay_alu instid0(VALU_DEP_4)
	v_sub_co_u32 v0, vcc_lo, v0, v10
	s_wait_alu 0xfffd
	v_sub_co_ci_u32_e64 v1, null, 0, v11, vcc_lo
	s_wait_alu 0xf1ff
	v_subrev_co_ci_u32_e64 v5, null, 0, v11, s2
	v_add_co_u32 v0, vcc_lo, v0, v16
	s_wait_alu 0xfffd
	v_add_co_ci_u32_e64 v1, null, v1, v17, vcc_lo
	s_mov_b32 s6, 0
	v_cmp_gt_i64_e32 vcc_lo, v[0:1], v[18:19]
	s_wait_alu 0xfffd
	v_dual_cndmask_b32 v1, v19, v1 :: v_dual_cndmask_b32 v0, v18, v0
	v_add_co_u32 v3, vcc_lo, v4, v3
	s_wait_alu 0xfffd
	v_add_co_ci_u32_e64 v2, null, v5, v2, vcc_lo
	v_mov_b32_e32 v4, 0
	s_delay_alu instid0(VALU_DEP_3) | instskip(SKIP_1) | instid1(VALU_DEP_3)
	v_add_co_u32 v0, vcc_lo, v3, v0
	s_wait_alu 0xfffd
	v_add_co_ci_u32_e64 v1, null, v2, v1, vcc_lo
	s_delay_alu instid0(VALU_DEP_3) | instskip(SKIP_1) | instid1(VALU_DEP_3)
	v_dual_mov_b32 v5, v4 :: v_dual_mov_b32 v6, v4
	v_mov_b32_e32 v7, v4
	v_lshrrev_b64 v[2:3], 6, v[0:1]
	v_cmp_lt_u64_e32 vcc_lo, 0xbf, v[0:1]
	s_delay_alu instid0(VALU_DEP_2) | instskip(SKIP_1) | instid1(VALU_DEP_3)
	v_add_co_u32 v18, s2, v2, 1
	s_wait_alu 0xf1ff
	v_add_co_ci_u32_e64 v17, null, 0, v3, s2
	v_dual_mov_b32 v0, v4 :: v_dual_mov_b32 v1, v5
	v_dual_mov_b32 v2, v6 :: v_dual_mov_b32 v3, v7
	s_and_saveexec_b32 s2, vcc_lo
	s_cbranch_execz .LBB74_37
; %bb.34:
	v_lshlrev_b64_e32 v[0:1], 3, v[14:15]
	v_and_b32_e32 v16, -4, v18
	v_mov_b32_e32 v2, 0
	s_delay_alu instid0(VALU_DEP_3) | instskip(SKIP_1) | instid1(VALU_DEP_4)
	v_add_co_u32 v0, vcc_lo, s8, v0
	s_wait_alu 0xfffd
	v_add_co_ci_u32_e64 v3, null, s9, v1, vcc_lo
	v_mov_b32_e32 v1, 0
	s_delay_alu instid0(VALU_DEP_3) | instskip(SKIP_1) | instid1(VALU_DEP_3)
	v_add_co_u32 v5, vcc_lo, 0x400, v0
	s_wait_alu 0xfffd
	v_add_co_ci_u32_e64 v6, null, 0, v3, vcc_lo
	v_mov_b32_e32 v0, 0
.LBB74_35:                              ; =>This Inner Loop Header: Depth=1
	s_clause 0x3
	global_load_b64 v[23:24], v[5:6], off offset:-1024
	global_load_b64 v[39:40], v[5:6], off offset:-512
	global_load_b64 v[41:42], v[5:6], off
	global_load_b64 v[43:44], v[5:6], off offset:512
	s_clause 0x3
	global_load_b128 v[19:22], v[12:13], off
	global_load_b128 v[27:30], v[12:13], off offset:1024
	global_load_b128 v[31:34], v[12:13], off offset:2048
	;; [unrolled: 1-line block ×3, first 2 shown]
	s_wait_loadcnt 0x7
	v_sub_co_u32 v23, vcc_lo, v23, v10
	s_wait_alu 0xfffd
	v_sub_co_ci_u32_e64 v24, null, v24, v11, vcc_lo
	s_wait_loadcnt 0x6
	v_sub_co_u32 v39, vcc_lo, v39, v10
	s_wait_alu 0xfffd
	v_sub_co_ci_u32_e64 v40, null, v40, v11, vcc_lo
	s_wait_loadcnt 0x5
	v_sub_co_u32 v41, vcc_lo, v41, v10
	s_wait_alu 0xfffd
	v_sub_co_ci_u32_e64 v42, null, v42, v11, vcc_lo
	v_lshlrev_b64_e32 v[23:24], 2, v[23:24]
	v_lshlrev_b64_e32 v[39:40], 2, v[39:40]
	s_wait_loadcnt 0x2
	v_perm_b32 v45, v27, v22, 0xc0c0501
	v_lshlrev_b64_e32 v[41:42], 2, v[41:42]
	v_perm_b32 v46, v29, v28, 0x5010c0c
	v_perm_b32 v47, v27, v22, 0xc0c0602
	s_wait_kmcnt 0x0
	v_add_co_u32 v23, vcc_lo, s4, v23
	s_wait_alu 0xfffd
	v_add_co_ci_u32_e64 v24, null, s5, v24, vcc_lo
	v_add_co_u32 v39, vcc_lo, s4, v39
	s_wait_alu 0xfffd
	v_add_co_ci_u32_e64 v40, null, s5, v40, vcc_lo
	;; [unrolled: 3-line block ×3, first 2 shown]
	s_clause 0x2
	global_load_b32 v3, v[23:24], off
	global_load_b32 v7, v[39:40], off
	;; [unrolled: 1-line block ×3, first 2 shown]
	v_sub_co_u32 v23, vcc_lo, v43, v10
	s_wait_alu 0xfffd
	v_sub_co_ci_u32_e64 v24, null, v44, v11, vcc_lo
	v_perm_b32 v40, v21, v20, 0xc05010c
	v_perm_b32 v42, v21, v20, 0xc06020c
	;; [unrolled: 1-line block ×3, first 2 shown]
	s_delay_alu instid0(VALU_DEP_4)
	v_lshlrev_b64_e32 v[23:24], 2, v[23:24]
	v_perm_b32 v48, v29, v28, 0x6020c0c
	s_wait_loadcnt 0x4
	v_perm_b32 v50, v31, v30, 0xc0c0501
	v_perm_b32 v52, v31, v30, 0xc0c0602
	;; [unrolled: 1-line block ×4, first 2 shown]
	v_add_co_u32 v23, vcc_lo, s4, v23
	s_wait_alu 0xfffd
	v_add_co_ci_u32_e64 v24, null, s5, v24, vcc_lo
	v_perm_b32 v43, v19, v19, 0xc0c0c02
	v_perm_b32 v19, v19, v19, 0xc0c0c03
	;; [unrolled: 1-line block ×3, first 2 shown]
	global_load_b32 v23, v[23:24], off
	v_perm_b32 v24, v21, v20, 0xc04000c
	v_perm_b32 v20, v21, v20, 0xc07030c
	;; [unrolled: 1-line block ×5, first 2 shown]
	v_lshrrev_b32_e32 v28, 16, v34
	v_perm_b32 v29, v31, v30, 0xc0c0400
	v_perm_b32 v30, v31, v30, 0xc0c0703
	;; [unrolled: 1-line block ×5, first 2 shown]
	v_ashrrev_i16 v32, 8, v34
	v_bfe_i32 v33, v34, 0, 8
	v_or_b32_e32 v30, v31, v30
	v_ashrrev_i16 v31, 8, v28
	v_bfe_i32 v28, v28, 0, 8
	s_wait_loadcnt 0x4
	v_perm_b32 v34, v36, v35, 0xc0c0703
	v_perm_b32 v54, v38, v37, 0x7030c0c
	v_perm_b32 v55, v36, v35, 0xc0c0602
	v_perm_b32 v56, v38, v37, 0x6020c0c
	v_perm_b32 v57, v36, v35, 0xc0c0501
	v_perm_b32 v58, v38, v37, 0x5010c0c
	v_perm_b32 v35, v36, v35, 0xc0c0400
	v_perm_b32 v36, v38, v37, 0x4000c0c
	v_or_b32_e32 v24, v24, v39
	v_or_b32_e32 v37, v40, v41
	;; [unrolled: 1-line block ×4, first 2 shown]
	v_perm_b32 v28, v31, v28, 0x5040100
	v_or_b32_e32 v20, v44, v21
	v_or_b32_e32 v21, v46, v45
	;; [unrolled: 1-line block ×4, first 2 shown]
	v_perm_b32 v32, v32, v33, 0x5040100
	v_or_b32_e32 v27, v49, v29
	v_or_b32_e32 v29, v51, v50
	;; [unrolled: 1-line block ×3, first 2 shown]
	v_add_co_u32 v12, vcc_lo, 0x1000, v12
	s_wait_alu 0xfffd
	v_add_co_ci_u32_e64 v13, null, 0, v13, vcc_lo
	v_add_co_u32 v14, vcc_lo, 0x100, v14
	s_wait_alu 0xfffd
	v_add_co_ci_u32_e64 v15, null, 0, v15, vcc_lo
	v_add_co_u32 v16, vcc_lo, v16, -4
	s_wait_alu 0xfffd
	v_add_co_ci_u32_e64 v17, null, -1, v17, vcc_lo
	v_add_co_u32 v5, vcc_lo, 0x800, v5
	v_or_b32_e32 v33, v54, v34
	v_or_b32_e32 v34, v56, v55
	;; [unrolled: 1-line block ×3, first 2 shown]
	s_wait_alu 0xfffd
	v_add_co_ci_u32_e64 v6, null, 0, v6, vcc_lo
	v_cmp_eq_u64_e32 vcc_lo, 0, v[16:17]
	s_wait_alu 0xfffe
	s_or_b32 s6, vcc_lo, s6
	s_wait_loadcnt 0x3
	v_perm_b32 v31, v3, v3, 0xc020100
	s_wait_loadcnt 0x2
	v_perm_b32 v3, v7, v3, 0x6050403
	s_wait_loadcnt 0x1
	v_lshrrev_b32_e32 v42, 24, v25
	v_perm_b32 v7, v25, v7, 0x6050403
	v_dot4_i32_iu8 v0, v31, v24, v0 neg_lo:[1,1,0]
	v_dot4_i32_iu8 v1, v37, v31, v1 neg_lo:[1,1,0]
	;; [unrolled: 1-line block ×4, first 2 shown]
	v_bfe_i32 v19, v42, 0, 8
	v_dot4_i32_iu8 v0, v3, v20, v0 neg_lo:[1,1,0]
	v_dot4_i32_iu8 v1, v21, v3, v1 neg_lo:[1,1,0]
	;; [unrolled: 1-line block ×4, first 2 shown]
	v_pk_mul_lo_u16 v4, v19, v32 op_sel_hi:[0,1]
	v_pk_mul_lo_u16 v19, v19, v28 op_sel_hi:[0,1]
	v_dot4_i32_iu8 v0, v7, v27, v0 neg_lo:[1,1,0]
	v_dot4_i32_iu8 v1, v29, v7, v1 neg_lo:[1,1,0]
	;; [unrolled: 1-line block ×4, first 2 shown]
	v_ashrrev_i32_e32 v7, 16, v19
	v_bfe_i32 v19, v19, 0, 16
	v_ashrrev_i32_e32 v20, 16, v4
	v_bfe_i32 v4, v4, 0, 16
	v_or_b32_e32 v21, v36, v35
	v_add_nc_u32_e32 v3, v3, v7
	v_add_nc_u32_e32 v2, v2, v19
	;; [unrolled: 1-line block ×4, first 2 shown]
	s_wait_loadcnt 0x0
	v_dot4_i32_iu8 v4, v23, v33, v3 neg_lo:[1,1,0]
	v_dot4_i32_iu8 v2, v23, v34, v2 neg_lo:[1,1,0]
	;; [unrolled: 1-line block ×4, first 2 shown]
	s_wait_alu 0xfffe
	s_and_not1_b32 exec_lo, exec_lo, s6
	s_cbranch_execnz .LBB74_35
; %bb.36:
	s_or_b32 exec_lo, exec_lo, s6
	v_mov_b32_e32 v3, v4
.LBB74_37:
	s_wait_alu 0xfffe
	s_or_b32 exec_lo, exec_lo, s2
	v_dual_mov_b32 v6, 0 :: v_dual_and_b32 v5, 3, v18
	s_mov_b32 s2, exec_lo
	s_delay_alu instid0(VALU_DEP_1)
	v_cmpx_ne_u64_e32 0, v[5:6]
	s_cbranch_execz .LBB74_41
; %bb.38:
	v_lshlrev_b64_e32 v[14:15], 3, v[14:15]
	v_lshlrev_b32_e32 v5, 1, v5
	s_mov_b32 s6, 0
	s_delay_alu instid0(VALU_DEP_2) | instskip(SKIP_1) | instid1(VALU_DEP_3)
	v_add_co_u32 v14, vcc_lo, s8, v14
	s_wait_alu 0xfffd
	v_add_co_ci_u32_e64 v15, null, s9, v15, vcc_lo
.LBB74_39:                              ; =>This Inner Loop Header: Depth=1
	global_load_b64 v[20:21], v[14:15], off
	global_load_b128 v[16:19], v[12:13], off
	s_wait_loadcnt 0x1
	v_sub_co_u32 v20, vcc_lo, v20, v10
	s_wait_alu 0xfffd
	v_sub_co_ci_u32_e64 v21, null, v21, v11, vcc_lo
	s_wait_loadcnt 0x0
	v_perm_b32 v7, v17, v16, 0xc0c0703
	v_perm_b32 v22, v19, v18, 0x6020c0c
	;; [unrolled: 1-line block ×3, first 2 shown]
	v_lshlrev_b64_e32 v[20:21], 2, v[20:21]
	v_perm_b32 v24, v19, v18, 0x5010c0c
	s_wait_kmcnt 0x0
	s_delay_alu instid0(VALU_DEP_2) | instskip(SKIP_1) | instid1(VALU_DEP_3)
	v_add_co_u32 v20, vcc_lo, s4, v20
	s_wait_alu 0xfffd
	v_add_co_ci_u32_e64 v21, null, s5, v21, vcc_lo
	v_add_co_u32 v12, vcc_lo, 0x400, v12
	s_wait_alu 0xfffd
	v_add_co_ci_u32_e64 v13, null, 0, v13, vcc_lo
	global_load_b32 v4, v[20:21], off
	v_add_co_u32 v14, vcc_lo, 0x200, v14
	s_wait_alu 0xfffd
	v_add_co_ci_u32_e64 v15, null, 0, v15, vcc_lo
	v_add_co_u32 v5, vcc_lo, v5, -2
	v_perm_b32 v20, v19, v18, 0x7030c0c
	v_perm_b32 v21, v17, v16, 0xc0c0602
	;; [unrolled: 1-line block ×4, first 2 shown]
	s_wait_alu 0xfffd
	v_add_co_ci_u32_e64 v6, null, -1, v6, vcc_lo
	v_or_b32_e32 v7, v20, v7
	v_or_b32_e32 v18, v22, v21
	;; [unrolled: 1-line block ×4, first 2 shown]
	v_cmp_eq_u64_e32 vcc_lo, 0, v[5:6]
	s_wait_alu 0xfffe
	s_or_b32 s6, vcc_lo, s6
	s_wait_loadcnt 0x0
	v_dot4_i32_iu8 v3, v4, v7, v3 neg_lo:[1,1,0]
	v_dot4_i32_iu8 v2, v4, v18, v2 neg_lo:[1,1,0]
	;; [unrolled: 1-line block ×4, first 2 shown]
	s_wait_alu 0xfffe
	s_and_not1_b32 exec_lo, exec_lo, s6
	s_cbranch_execnz .LBB74_39
; %bb.40:
	s_or_b32 exec_lo, exec_lo, s6
	v_mov_b32_e32 v4, v3
.LBB74_41:
	s_wait_alu 0xfffe
	s_or_b32 exec_lo, exec_lo, s2
.LBB74_42:
	s_wait_alu 0xfffe
	s_or_b32 exec_lo, exec_lo, s3
.LBB74_43:
	v_mbcnt_lo_u32_b32 v3, -1, 0
	s_mov_b32 s2, -1
	s_delay_alu instid0(VALU_DEP_1) | instskip(SKIP_1) | instid1(VALU_DEP_2)
	v_or_b32_e32 v5, 32, v3
	v_xor_b32_e32 v11, 16, v3
	v_cmp_gt_i32_e32 vcc_lo, 32, v5
	s_wait_alu 0xfffd
	v_cndmask_b32_e32 v5, v3, v5, vcc_lo
	s_delay_alu instid0(VALU_DEP_3) | instskip(NEXT) | instid1(VALU_DEP_2)
	v_cmp_gt_i32_e32 vcc_lo, 32, v11
	v_lshlrev_b32_e32 v5, 2, v5
	ds_bpermute_b32 v6, v5, v0
	ds_bpermute_b32 v7, v5, v1
	;; [unrolled: 1-line block ×4, first 2 shown]
	s_wait_dscnt 0x3
	s_wait_alu 0xfffd
	v_dual_cndmask_b32 v11, v3, v11 :: v_dual_add_nc_u32 v0, v6, v0
	s_wait_dscnt 0x2
	v_add_nc_u32_e32 v1, v7, v1
	s_wait_dscnt 0x1
	v_add_nc_u32_e32 v2, v10, v2
	v_lshlrev_b32_e32 v11, 2, v11
	s_wait_dscnt 0x0
	v_add_nc_u32_e32 v4, v5, v4
	ds_bpermute_b32 v5, v11, v0
	ds_bpermute_b32 v6, v11, v1
	ds_bpermute_b32 v7, v11, v2
	ds_bpermute_b32 v10, v11, v4
	v_xor_b32_e32 v11, 8, v3
	s_delay_alu instid0(VALU_DEP_1) | instskip(SKIP_2) | instid1(VALU_DEP_1)
	v_cmp_gt_i32_e32 vcc_lo, 32, v11
	s_wait_alu 0xfffd
	v_cndmask_b32_e32 v11, v3, v11, vcc_lo
	v_lshlrev_b32_e32 v11, 2, v11
	s_wait_dscnt 0x3
	v_add_nc_u32_e32 v0, v5, v0
	s_wait_dscnt 0x2
	v_add_nc_u32_e32 v1, v6, v1
	s_wait_dscnt 0x1
	v_add_nc_u32_e32 v2, v7, v2
	s_wait_dscnt 0x0
	v_add_nc_u32_e32 v4, v10, v4
	ds_bpermute_b32 v5, v11, v0
	ds_bpermute_b32 v6, v11, v1
	ds_bpermute_b32 v7, v11, v2
	ds_bpermute_b32 v10, v11, v4
	v_xor_b32_e32 v11, 4, v3
	s_delay_alu instid0(VALU_DEP_1) | instskip(SKIP_2) | instid1(VALU_DEP_1)
	v_cmp_gt_i32_e32 vcc_lo, 32, v11
	s_wait_alu 0xfffd
	v_cndmask_b32_e32 v11, v3, v11, vcc_lo
	v_lshlrev_b32_e32 v11, 2, v11
	s_wait_dscnt 0x3
	v_add_nc_u32_e32 v0, v5, v0
	s_wait_dscnt 0x2
	v_add_nc_u32_e32 v1, v6, v1
	s_wait_dscnt 0x1
	v_add_nc_u32_e32 v2, v7, v2
	;; [unrolled: 18-line block ×3, first 2 shown]
	s_wait_dscnt 0x0
	v_add_nc_u32_e32 v4, v10, v4
	ds_bpermute_b32 v5, v11, v0
	ds_bpermute_b32 v6, v11, v1
	ds_bpermute_b32 v7, v11, v2
	ds_bpermute_b32 v10, v11, v4
	v_xor_b32_e32 v11, 1, v3
	s_delay_alu instid0(VALU_DEP_1) | instskip(SKIP_3) | instid1(VALU_DEP_2)
	v_cmp_gt_i32_e32 vcc_lo, 32, v11
	s_wait_alu 0xfffd
	v_cndmask_b32_e32 v3, v3, v11, vcc_lo
	v_cmp_eq_u32_e32 vcc_lo, 63, v26
	v_lshlrev_b32_e32 v11, 2, v3
	s_wait_dscnt 0x3
	v_add_nc_u32_e32 v0, v5, v0
	s_wait_dscnt 0x2
	v_add_nc_u32_e32 v1, v6, v1
	;; [unrolled: 2-line block ×4, first 2 shown]
	ds_bpermute_b32 v4, v11, v0
	ds_bpermute_b32 v5, v11, v1
	;; [unrolled: 1-line block ×4, first 2 shown]
	s_and_b32 exec_lo, exec_lo, vcc_lo
	s_cbranch_execz .LBB74_14
; %bb.44:
	s_load_b64 s[0:1], s[0:1], 0x58
	s_wait_dscnt 0x3
	v_add_nc_u32_e32 v0, v4, v0
	s_wait_dscnt 0x2
	v_add_nc_u32_e32 v1, v5, v1
	;; [unrolled: 2-line block ×4, first 2 shown]
	v_lshlrev_b64_e32 v[4:5], 4, v[8:9]
	v_mul_lo_u32 v0, v0, s12
	v_mul_lo_u32 v1, v1, s12
	;; [unrolled: 1-line block ×4, first 2 shown]
	s_cmp_eq_u32 s13, 0
	s_cbranch_scc1 .LBB74_46
; %bb.45:
	s_wait_kmcnt 0x0
	v_add_co_u32 v13, vcc_lo, s0, v4
	s_wait_alu 0xfffd
	v_add_co_ci_u32_e64 v14, null, s1, v5, vcc_lo
	s_mov_b32 s2, 0
	global_load_b128 v[6:9], v[13:14], off
	s_wait_loadcnt 0x0
	v_mad_co_u64_u32 v[15:16], null, v9, s13, v[3:4]
	v_mad_co_u64_u32 v[9:10], null, v6, s13, v[0:1]
	;; [unrolled: 1-line block ×4, first 2 shown]
	s_delay_alu instid0(VALU_DEP_4)
	v_mov_b32_e32 v12, v15
	global_store_b128 v[13:14], v[9:12], off
.LBB74_46:
	s_wait_alu 0xfffe
	s_and_not1_b32 vcc_lo, exec_lo, s2
	s_wait_alu 0xfffe
	s_cbranch_vccnz .LBB74_14
; %bb.47:
	s_wait_kmcnt 0x0
	v_add_co_u32 v4, vcc_lo, s0, v4
	s_wait_alu 0xfffd
	v_add_co_ci_u32_e64 v5, null, s1, v5, vcc_lo
	global_store_b128 v[4:5], v[0:3], off
	s_endpgm
	.section	.rodata,"a",@progbits
	.p2align	6, 0x0
	.amdhsa_kernel _ZN9rocsparseL18bsrxmvn_4x4_kernelILj128ELj64EillaaiEEvT3_20rocsparse_direction_NS_24const_host_device_scalarIT1_EES1_PKS1_PKT2_SA_S7_PKT4_PKT5_S5_PT6_21rocsparse_index_base_b
		.amdhsa_group_segment_fixed_size 0
		.amdhsa_private_segment_fixed_size 0
		.amdhsa_kernarg_size 104
		.amdhsa_user_sgpr_count 2
		.amdhsa_user_sgpr_dispatch_ptr 0
		.amdhsa_user_sgpr_queue_ptr 0
		.amdhsa_user_sgpr_kernarg_segment_ptr 1
		.amdhsa_user_sgpr_dispatch_id 0
		.amdhsa_user_sgpr_private_segment_size 0
		.amdhsa_wavefront_size32 1
		.amdhsa_uses_dynamic_stack 0
		.amdhsa_enable_private_segment 0
		.amdhsa_system_sgpr_workgroup_id_x 1
		.amdhsa_system_sgpr_workgroup_id_y 0
		.amdhsa_system_sgpr_workgroup_id_z 0
		.amdhsa_system_sgpr_workgroup_info 0
		.amdhsa_system_vgpr_workitem_id 0
		.amdhsa_next_free_vgpr 63
		.amdhsa_next_free_sgpr 14
		.amdhsa_reserve_vcc 1
		.amdhsa_float_round_mode_32 0
		.amdhsa_float_round_mode_16_64 0
		.amdhsa_float_denorm_mode_32 3
		.amdhsa_float_denorm_mode_16_64 3
		.amdhsa_fp16_overflow 0
		.amdhsa_workgroup_processor_mode 1
		.amdhsa_memory_ordered 1
		.amdhsa_forward_progress 1
		.amdhsa_inst_pref_size 40
		.amdhsa_round_robin_scheduling 0
		.amdhsa_exception_fp_ieee_invalid_op 0
		.amdhsa_exception_fp_denorm_src 0
		.amdhsa_exception_fp_ieee_div_zero 0
		.amdhsa_exception_fp_ieee_overflow 0
		.amdhsa_exception_fp_ieee_underflow 0
		.amdhsa_exception_fp_ieee_inexact 0
		.amdhsa_exception_int_div_zero 0
	.end_amdhsa_kernel
	.section	.text._ZN9rocsparseL18bsrxmvn_4x4_kernelILj128ELj64EillaaiEEvT3_20rocsparse_direction_NS_24const_host_device_scalarIT1_EES1_PKS1_PKT2_SA_S7_PKT4_PKT5_S5_PT6_21rocsparse_index_base_b,"axG",@progbits,_ZN9rocsparseL18bsrxmvn_4x4_kernelILj128ELj64EillaaiEEvT3_20rocsparse_direction_NS_24const_host_device_scalarIT1_EES1_PKS1_PKT2_SA_S7_PKT4_PKT5_S5_PT6_21rocsparse_index_base_b,comdat
.Lfunc_end74:
	.size	_ZN9rocsparseL18bsrxmvn_4x4_kernelILj128ELj64EillaaiEEvT3_20rocsparse_direction_NS_24const_host_device_scalarIT1_EES1_PKS1_PKT2_SA_S7_PKT4_PKT5_S5_PT6_21rocsparse_index_base_b, .Lfunc_end74-_ZN9rocsparseL18bsrxmvn_4x4_kernelILj128ELj64EillaaiEEvT3_20rocsparse_direction_NS_24const_host_device_scalarIT1_EES1_PKS1_PKT2_SA_S7_PKT4_PKT5_S5_PT6_21rocsparse_index_base_b
                                        ; -- End function
	.set _ZN9rocsparseL18bsrxmvn_4x4_kernelILj128ELj64EillaaiEEvT3_20rocsparse_direction_NS_24const_host_device_scalarIT1_EES1_PKS1_PKT2_SA_S7_PKT4_PKT5_S5_PT6_21rocsparse_index_base_b.num_vgpr, 63
	.set _ZN9rocsparseL18bsrxmvn_4x4_kernelILj128ELj64EillaaiEEvT3_20rocsparse_direction_NS_24const_host_device_scalarIT1_EES1_PKS1_PKT2_SA_S7_PKT4_PKT5_S5_PT6_21rocsparse_index_base_b.num_agpr, 0
	.set _ZN9rocsparseL18bsrxmvn_4x4_kernelILj128ELj64EillaaiEEvT3_20rocsparse_direction_NS_24const_host_device_scalarIT1_EES1_PKS1_PKT2_SA_S7_PKT4_PKT5_S5_PT6_21rocsparse_index_base_b.numbered_sgpr, 14
	.set _ZN9rocsparseL18bsrxmvn_4x4_kernelILj128ELj64EillaaiEEvT3_20rocsparse_direction_NS_24const_host_device_scalarIT1_EES1_PKS1_PKT2_SA_S7_PKT4_PKT5_S5_PT6_21rocsparse_index_base_b.num_named_barrier, 0
	.set _ZN9rocsparseL18bsrxmvn_4x4_kernelILj128ELj64EillaaiEEvT3_20rocsparse_direction_NS_24const_host_device_scalarIT1_EES1_PKS1_PKT2_SA_S7_PKT4_PKT5_S5_PT6_21rocsparse_index_base_b.private_seg_size, 0
	.set _ZN9rocsparseL18bsrxmvn_4x4_kernelILj128ELj64EillaaiEEvT3_20rocsparse_direction_NS_24const_host_device_scalarIT1_EES1_PKS1_PKT2_SA_S7_PKT4_PKT5_S5_PT6_21rocsparse_index_base_b.uses_vcc, 1
	.set _ZN9rocsparseL18bsrxmvn_4x4_kernelILj128ELj64EillaaiEEvT3_20rocsparse_direction_NS_24const_host_device_scalarIT1_EES1_PKS1_PKT2_SA_S7_PKT4_PKT5_S5_PT6_21rocsparse_index_base_b.uses_flat_scratch, 0
	.set _ZN9rocsparseL18bsrxmvn_4x4_kernelILj128ELj64EillaaiEEvT3_20rocsparse_direction_NS_24const_host_device_scalarIT1_EES1_PKS1_PKT2_SA_S7_PKT4_PKT5_S5_PT6_21rocsparse_index_base_b.has_dyn_sized_stack, 0
	.set _ZN9rocsparseL18bsrxmvn_4x4_kernelILj128ELj64EillaaiEEvT3_20rocsparse_direction_NS_24const_host_device_scalarIT1_EES1_PKS1_PKT2_SA_S7_PKT4_PKT5_S5_PT6_21rocsparse_index_base_b.has_recursion, 0
	.set _ZN9rocsparseL18bsrxmvn_4x4_kernelILj128ELj64EillaaiEEvT3_20rocsparse_direction_NS_24const_host_device_scalarIT1_EES1_PKS1_PKT2_SA_S7_PKT4_PKT5_S5_PT6_21rocsparse_index_base_b.has_indirect_call, 0
	.section	.AMDGPU.csdata,"",@progbits
; Kernel info:
; codeLenInByte = 5020
; TotalNumSgprs: 16
; NumVgprs: 63
; ScratchSize: 0
; MemoryBound: 0
; FloatMode: 240
; IeeeMode: 1
; LDSByteSize: 0 bytes/workgroup (compile time only)
; SGPRBlocks: 0
; VGPRBlocks: 7
; NumSGPRsForWavesPerEU: 16
; NumVGPRsForWavesPerEU: 63
; Occupancy: 16
; WaveLimiterHint : 1
; COMPUTE_PGM_RSRC2:SCRATCH_EN: 0
; COMPUTE_PGM_RSRC2:USER_SGPR: 2
; COMPUTE_PGM_RSRC2:TRAP_HANDLER: 0
; COMPUTE_PGM_RSRC2:TGID_X_EN: 1
; COMPUTE_PGM_RSRC2:TGID_Y_EN: 0
; COMPUTE_PGM_RSRC2:TGID_Z_EN: 0
; COMPUTE_PGM_RSRC2:TIDIG_COMP_CNT: 0
	.section	.text._ZN9rocsparseL18bsrxmvn_4x4_kernelILj128ELj4EfiiaafEEvT3_20rocsparse_direction_NS_24const_host_device_scalarIT1_EES1_PKS1_PKT2_SA_S7_PKT4_PKT5_S5_PT6_21rocsparse_index_base_b,"axG",@progbits,_ZN9rocsparseL18bsrxmvn_4x4_kernelILj128ELj4EfiiaafEEvT3_20rocsparse_direction_NS_24const_host_device_scalarIT1_EES1_PKS1_PKT2_SA_S7_PKT4_PKT5_S5_PT6_21rocsparse_index_base_b,comdat
	.globl	_ZN9rocsparseL18bsrxmvn_4x4_kernelILj128ELj4EfiiaafEEvT3_20rocsparse_direction_NS_24const_host_device_scalarIT1_EES1_PKS1_PKT2_SA_S7_PKT4_PKT5_S5_PT6_21rocsparse_index_base_b ; -- Begin function _ZN9rocsparseL18bsrxmvn_4x4_kernelILj128ELj4EfiiaafEEvT3_20rocsparse_direction_NS_24const_host_device_scalarIT1_EES1_PKS1_PKT2_SA_S7_PKT4_PKT5_S5_PT6_21rocsparse_index_base_b
	.p2align	8
	.type	_ZN9rocsparseL18bsrxmvn_4x4_kernelILj128ELj4EfiiaafEEvT3_20rocsparse_direction_NS_24const_host_device_scalarIT1_EES1_PKS1_PKT2_SA_S7_PKT4_PKT5_S5_PT6_21rocsparse_index_base_b,@function
_ZN9rocsparseL18bsrxmvn_4x4_kernelILj128ELj4EfiiaafEEvT3_20rocsparse_direction_NS_24const_host_device_scalarIT1_EES1_PKS1_PKT2_SA_S7_PKT4_PKT5_S5_PT6_21rocsparse_index_base_b: ; @_ZN9rocsparseL18bsrxmvn_4x4_kernelILj128ELj4EfiiaafEEvT3_20rocsparse_direction_NS_24const_host_device_scalarIT1_EES1_PKS1_PKT2_SA_S7_PKT4_PKT5_S5_PT6_21rocsparse_index_base_b
; %bb.0:
	s_clause 0x2
	s_load_b64 s[16:17], s[0:1], 0x58
	s_load_b64 s[14:15], s[0:1], 0x8
	;; [unrolled: 1-line block ×3, first 2 shown]
	s_wait_kmcnt 0x0
	s_bitcmp1_b32 s17, 0
	s_cselect_b32 s2, -1, 0
	s_delay_alu instid0(SALU_CYCLE_1)
	s_and_b32 vcc_lo, exec_lo, s2
	s_xor_b32 s2, s2, -1
	s_cbranch_vccnz .LBB75_2
; %bb.1:
	s_load_b32 s14, s[14:15], 0x0
.LBB75_2:
	s_and_not1_b32 vcc_lo, exec_lo, s2
	s_cbranch_vccnz .LBB75_4
; %bb.3:
	s_load_b32 s12, s[12:13], 0x0
.LBB75_4:
	s_wait_kmcnt 0x0
	s_cmp_neq_f32 s14, 0
	s_mov_b32 s6, 0
	s_cselect_b32 s2, -1, 0
	s_cmp_neq_f32 s12, 1.0
	s_cselect_b32 s3, -1, 0
	s_delay_alu instid0(SALU_CYCLE_1) | instskip(NEXT) | instid1(SALU_CYCLE_1)
	s_or_b32 s2, s2, s3
	s_and_not1_b32 vcc_lo, exec_lo, s2
	s_cbranch_vccnz .LBB75_10
; %bb.5:
	s_clause 0x1
	s_load_b64 s[4:5], s[0:1], 0x18
	s_load_b64 s[2:3], s[0:1], 0x0
	v_lshrrev_b32_e32 v1, 2, v0
	s_delay_alu instid0(VALU_DEP_1)
	v_lshl_or_b32 v4, ttmp9, 5, v1
	s_wait_kmcnt 0x0
	s_cmp_lg_u64 s[4:5], 0
	s_cbranch_scc0 .LBB75_11
; %bb.6:
	s_load_b32 s6, s[0:1], 0x10
	s_mov_b32 s7, 0
                                        ; implicit-def: $vgpr1
	s_wait_kmcnt 0x0
	v_cmp_gt_i32_e32 vcc_lo, s6, v4
	s_mov_b32 s6, 0
	s_and_saveexec_b32 s8, vcc_lo
	s_delay_alu instid0(SALU_CYCLE_1)
	s_xor_b32 s8, exec_lo, s8
	s_cbranch_execz .LBB75_8
; %bb.7:
	v_ashrrev_i32_e32 v5, 31, v4
	s_mov_b32 s6, exec_lo
	s_delay_alu instid0(VALU_DEP_1) | instskip(NEXT) | instid1(VALU_DEP_1)
	v_lshlrev_b64_e32 v[1:2], 2, v[4:5]
	v_add_co_u32 v1, vcc_lo, s4, v1
	s_delay_alu instid0(VALU_DEP_1)
	v_add_co_ci_u32_e64 v2, null, s5, v2, vcc_lo
	global_load_b32 v1, v[1:2], off
	s_wait_loadcnt 0x0
	v_subrev_nc_u32_e32 v1, s16, v1
.LBB75_8:
	s_or_b32 exec_lo, exec_lo, s8
	s_delay_alu instid0(SALU_CYCLE_1)
	s_and_b32 vcc_lo, exec_lo, s7
	s_wait_alu 0xfffe
	s_cbranch_vccz .LBB75_12
.LBB75_9:
	v_cmp_gt_i32_e32 vcc_lo, s2, v4
	s_and_not1_b32 s2, s6, exec_lo
	s_and_b32 s4, vcc_lo, exec_lo
	s_wait_alu 0xfffe
	s_or_b32 s6, s2, s4
	s_wait_alu 0xfffe
	s_and_saveexec_b32 s2, s6
	s_cbranch_execnz .LBB75_13
.LBB75_10:
	s_endpgm
.LBB75_11:
                                        ; implicit-def: $vgpr1
	s_cbranch_execnz .LBB75_9
.LBB75_12:
	v_mov_b32_e32 v4, v1
	s_and_saveexec_b32 s2, s6
	s_cbranch_execz .LBB75_10
.LBB75_13:
	s_load_b256 s[4:11], s[0:1], 0x20
	s_delay_alu instid0(VALU_DEP_1) | instskip(SKIP_1) | instid1(VALU_DEP_2)
	v_ashrrev_i32_e32 v5, 31, v4
	v_and_b32_e32 v9, 3, v0
	v_lshlrev_b64_e32 v[1:2], 2, v[4:5]
	s_wait_kmcnt 0x0
	s_delay_alu instid0(VALU_DEP_1) | instskip(SKIP_1) | instid1(VALU_DEP_2)
	v_add_co_u32 v5, vcc_lo, s4, v1
	s_wait_alu 0xfffd
	v_add_co_ci_u32_e64 v6, null, s5, v2, vcc_lo
	v_add_co_u32 v1, vcc_lo, s6, v1
	s_wait_alu 0xfffd
	v_add_co_ci_u32_e64 v2, null, s7, v2, vcc_lo
	global_load_b32 v15, v[5:6], off
	v_add_co_u32 v3, vcc_lo, v5, 4
	s_wait_alu 0xfffd
	v_add_co_ci_u32_e64 v5, null, 0, v6, vcc_lo
	s_cmp_eq_u64 s[6:7], 0
	s_load_b64 s[6:7], s[0:1], 0x40
	s_cselect_b32 vcc_lo, -1, 0
	s_cmp_eq_u32 s3, 1
	s_wait_alu 0xfffe
	v_dual_cndmask_b32 v2, v2, v5 :: v_dual_cndmask_b32 v1, v1, v3
	global_load_b32 v5, v[1:2], off
	s_wait_loadcnt 0x1
	v_subrev_nc_u32_e32 v0, s16, v15
	s_delay_alu instid0(VALU_DEP_1) | instskip(NEXT) | instid1(VALU_DEP_1)
	v_add_nc_u32_e32 v0, v0, v9
	v_ashrrev_i32_e32 v1, 31, v0
	s_wait_loadcnt 0x0
	v_subrev_nc_u32_e32 v10, s16, v5
	s_delay_alu instid0(VALU_DEP_2) | instskip(NEXT) | instid1(VALU_DEP_2)
	v_lshlrev_b64_e32 v[2:3], 4, v[0:1]
	v_cmp_lt_i32_e64 s2, v0, v10
	s_delay_alu instid0(VALU_DEP_2) | instskip(SKIP_1) | instid1(VALU_DEP_3)
	v_add_co_u32 v2, vcc_lo, s10, v2
	s_wait_alu 0xfffd
	v_add_co_ci_u32_e64 v3, null, s11, v3, vcc_lo
	s_cbranch_scc1 .LBB75_25
; %bb.14:
	v_dual_mov_b32 v11, 0 :: v_dual_mov_b32 v14, 0
	v_dual_mov_b32 v13, 0 :: v_dual_mov_b32 v12, 0
	s_and_saveexec_b32 s10, s2
	s_cbranch_execz .LBB75_24
; %bb.15:
	v_dual_mov_b32 v12, 0 :: v_dual_add_nc_u32 v1, v15, v9
	v_not_b32_e32 v5, v15
	v_dual_mov_b32 v11, 0 :: v_dual_mov_b32 v8, v3
	s_delay_alu instid0(VALU_DEP_3) | instskip(SKIP_3) | instid1(VALU_DEP_3)
	v_subrev_nc_u32_e32 v1, s16, v1
	v_mov_b32_e32 v7, v2
	s_mov_b32 s3, exec_lo
	v_dual_mov_b32 v14, 0 :: v_dual_mov_b32 v13, 0
	v_add_nc_u32_e32 v1, 4, v1
	s_delay_alu instid0(VALU_DEP_1) | instskip(NEXT) | instid1(VALU_DEP_1)
	v_max_i32_e32 v1, v1, v10
	v_add3_u32 v1, s16, v1, v5
	v_mov_b32_e32 v5, v0
	s_delay_alu instid0(VALU_DEP_2) | instskip(NEXT) | instid1(VALU_DEP_1)
	v_sub_nc_u32_e32 v1, v1, v9
	v_and_b32_e32 v6, 12, v1
	s_delay_alu instid0(VALU_DEP_1)
	v_cmpx_ne_u32_e32 12, v6
	s_cbranch_execz .LBB75_19
; %bb.16:
	v_lshrrev_b32_e32 v5, 2, v1
	v_mov_b32_e32 v13, 0
	s_mov_b32 s4, 0
	v_dual_mov_b32 v8, v3 :: v_dual_mov_b32 v7, v2
	s_delay_alu instid0(VALU_DEP_3) | instskip(SKIP_1) | instid1(VALU_DEP_2)
	v_dual_mov_b32 v14, 0 :: v_dual_add_nc_u32 v5, 1, v5
	v_dual_mov_b32 v11, 0 :: v_dual_mov_b32 v12, 0
	v_dual_mov_b32 v5, v0 :: v_dual_and_b32 v6, 3, v5
	s_delay_alu instid0(VALU_DEP_1)
	v_sub_nc_u32_e32 v16, 0, v6
.LBB75_17:                              ; =>This Inner Loop Header: Depth=1
	s_delay_alu instid0(VALU_DEP_2) | instskip(NEXT) | instid1(VALU_DEP_2)
	v_ashrrev_i32_e32 v6, 31, v5
	v_add_co_u32 v16, s5, v16, 1
	s_wait_alu 0xfffe
	s_or_b32 s4, s5, s4
	s_delay_alu instid0(VALU_DEP_2) | instskip(NEXT) | instid1(VALU_DEP_1)
	v_lshlrev_b64_e32 v[17:18], 2, v[5:6]
	v_add_co_u32 v17, vcc_lo, s8, v17
	s_wait_alu 0xfffd
	s_delay_alu instid0(VALU_DEP_2) | instskip(SKIP_3) | instid1(VALU_DEP_1)
	v_add_co_ci_u32_e64 v18, null, s9, v18, vcc_lo
	global_load_b32 v6, v[17:18], off
	s_wait_loadcnt 0x0
	v_subrev_nc_u32_e32 v6, s16, v6
	v_lshlrev_b32_e32 v6, 2, v6
	s_delay_alu instid0(VALU_DEP_1) | instskip(SKIP_3) | instid1(VALU_DEP_2)
	v_ashrrev_i32_e32 v17, 31, v6
	s_wait_kmcnt 0x0
	v_add_co_u32 v21, vcc_lo, s6, v6
	s_wait_alu 0xfffd
	v_add_co_ci_u32_e64 v22, null, s7, v17, vcc_lo
	global_load_b128 v[17:20], v[7:8], off
	global_load_b32 v6, v[21:22], off
	v_add_co_u32 v7, vcc_lo, v7, 64
	s_wait_alu 0xfffd
	v_add_co_ci_u32_e64 v8, null, 0, v8, vcc_lo
	s_wait_loadcnt 0x1
	v_bfe_i32 v21, v17, 0, 8
	v_bfe_i32 v24, v18, 0, 8
	;; [unrolled: 1-line block ×4, first 2 shown]
	s_wait_loadcnt 0x0
	v_bfe_i32 v33, v6, 0, 8
	v_bfe_i32 v22, v17, 8, 8
	;; [unrolled: 1-line block ×5, first 2 shown]
	v_cvt_f32_i32_e32 v21, v21
	v_cvt_f32_i32_e32 v24, v24
	;; [unrolled: 1-line block ×4, first 2 shown]
	v_bfe_i32 v34, v6, 8, 8
	v_cvt_f32_i32_e32 v33, v33
	v_bfe_i32 v23, v17, 16, 8
	v_bfe_i32 v26, v18, 16, 8
	;; [unrolled: 1-line block ×4, first 2 shown]
	v_cvt_f32_i32_e32 v22, v22
	v_cvt_f32_i32_e32 v25, v25
	;; [unrolled: 1-line block ×4, first 2 shown]
	v_bfe_i32 v35, v6, 16, 8
	v_cvt_f32_i32_e32 v34, v34
	v_fmac_f32_e32 v13, v27, v33
	v_fmac_f32_e32 v12, v21, v33
	;; [unrolled: 1-line block ×4, first 2 shown]
	v_ashrrev_i32_e32 v17, 24, v17
	v_ashrrev_i32_e32 v18, 24, v18
	;; [unrolled: 1-line block ×4, first 2 shown]
	v_cvt_f32_i32_e32 v23, v23
	v_cvt_f32_i32_e32 v26, v26
	;; [unrolled: 1-line block ×4, first 2 shown]
	v_ashrrev_i32_e32 v6, 24, v6
	v_cvt_f32_i32_e32 v21, v35
	v_fmac_f32_e32 v13, v28, v34
	v_fmac_f32_e32 v12, v22, v34
	;; [unrolled: 1-line block ×4, first 2 shown]
	v_cvt_f32_i32_e32 v17, v17
	v_cvt_f32_i32_e32 v18, v18
	;; [unrolled: 1-line block ×5, first 2 shown]
	v_fmac_f32_e32 v13, v29, v21
	v_fmac_f32_e32 v14, v26, v21
	v_fmac_f32_e32 v11, v32, v21
	v_fmac_f32_e32 v12, v23, v21
	s_delay_alu instid0(VALU_DEP_4) | instskip(NEXT) | instid1(VALU_DEP_4)
	v_fmac_f32_e32 v13, v19, v6
	v_dual_fmac_f32 v14, v18, v6 :: v_dual_add_nc_u32 v5, 4, v5
	s_delay_alu instid0(VALU_DEP_4) | instskip(NEXT) | instid1(VALU_DEP_4)
	v_fmac_f32_e32 v11, v20, v6
	v_fmac_f32_e32 v12, v17, v6
	s_wait_alu 0xfffe
	s_and_not1_b32 exec_lo, exec_lo, s4
	s_cbranch_execnz .LBB75_17
; %bb.18:
	s_or_b32 exec_lo, exec_lo, s4
.LBB75_19:
	s_wait_alu 0xfffe
	s_or_b32 exec_lo, exec_lo, s3
	s_delay_alu instid0(SALU_CYCLE_1)
	s_mov_b32 s11, exec_lo
	v_cmpx_lt_u32_e32 11, v1
	s_cbranch_execz .LBB75_23
; %bb.20:
	s_mov_b32 s13, 0
.LBB75_21:                              ; =>This Inner Loop Header: Depth=1
	v_ashrrev_i32_e32 v6, 31, v5
	s_delay_alu instid0(VALU_DEP_1) | instskip(NEXT) | instid1(VALU_DEP_1)
	v_lshlrev_b64_e32 v[16:17], 2, v[5:6]
	v_add_co_u32 v16, vcc_lo, s8, v16
	s_wait_alu 0xfffd
	s_delay_alu instid0(VALU_DEP_2)
	v_add_co_ci_u32_e64 v17, null, s9, v17, vcc_lo
	s_clause 0x3
	global_load_b32 v1, v[16:17], off
	global_load_b32 v6, v[16:17], off offset:16
	global_load_b32 v32, v[16:17], off offset:32
	global_load_b32 v33, v[16:17], off offset:48
	s_clause 0x3
	global_load_b128 v[16:19], v[7:8], off
	global_load_b128 v[20:23], v[7:8], off offset:64
	global_load_b128 v[24:27], v[7:8], off offset:128
	;; [unrolled: 1-line block ×3, first 2 shown]
	s_wait_loadcnt 0x7
	v_subrev_nc_u32_e32 v1, s16, v1
	s_wait_loadcnt 0x6
	v_subrev_nc_u32_e32 v6, s16, v6
	s_wait_loadcnt 0x5
	v_subrev_nc_u32_e32 v32, s16, v32
	s_wait_loadcnt 0x4
	v_subrev_nc_u32_e32 v33, s16, v33
	s_wait_loadcnt 0x3
	v_bfe_i32 v41, v18, 8, 8
	v_lshlrev_b32_e32 v1, 2, v1
	v_bfe_i32 v43, v19, 0, 8
	v_lshlrev_b32_e32 v34, 2, v32
	v_lshlrev_b32_e32 v33, 2, v33
	v_cvt_f32_i32_e32 v41, v41
	v_lshlrev_b32_e32 v6, 2, v6
	v_ashrrev_i32_e32 v35, 31, v1
	s_wait_kmcnt 0x0
	v_add_co_u32 v38, s5, s6, v1
	v_ashrrev_i32_e32 v40, 31, v33
	v_ashrrev_i32_e32 v37, 31, v6
	v_add_co_u32 v32, vcc_lo, s6, v6
	v_ashrrev_i32_e32 v6, 31, v34
	v_add_co_u32 v34, s3, s6, v34
	s_wait_alu 0xf1ff
	v_add_co_ci_u32_e64 v39, null, s7, v35, s5
	v_add_co_u32 v36, s4, s6, v33
	s_wait_alu 0xfffd
	v_add_co_ci_u32_e64 v33, null, s7, v37, vcc_lo
	v_add_co_ci_u32_e64 v35, null, s7, v6, s3
	s_wait_alu 0xf1ff
	v_add_co_ci_u32_e64 v37, null, s7, v40, s4
	s_clause 0x3
	global_load_b32 v1, v[38:39], off
	global_load_b32 v6, v[32:33], off
	;; [unrolled: 1-line block ×4, first 2 shown]
	v_bfe_i32 v34, v16, 0, 8
	v_bfe_i32 v40, v18, 0, 8
	;; [unrolled: 1-line block ×5, first 2 shown]
	v_cvt_f32_i32_e32 v34, v34
	v_cvt_f32_i32_e32 v40, v40
	v_bfe_i32 v38, v17, 8, 8
	v_bfe_i32 v42, v18, 16, 8
	;; [unrolled: 1-line block ×3, first 2 shown]
	v_cvt_f32_i32_e32 v35, v35
	v_cvt_f32_i32_e32 v37, v37
	;; [unrolled: 1-line block ×3, first 2 shown]
	v_ashrrev_i32_e32 v16, 24, v16
	v_bfe_i32 v39, v17, 16, 8
	v_ashrrev_i32_e32 v18, 24, v18
	v_bfe_i32 v45, v19, 16, 8
	v_cvt_f32_i32_e32 v36, v36
	v_cvt_f32_i32_e32 v38, v38
	;; [unrolled: 1-line block ×4, first 2 shown]
	v_ashrrev_i32_e32 v17, 24, v17
	v_ashrrev_i32_e32 v19, 24, v19
	s_wait_loadcnt 0x6
	v_bfe_i32 v46, v20, 0, 8
	v_bfe_i32 v47, v20, 8, 8
	;; [unrolled: 1-line block ×3, first 2 shown]
	v_cvt_f32_i32_e32 v16, v16
	v_cvt_f32_i32_e32 v39, v39
	;; [unrolled: 1-line block ×4, first 2 shown]
	v_bfe_i32 v49, v21, 0, 8
	v_bfe_i32 v53, v22, 8, 8
	;; [unrolled: 1-line block ×3, first 2 shown]
	v_cvt_f32_i32_e32 v17, v17
	v_cvt_f32_i32_e32 v19, v19
	;; [unrolled: 1-line block ×5, first 2 shown]
	v_bfe_i32 v48, v20, 16, 8
	v_bfe_i32 v50, v21, 8, 8
	;; [unrolled: 1-line block ×4, first 2 shown]
	v_cvt_f32_i32_e32 v49, v49
	v_cvt_f32_i32_e32 v53, v53
	;; [unrolled: 1-line block ×3, first 2 shown]
	v_ashrrev_i32_e32 v20, 24, v20
	v_bfe_i32 v51, v21, 16, 8
	v_ashrrev_i32_e32 v22, 24, v22
	v_bfe_i32 v57, v23, 16, 8
	v_cvt_f32_i32_e32 v48, v48
	v_cvt_f32_i32_e32 v50, v50
	;; [unrolled: 1-line block ×4, first 2 shown]
	v_ashrrev_i32_e32 v21, 24, v21
	v_ashrrev_i32_e32 v23, 24, v23
	s_wait_loadcnt 0x5
	v_bfe_i32 v58, v24, 0, 8
	v_bfe_i32 v64, v26, 0, 8
	v_cvt_f32_i32_e32 v20, v20
	v_cvt_f32_i32_e32 v51, v51
	;; [unrolled: 1-line block ×4, first 2 shown]
	v_bfe_i32 v61, v25, 0, 8
	v_bfe_i32 v67, v27, 0, 8
	v_cvt_f32_i32_e32 v21, v21
	v_cvt_f32_i32_e32 v23, v23
	;; [unrolled: 1-line block ×4, first 2 shown]
	v_bfe_i32 v59, v24, 8, 8
	v_bfe_i32 v62, v25, 8, 8
	;; [unrolled: 1-line block ×4, first 2 shown]
	v_cvt_f32_i32_e32 v61, v61
	v_cvt_f32_i32_e32 v67, v67
	v_bfe_i32 v60, v24, 16, 8
	v_bfe_i32 v63, v25, 16, 8
	;; [unrolled: 1-line block ×4, first 2 shown]
	v_cvt_f32_i32_e32 v59, v59
	v_cvt_f32_i32_e32 v62, v62
	;; [unrolled: 1-line block ×4, first 2 shown]
	v_ashrrev_i32_e32 v24, 24, v24
	v_ashrrev_i32_e32 v25, 24, v25
	;; [unrolled: 1-line block ×4, first 2 shown]
	v_cvt_f32_i32_e32 v60, v60
	v_cvt_f32_i32_e32 v63, v63
	;; [unrolled: 1-line block ×4, first 2 shown]
	s_wait_loadcnt 0x4
	v_bfe_i32 v70, v28, 0, 8
	v_bfe_i32 v73, v29, 0, 8
	v_bfe_i32 v76, v30, 0, 8
	v_bfe_i32 v79, v31, 0, 8
	v_cvt_f32_i32_e32 v24, v24
	v_cvt_f32_i32_e32 v25, v25
	v_cvt_f32_i32_e32 v26, v26
	v_cvt_f32_i32_e32 v27, v27
	v_bfe_i32 v71, v28, 8, 8
	v_bfe_i32 v74, v29, 8, 8
	v_bfe_i32 v77, v30, 8, 8
	v_bfe_i32 v80, v31, 8, 8
	v_cvt_f32_i32_e32 v70, v70
	v_cvt_f32_i32_e32 v73, v73
	v_cvt_f32_i32_e32 v76, v76
	v_cvt_f32_i32_e32 v79, v79
	;; [unrolled: 8-line block ×3, first 2 shown]
	v_ashrrev_i32_e32 v28, 24, v28
	v_ashrrev_i32_e32 v29, 24, v29
	;; [unrolled: 1-line block ×4, first 2 shown]
	v_cvt_f32_i32_e32 v72, v72
	v_cvt_f32_i32_e32 v75, v75
	;; [unrolled: 1-line block ×8, first 2 shown]
	v_add_co_u32 v7, vcc_lo, 0x100, v7
	s_wait_alu 0xfffd
	v_add_co_ci_u32_e64 v8, null, 0, v8, vcc_lo
	s_wait_loadcnt 0x3
	v_bfe_i32 v82, v1, 0, 8
	v_bfe_i32 v83, v1, 8, 8
	;; [unrolled: 1-line block ×3, first 2 shown]
	v_ashrrev_i32_e32 v1, 24, v1
	s_wait_loadcnt 0x2
	v_bfe_i32 v85, v6, 0, 8
	v_cvt_f32_i32_e32 v82, v82
	v_cvt_f32_i32_e32 v83, v83
	v_bfe_i32 v86, v6, 8, 8
	v_cvt_f32_i32_e32 v1, v1
	v_bfe_i32 v87, v6, 16, 8
	v_fmac_f32_e32 v12, v34, v82
	v_fmac_f32_e32 v13, v40, v82
	v_dual_fmac_f32 v14, v37, v82 :: v_dual_add_nc_u32 v5, 16, v5
	v_fmac_f32_e32 v11, v43, v82
	v_cvt_f32_i32_e32 v34, v84
	v_fmac_f32_e32 v12, v35, v83
	v_fmac_f32_e32 v13, v41, v83
	;; [unrolled: 1-line block ×4, first 2 shown]
	v_ashrrev_i32_e32 v6, 24, v6
	s_wait_loadcnt 0x1
	v_bfe_i32 v88, v32, 0, 8
	v_fmac_f32_e32 v13, v42, v34
	v_fmac_f32_e32 v12, v36, v34
	;; [unrolled: 1-line block ×4, first 2 shown]
	v_cvt_f32_i32_e32 v34, v85
	v_fmac_f32_e32 v13, v18, v1
	v_fmac_f32_e32 v12, v16, v1
	;; [unrolled: 1-line block ×4, first 2 shown]
	v_cvt_f32_i32_e32 v1, v86
	v_fmac_f32_e32 v13, v52, v34
	v_fmac_f32_e32 v12, v46, v34
	v_cvt_f32_i32_e32 v16, v87
	v_fmac_f32_e32 v11, v55, v34
	v_fmac_f32_e32 v14, v49, v34
	v_bfe_i32 v89, v32, 8, 8
	v_fmac_f32_e32 v12, v47, v1
	v_fmac_f32_e32 v13, v53, v1
	;; [unrolled: 1-line block ×4, first 2 shown]
	v_cvt_f32_i32_e32 v1, v6
	v_fmac_f32_e32 v12, v48, v16
	v_fmac_f32_e32 v13, v54, v16
	v_cvt_f32_i32_e32 v6, v88
	v_bfe_i32 v90, v32, 16, 8
	v_ashrrev_i32_e32 v32, 24, v32
	v_fmac_f32_e32 v12, v20, v1
	v_dual_fmac_f32 v14, v51, v16 :: v_dual_fmac_f32 v13, v22, v1
	v_fmac_f32_e32 v11, v57, v16
	s_wait_loadcnt 0x0
	v_bfe_i32 v91, v33, 0, 8
	v_fmac_f32_e32 v12, v58, v6
	v_dual_fmac_f32 v14, v21, v1 :: v_dual_fmac_f32 v13, v64, v6
	v_fmac_f32_e32 v11, v23, v1
	v_cvt_f32_i32_e32 v1, v89
	v_bfe_i32 v92, v33, 8, 8
	s_delay_alu instid0(VALU_DEP_4)
	v_fmac_f32_e32 v14, v61, v6
	v_bfe_i32 v93, v33, 16, 8
	v_fmac_f32_e32 v11, v67, v6
	v_cvt_f32_i32_e32 v6, v90
	v_fmac_f32_e32 v13, v65, v1
	v_fmac_f32_e32 v12, v59, v1
	v_fmac_f32_e32 v14, v62, v1
	v_fmac_f32_e32 v11, v68, v1
	v_cvt_f32_i32_e32 v1, v32
	v_fmac_f32_e32 v13, v66, v6
	v_fmac_f32_e32 v12, v60, v6
	v_fmac_f32_e32 v14, v63, v6
	;; [unrolled: 5-line block ×4, first 2 shown]
	v_fmac_f32_e32 v11, v79, v6
	v_ashrrev_i32_e32 v33, 24, v33
	v_cvt_f32_i32_e32 v6, v93
	v_fmac_f32_e32 v13, v77, v1
	v_fmac_f32_e32 v12, v71, v1
	;; [unrolled: 1-line block ×4, first 2 shown]
	v_cvt_f32_i32_e32 v1, v33
	v_fmac_f32_e32 v13, v78, v6
	v_fmac_f32_e32 v12, v72, v6
	;; [unrolled: 1-line block ×4, first 2 shown]
	v_cmp_ge_i32_e32 vcc_lo, v5, v10
	v_fmac_f32_e32 v13, v30, v1
	v_fmac_f32_e32 v12, v28, v1
	;; [unrolled: 1-line block ×4, first 2 shown]
	s_or_b32 s13, vcc_lo, s13
	s_delay_alu instid0(SALU_CYCLE_1)
	s_and_not1_b32 exec_lo, exec_lo, s13
	s_cbranch_execnz .LBB75_21
; %bb.22:
	s_or_b32 exec_lo, exec_lo, s13
.LBB75_23:
	s_wait_alu 0xfffe
	s_or_b32 exec_lo, exec_lo, s11
.LBB75_24:
	s_wait_alu 0xfffe
	s_or_b32 exec_lo, exec_lo, s10
	s_cbranch_execz .LBB75_26
	s_branch .LBB75_37
.LBB75_25:
                                        ; implicit-def: $vgpr11
                                        ; implicit-def: $vgpr13
                                        ; implicit-def: $vgpr14
                                        ; implicit-def: $vgpr12
.LBB75_26:
	v_dual_mov_b32 v11, 0 :: v_dual_mov_b32 v14, 0
	v_dual_mov_b32 v13, 0 :: v_dual_mov_b32 v12, 0
	s_and_saveexec_b32 s5, s2
	s_cbranch_execz .LBB75_36
; %bb.27:
	v_dual_mov_b32 v12, 0 :: v_dual_add_nc_u32 v1, v15, v9
	v_not_b32_e32 v5, v15
	v_mov_b32_e32 v13, 0
	v_mov_b32_e32 v11, 0
	s_delay_alu instid0(VALU_DEP_4) | instskip(SKIP_1) | instid1(VALU_DEP_1)
	v_subrev_nc_u32_e32 v1, s16, v1
	s_mov_b32 s2, exec_lo
	v_dual_mov_b32 v14, 0 :: v_dual_add_nc_u32 v1, 4, v1
	s_delay_alu instid0(VALU_DEP_1) | instskip(NEXT) | instid1(VALU_DEP_1)
	v_max_i32_e32 v1, v1, v10
	v_add3_u32 v1, s16, v1, v5
	s_delay_alu instid0(VALU_DEP_1) | instskip(NEXT) | instid1(VALU_DEP_1)
	v_sub_nc_u32_e32 v5, v1, v9
	v_and_b32_e32 v1, 12, v5
	s_delay_alu instid0(VALU_DEP_1)
	v_cmpx_ne_u32_e32 12, v1
	s_cbranch_execz .LBB75_31
; %bb.28:
	v_lshrrev_b32_e32 v1, 2, v5
	v_mov_b32_e32 v11, 0
	v_mov_b32_e32 v13, 0
	s_mov_b32 s3, 0
	s_delay_alu instid0(VALU_DEP_3) | instskip(NEXT) | instid1(VALU_DEP_1)
	v_dual_mov_b32 v14, 0 :: v_dual_add_nc_u32 v1, 1, v1
	v_dual_mov_b32 v12, 0 :: v_dual_and_b32 v1, 3, v1
	s_delay_alu instid0(VALU_DEP_1)
	v_sub_nc_u32_e32 v6, 0, v1
.LBB75_29:                              ; =>This Inner Loop Header: Depth=1
	v_ashrrev_i32_e32 v1, 31, v0
	s_delay_alu instid0(VALU_DEP_2) | instskip(SKIP_2) | instid1(VALU_DEP_2)
	v_add_co_u32 v6, s4, v6, 1
	s_wait_alu 0xfffe
	s_or_b32 s3, s4, s3
	v_lshlrev_b64_e32 v[7:8], 2, v[0:1]
	v_add_nc_u32_e32 v0, 4, v0
	s_delay_alu instid0(VALU_DEP_2) | instskip(SKIP_1) | instid1(VALU_DEP_3)
	v_add_co_u32 v7, vcc_lo, s8, v7
	s_wait_alu 0xfffd
	v_add_co_ci_u32_e64 v8, null, s9, v8, vcc_lo
	global_load_b32 v1, v[7:8], off
	s_wait_loadcnt 0x0
	v_subrev_nc_u32_e32 v1, s16, v1
	s_delay_alu instid0(VALU_DEP_1) | instskip(NEXT) | instid1(VALU_DEP_1)
	v_lshlrev_b32_e32 v1, 2, v1
	v_ashrrev_i32_e32 v8, 31, v1
	s_wait_kmcnt 0x0
	v_add_co_u32 v7, vcc_lo, s6, v1
	s_wait_alu 0xfffd
	s_delay_alu instid0(VALU_DEP_2)
	v_add_co_ci_u32_e64 v8, null, s7, v8, vcc_lo
	global_load_b128 v[15:18], v[2:3], off
	global_load_b32 v1, v[7:8], off
	v_add_co_u32 v2, vcc_lo, v2, 64
	s_wait_alu 0xfffd
	v_add_co_ci_u32_e64 v3, null, 0, v3, vcc_lo
	s_wait_loadcnt 0x1
	v_bfe_i32 v19, v15, 16, 8
	s_wait_loadcnt 0x0
	v_bfe_i32 v29, v1, 0, 8
	v_bfe_i32 v7, v15, 0, 8
	v_bfe_i32 v8, v15, 8, 8
	v_bfe_i32 v21, v16, 8, 8
	v_bfe_i32 v22, v16, 16, 8
	v_cvt_f32_i32_e32 v19, v19
	v_bfe_i32 v30, v1, 8, 8
	v_cvt_f32_i32_e32 v29, v29
	v_ashrrev_i32_e32 v15, 24, v15
	v_bfe_i32 v25, v17, 16, 8
	v_cvt_f32_i32_e32 v7, v7
	v_cvt_f32_i32_e32 v8, v8
	;; [unrolled: 1-line block ×4, first 2 shown]
	v_bfe_i32 v31, v1, 16, 8
	v_cvt_f32_i32_e32 v30, v30
	v_fmac_f32_e32 v13, v19, v29
	v_bfe_i32 v20, v16, 0, 8
	v_ashrrev_i32_e32 v16, 24, v16
	v_bfe_i32 v24, v17, 8, 8
	v_cvt_f32_i32_e32 v15, v15
	v_cvt_f32_i32_e32 v25, v25
	v_dual_fmac_f32 v12, v7, v29 :: v_dual_fmac_f32 v13, v22, v30
	v_cvt_f32_i32_e32 v7, v31
	v_fmac_f32_e32 v14, v8, v29
	v_bfe_i32 v23, v17, 0, 8
	v_ashrrev_i32_e32 v17, 24, v17
	v_cvt_f32_i32_e32 v20, v20
	v_cvt_f32_i32_e32 v16, v16
	v_cvt_f32_i32_e32 v24, v24
	v_fmac_f32_e32 v13, v25, v7
	v_dual_fmac_f32 v14, v21, v30 :: v_dual_fmac_f32 v11, v15, v29
	v_bfe_i32 v26, v18, 0, 8
	v_bfe_i32 v27, v18, 8, 8
	;; [unrolled: 1-line block ×3, first 2 shown]
	v_ashrrev_i32_e32 v18, 24, v18
	v_cvt_f32_i32_e32 v23, v23
	v_cvt_f32_i32_e32 v17, v17
	v_ashrrev_i32_e32 v1, 24, v1
	v_fmac_f32_e32 v12, v20, v30
	v_fmac_f32_e32 v14, v24, v7
	;; [unrolled: 1-line block ×3, first 2 shown]
	v_cvt_f32_i32_e32 v26, v26
	v_cvt_f32_i32_e32 v27, v27
	;; [unrolled: 1-line block ×5, first 2 shown]
	v_fmac_f32_e32 v12, v23, v7
	s_delay_alu instid0(VALU_DEP_2) | instskip(NEXT) | instid1(VALU_DEP_2)
	v_dual_fmac_f32 v11, v17, v7 :: v_dual_fmac_f32 v14, v27, v1
	v_fmac_f32_e32 v12, v26, v1
	v_fmac_f32_e32 v13, v28, v1
	s_delay_alu instid0(VALU_DEP_3)
	v_fmac_f32_e32 v11, v18, v1
	s_wait_alu 0xfffe
	s_and_not1_b32 exec_lo, exec_lo, s3
	s_cbranch_execnz .LBB75_29
; %bb.30:
	s_or_b32 exec_lo, exec_lo, s3
.LBB75_31:
	s_wait_alu 0xfffe
	s_or_b32 exec_lo, exec_lo, s2
	s_delay_alu instid0(SALU_CYCLE_1)
	s_mov_b32 s10, exec_lo
	v_cmpx_lt_u32_e32 11, v5
	s_cbranch_execz .LBB75_35
; %bb.32:
	s_mov_b32 s11, 0
.LBB75_33:                              ; =>This Inner Loop Header: Depth=1
	v_ashrrev_i32_e32 v1, 31, v0
	s_delay_alu instid0(VALU_DEP_1) | instskip(NEXT) | instid1(VALU_DEP_1)
	v_lshlrev_b64_e32 v[5:6], 2, v[0:1]
	v_add_co_u32 v5, vcc_lo, s8, v5
	s_wait_alu 0xfffd
	s_delay_alu instid0(VALU_DEP_2)
	v_add_co_ci_u32_e64 v6, null, s9, v6, vcc_lo
	s_clause 0x3
	global_load_b32 v1, v[5:6], off
	global_load_b32 v27, v[5:6], off offset:16
	global_load_b32 v28, v[5:6], off offset:32
	;; [unrolled: 1-line block ×3, first 2 shown]
	s_clause 0x3
	global_load_b128 v[5:8], v[2:3], off
	global_load_b128 v[15:18], v[2:3], off offset:64
	global_load_b128 v[19:22], v[2:3], off offset:128
	;; [unrolled: 1-line block ×3, first 2 shown]
	s_wait_loadcnt 0x7
	v_subrev_nc_u32_e32 v1, s16, v1
	s_wait_loadcnt 0x6
	v_subrev_nc_u32_e32 v27, s16, v27
	;; [unrolled: 2-line block ×4, first 2 shown]
	s_wait_loadcnt 0x3
	v_bfe_i32 v38, v7, 16, 8
	v_lshlrev_b32_e32 v1, 2, v1
	v_lshlrev_b32_e32 v27, 2, v27
	;; [unrolled: 1-line block ×4, first 2 shown]
	v_cvt_f32_i32_e32 v38, v38
	v_ashrrev_i32_e32 v32, 31, v1
	v_ashrrev_i32_e32 v35, 31, v27
	;; [unrolled: 1-line block ×4, first 2 shown]
	s_wait_kmcnt 0x0
	v_add_co_u32 v33, s4, s6, v1
	v_add_co_u32 v27, vcc_lo, s6, v27
	v_add_co_u32 v29, s2, s6, v28
	s_wait_alu 0xf1ff
	v_add_co_ci_u32_e64 v34, null, s7, v32, s4
	v_add_co_u32 v31, s3, s6, v30
	s_wait_alu 0xfffd
	v_add_co_ci_u32_e64 v28, null, s7, v35, vcc_lo
	v_add_co_ci_u32_e64 v30, null, s7, v36, s2
	s_wait_alu 0xf1ff
	v_add_co_ci_u32_e64 v32, null, s7, v37, s3
	s_clause 0x3
	global_load_b32 v1, v[33:34], off
	global_load_b32 v27, v[27:28], off
	global_load_b32 v28, v[29:30], off
	global_load_b32 v29, v[31:32], off
	v_bfe_i32 v30, v5, 0, 8
	v_bfe_i32 v32, v5, 16, 8
	v_bfe_i32 v31, v5, 8, 8
	v_ashrrev_i32_e32 v5, 24, v5
	v_bfe_i32 v33, v6, 0, 8
	v_bfe_i32 v35, v6, 16, 8
	v_cvt_f32_i32_e32 v30, v30
	v_cvt_f32_i32_e32 v32, v32
	v_bfe_i32 v34, v6, 8, 8
	v_ashrrev_i32_e32 v6, 24, v6
	v_bfe_i32 v36, v7, 0, 8
	v_cvt_f32_i32_e32 v31, v31
	v_cvt_f32_i32_e32 v5, v5
	;; [unrolled: 1-line block ×4, first 2 shown]
	v_bfe_i32 v37, v7, 8, 8
	v_ashrrev_i32_e32 v7, 24, v7
	v_cvt_f32_i32_e32 v34, v34
	v_cvt_f32_i32_e32 v6, v6
	;; [unrolled: 1-line block ×3, first 2 shown]
	v_bfe_i32 v39, v8, 0, 8
	v_bfe_i32 v40, v8, 8, 8
	;; [unrolled: 1-line block ×3, first 2 shown]
	v_ashrrev_i32_e32 v8, 24, v8
	v_cvt_f32_i32_e32 v37, v37
	v_cvt_f32_i32_e32 v7, v7
	s_wait_loadcnt 0x6
	v_bfe_i32 v42, v15, 0, 8
	v_bfe_i32 v43, v15, 8, 8
	v_bfe_i32 v44, v15, 16, 8
	v_ashrrev_i32_e32 v15, 24, v15
	v_cvt_f32_i32_e32 v39, v39
	v_cvt_f32_i32_e32 v40, v40
	v_cvt_f32_i32_e32 v41, v41
	v_cvt_f32_i32_e32 v8, v8
	v_bfe_i32 v45, v16, 0, 8
	v_bfe_i32 v46, v16, 8, 8
	v_bfe_i32 v47, v16, 16, 8
	v_ashrrev_i32_e32 v16, 24, v16
	v_cvt_f32_i32_e32 v42, v42
	v_cvt_f32_i32_e32 v43, v43
	v_cvt_f32_i32_e32 v44, v44
	v_cvt_f32_i32_e32 v15, v15
	v_bfe_i32 v48, v17, 0, 8
	v_bfe_i32 v49, v17, 8, 8
	v_bfe_i32 v50, v17, 16, 8
	v_ashrrev_i32_e32 v17, 24, v17
	v_cvt_f32_i32_e32 v45, v45
	v_cvt_f32_i32_e32 v46, v46
	v_cvt_f32_i32_e32 v47, v47
	v_cvt_f32_i32_e32 v16, v16
	v_bfe_i32 v51, v18, 0, 8
	v_bfe_i32 v52, v18, 8, 8
	v_bfe_i32 v53, v18, 16, 8
	v_ashrrev_i32_e32 v18, 24, v18
	v_cvt_f32_i32_e32 v48, v48
	v_cvt_f32_i32_e32 v49, v49
	v_cvt_f32_i32_e32 v50, v50
	v_cvt_f32_i32_e32 v17, v17
	s_wait_loadcnt 0x5
	v_bfe_i32 v54, v19, 0, 8
	v_bfe_i32 v55, v19, 8, 8
	v_bfe_i32 v56, v19, 16, 8
	v_ashrrev_i32_e32 v19, 24, v19
	v_cvt_f32_i32_e32 v51, v51
	v_cvt_f32_i32_e32 v52, v52
	v_cvt_f32_i32_e32 v53, v53
	v_cvt_f32_i32_e32 v18, v18
	v_bfe_i32 v57, v20, 0, 8
	v_bfe_i32 v58, v20, 8, 8
	v_bfe_i32 v59, v20, 16, 8
	v_ashrrev_i32_e32 v20, 24, v20
	v_cvt_f32_i32_e32 v54, v54
	v_cvt_f32_i32_e32 v55, v55
	v_cvt_f32_i32_e32 v56, v56
	v_cvt_f32_i32_e32 v19, v19
	v_bfe_i32 v60, v21, 0, 8
	v_bfe_i32 v61, v21, 8, 8
	v_bfe_i32 v62, v21, 16, 8
	v_ashrrev_i32_e32 v21, 24, v21
	v_cvt_f32_i32_e32 v57, v57
	v_cvt_f32_i32_e32 v58, v58
	v_cvt_f32_i32_e32 v59, v59
	v_cvt_f32_i32_e32 v20, v20
	v_bfe_i32 v63, v22, 0, 8
	v_bfe_i32 v64, v22, 8, 8
	v_bfe_i32 v65, v22, 16, 8
	v_ashrrev_i32_e32 v22, 24, v22
	v_cvt_f32_i32_e32 v60, v60
	v_cvt_f32_i32_e32 v61, v61
	;; [unrolled: 33-line block ×3, first 2 shown]
	v_cvt_f32_i32_e32 v74, v74
	v_cvt_f32_i32_e32 v25, v25
	;; [unrolled: 1-line block ×6, first 2 shown]
	v_add_co_u32 v2, vcc_lo, 0x100, v2
	s_wait_alu 0xfffd
	v_add_co_ci_u32_e64 v3, null, 0, v3, vcc_lo
	s_wait_loadcnt 0x3
	v_bfe_i32 v78, v1, 0, 8
	v_bfe_i32 v79, v1, 8, 8
	v_bfe_i32 v80, v1, 16, 8
	v_ashrrev_i32_e32 v1, 24, v1
	s_wait_loadcnt 0x2
	v_bfe_i32 v81, v27, 0, 8
	v_cvt_f32_i32_e32 v78, v78
	v_cvt_f32_i32_e32 v79, v79
	v_bfe_i32 v82, v27, 8, 8
	v_cvt_f32_i32_e32 v1, v1
	v_bfe_i32 v83, v27, 16, 8
	v_fmac_f32_e32 v12, v30, v78
	v_dual_fmac_f32 v13, v32, v78 :: v_dual_add_nc_u32 v0, 16, v0
	v_fmac_f32_e32 v14, v31, v78
	v_fmac_f32_e32 v11, v5, v78
	v_cvt_f32_i32_e32 v5, v80
	s_delay_alu instid0(VALU_DEP_4)
	v_fmac_f32_e32 v13, v35, v79
	v_fmac_f32_e32 v12, v33, v79
	v_ashrrev_i32_e32 v27, 24, v27
	s_wait_loadcnt 0x1
	v_bfe_i32 v84, v28, 0, 8
	v_bfe_i32 v85, v28, 8, 8
	v_fmac_f32_e32 v13, v38, v5
	v_dual_fmac_f32 v11, v6, v79 :: v_dual_fmac_f32 v12, v36, v5
	v_fmac_f32_e32 v14, v34, v79
	v_bfe_i32 v86, v28, 16, 8
	s_delay_alu instid0(VALU_DEP_4) | instskip(NEXT) | instid1(VALU_DEP_4)
	v_fmac_f32_e32 v13, v41, v1
	v_fmac_f32_e32 v11, v7, v5
	;; [unrolled: 1-line block ×4, first 2 shown]
	v_cvt_f32_i32_e32 v5, v81
	v_ashrrev_i32_e32 v28, 24, v28
	v_fmac_f32_e32 v11, v8, v1
	s_wait_loadcnt 0x0
	v_bfe_i32 v87, v29, 0, 8
	v_fmac_f32_e32 v14, v40, v1
	v_cvt_f32_i32_e32 v1, v82
	v_fmac_f32_e32 v12, v42, v5
	v_fmac_f32_e32 v13, v44, v5
	v_fmac_f32_e32 v11, v15, v5
	v_fmac_f32_e32 v14, v43, v5
	v_cvt_f32_i32_e32 v5, v83
	v_fmac_f32_e32 v12, v45, v1
	v_fmac_f32_e32 v13, v47, v1
	v_fmac_f32_e32 v11, v16, v1
	;; [unrolled: 5-line block ×7, first 2 shown]
	v_fmac_f32_e32 v14, v61, v5
	v_bfe_i32 v88, v29, 8, 8
	v_cvt_f32_i32_e32 v5, v87
	v_fmac_f32_e32 v12, v63, v1
	v_fmac_f32_e32 v13, v65, v1
	;; [unrolled: 1-line block ×4, first 2 shown]
	v_bfe_i32 v89, v29, 16, 8
	v_cvt_f32_i32_e32 v1, v88
	v_fmac_f32_e32 v12, v66, v5
	v_fmac_f32_e32 v14, v67, v5
	;; [unrolled: 1-line block ×4, first 2 shown]
	v_ashrrev_i32_e32 v29, 24, v29
	v_cvt_f32_i32_e32 v5, v89
	v_fmac_f32_e32 v12, v69, v1
	v_fmac_f32_e32 v14, v70, v1
	;; [unrolled: 1-line block ×4, first 2 shown]
	v_cvt_f32_i32_e32 v1, v29
	v_fmac_f32_e32 v12, v72, v5
	v_fmac_f32_e32 v14, v73, v5
	;; [unrolled: 1-line block ×4, first 2 shown]
	v_cmp_ge_i32_e32 vcc_lo, v0, v10
	v_fmac_f32_e32 v12, v75, v1
	v_fmac_f32_e32 v14, v76, v1
	;; [unrolled: 1-line block ×4, first 2 shown]
	s_wait_alu 0xfffe
	s_or_b32 s11, vcc_lo, s11
	s_wait_alu 0xfffe
	s_and_not1_b32 exec_lo, exec_lo, s11
	s_cbranch_execnz .LBB75_33
; %bb.34:
	s_or_b32 exec_lo, exec_lo, s11
.LBB75_35:
	s_wait_alu 0xfffe
	s_or_b32 exec_lo, exec_lo, s10
.LBB75_36:
	s_wait_alu 0xfffe
	s_or_b32 exec_lo, exec_lo, s5
.LBB75_37:
	v_mbcnt_lo_u32_b32 v0, -1, 0
	s_mov_b32 s2, -1
	s_delay_alu instid0(VALU_DEP_1) | instskip(NEXT) | instid1(VALU_DEP_1)
	v_xor_b32_e32 v1, 2, v0
	v_cmp_gt_i32_e32 vcc_lo, 32, v1
	s_wait_alu 0xfffd
	v_cndmask_b32_e32 v1, v0, v1, vcc_lo
	s_delay_alu instid0(VALU_DEP_1)
	v_lshlrev_b32_e32 v1, 2, v1
	ds_bpermute_b32 v2, v1, v12
	ds_bpermute_b32 v3, v1, v14
	;; [unrolled: 1-line block ×4, first 2 shown]
	v_xor_b32_e32 v1, 1, v0
	s_delay_alu instid0(VALU_DEP_1) | instskip(SKIP_4) | instid1(VALU_DEP_2)
	v_cmp_gt_i32_e32 vcc_lo, 32, v1
	s_wait_alu 0xfffd
	v_cndmask_b32_e32 v0, v0, v1, vcc_lo
	v_cmp_eq_u32_e32 vcc_lo, 3, v9
	s_wait_dscnt 0x2
	v_dual_add_f32 v1, v14, v3 :: v_dual_lshlrev_b32 v8, 2, v0
	v_add_f32_e32 v0, v12, v2
	s_wait_dscnt 0x0
	v_dual_add_f32 v2, v13, v5 :: v_dual_add_f32 v3, v11, v6
	ds_bpermute_b32 v6, v8, v1
	ds_bpermute_b32 v5, v8, v0
	;; [unrolled: 1-line block ×4, first 2 shown]
	s_and_b32 exec_lo, exec_lo, vcc_lo
	s_cbranch_execz .LBB75_10
; %bb.38:
	s_load_b64 s[0:1], s[0:1], 0x50
	s_wait_dscnt 0x2
	v_dual_add_f32 v0, v0, v5 :: v_dual_add_f32 v1, v1, v6
	s_wait_dscnt 0x0
	v_dual_add_f32 v2, v2, v7 :: v_dual_add_f32 v3, v3, v8
	v_lshlrev_b32_e32 v4, 2, v4
	s_delay_alu instid0(VALU_DEP_3) | instskip(NEXT) | instid1(VALU_DEP_3)
	v_dual_mul_f32 v0, s14, v0 :: v_dual_mul_f32 v1, s14, v1
	v_dual_mul_f32 v2, s14, v2 :: v_dual_mul_f32 v3, s14, v3
	s_cmp_eq_f32 s12, 0
	s_cbranch_scc0 .LBB75_40
; %bb.39:
	v_ashrrev_i32_e32 v5, 31, v4
	s_mov_b32 s2, 0
	s_delay_alu instid0(VALU_DEP_1) | instskip(SKIP_1) | instid1(VALU_DEP_1)
	v_lshlrev_b64_e32 v[5:6], 2, v[4:5]
	s_wait_kmcnt 0x0
	v_add_co_u32 v5, vcc_lo, s0, v5
	s_wait_alu 0xfffd
	s_delay_alu instid0(VALU_DEP_2)
	v_add_co_ci_u32_e64 v6, null, s1, v6, vcc_lo
	global_store_b128 v[5:6], v[0:3], off
.LBB75_40:
	s_wait_alu 0xfffe
	s_and_not1_b32 vcc_lo, exec_lo, s2
	s_wait_alu 0xfffe
	s_cbranch_vccnz .LBB75_10
; %bb.41:
	v_ashrrev_i32_e32 v5, 31, v4
	s_delay_alu instid0(VALU_DEP_1) | instskip(SKIP_1) | instid1(VALU_DEP_1)
	v_lshlrev_b64_e32 v[4:5], 2, v[4:5]
	s_wait_kmcnt 0x0
	v_add_co_u32 v8, vcc_lo, s0, v4
	s_wait_alu 0xfffd
	s_delay_alu instid0(VALU_DEP_2)
	v_add_co_ci_u32_e64 v9, null, s1, v5, vcc_lo
	global_load_b128 v[4:7], v[8:9], off
	s_wait_loadcnt 0x0
	v_dual_fmac_f32 v0, s12, v4 :: v_dual_fmac_f32 v1, s12, v5
	v_dual_fmac_f32 v2, s12, v6 :: v_dual_fmac_f32 v3, s12, v7
	global_store_b128 v[8:9], v[0:3], off
	s_endpgm
	.section	.rodata,"a",@progbits
	.p2align	6, 0x0
	.amdhsa_kernel _ZN9rocsparseL18bsrxmvn_4x4_kernelILj128ELj4EfiiaafEEvT3_20rocsparse_direction_NS_24const_host_device_scalarIT1_EES1_PKS1_PKT2_SA_S7_PKT4_PKT5_S5_PT6_21rocsparse_index_base_b
		.amdhsa_group_segment_fixed_size 0
		.amdhsa_private_segment_fixed_size 0
		.amdhsa_kernarg_size 96
		.amdhsa_user_sgpr_count 2
		.amdhsa_user_sgpr_dispatch_ptr 0
		.amdhsa_user_sgpr_queue_ptr 0
		.amdhsa_user_sgpr_kernarg_segment_ptr 1
		.amdhsa_user_sgpr_dispatch_id 0
		.amdhsa_user_sgpr_private_segment_size 0
		.amdhsa_wavefront_size32 1
		.amdhsa_uses_dynamic_stack 0
		.amdhsa_enable_private_segment 0
		.amdhsa_system_sgpr_workgroup_id_x 1
		.amdhsa_system_sgpr_workgroup_id_y 0
		.amdhsa_system_sgpr_workgroup_id_z 0
		.amdhsa_system_sgpr_workgroup_info 0
		.amdhsa_system_vgpr_workitem_id 0
		.amdhsa_next_free_vgpr 94
		.amdhsa_next_free_sgpr 18
		.amdhsa_reserve_vcc 1
		.amdhsa_float_round_mode_32 0
		.amdhsa_float_round_mode_16_64 0
		.amdhsa_float_denorm_mode_32 3
		.amdhsa_float_denorm_mode_16_64 3
		.amdhsa_fp16_overflow 0
		.amdhsa_workgroup_processor_mode 1
		.amdhsa_memory_ordered 1
		.amdhsa_forward_progress 1
		.amdhsa_inst_pref_size 43
		.amdhsa_round_robin_scheduling 0
		.amdhsa_exception_fp_ieee_invalid_op 0
		.amdhsa_exception_fp_denorm_src 0
		.amdhsa_exception_fp_ieee_div_zero 0
		.amdhsa_exception_fp_ieee_overflow 0
		.amdhsa_exception_fp_ieee_underflow 0
		.amdhsa_exception_fp_ieee_inexact 0
		.amdhsa_exception_int_div_zero 0
	.end_amdhsa_kernel
	.section	.text._ZN9rocsparseL18bsrxmvn_4x4_kernelILj128ELj4EfiiaafEEvT3_20rocsparse_direction_NS_24const_host_device_scalarIT1_EES1_PKS1_PKT2_SA_S7_PKT4_PKT5_S5_PT6_21rocsparse_index_base_b,"axG",@progbits,_ZN9rocsparseL18bsrxmvn_4x4_kernelILj128ELj4EfiiaafEEvT3_20rocsparse_direction_NS_24const_host_device_scalarIT1_EES1_PKS1_PKT2_SA_S7_PKT4_PKT5_S5_PT6_21rocsparse_index_base_b,comdat
.Lfunc_end75:
	.size	_ZN9rocsparseL18bsrxmvn_4x4_kernelILj128ELj4EfiiaafEEvT3_20rocsparse_direction_NS_24const_host_device_scalarIT1_EES1_PKS1_PKT2_SA_S7_PKT4_PKT5_S5_PT6_21rocsparse_index_base_b, .Lfunc_end75-_ZN9rocsparseL18bsrxmvn_4x4_kernelILj128ELj4EfiiaafEEvT3_20rocsparse_direction_NS_24const_host_device_scalarIT1_EES1_PKS1_PKT2_SA_S7_PKT4_PKT5_S5_PT6_21rocsparse_index_base_b
                                        ; -- End function
	.set _ZN9rocsparseL18bsrxmvn_4x4_kernelILj128ELj4EfiiaafEEvT3_20rocsparse_direction_NS_24const_host_device_scalarIT1_EES1_PKS1_PKT2_SA_S7_PKT4_PKT5_S5_PT6_21rocsparse_index_base_b.num_vgpr, 94
	.set _ZN9rocsparseL18bsrxmvn_4x4_kernelILj128ELj4EfiiaafEEvT3_20rocsparse_direction_NS_24const_host_device_scalarIT1_EES1_PKS1_PKT2_SA_S7_PKT4_PKT5_S5_PT6_21rocsparse_index_base_b.num_agpr, 0
	.set _ZN9rocsparseL18bsrxmvn_4x4_kernelILj128ELj4EfiiaafEEvT3_20rocsparse_direction_NS_24const_host_device_scalarIT1_EES1_PKS1_PKT2_SA_S7_PKT4_PKT5_S5_PT6_21rocsparse_index_base_b.numbered_sgpr, 18
	.set _ZN9rocsparseL18bsrxmvn_4x4_kernelILj128ELj4EfiiaafEEvT3_20rocsparse_direction_NS_24const_host_device_scalarIT1_EES1_PKS1_PKT2_SA_S7_PKT4_PKT5_S5_PT6_21rocsparse_index_base_b.num_named_barrier, 0
	.set _ZN9rocsparseL18bsrxmvn_4x4_kernelILj128ELj4EfiiaafEEvT3_20rocsparse_direction_NS_24const_host_device_scalarIT1_EES1_PKS1_PKT2_SA_S7_PKT4_PKT5_S5_PT6_21rocsparse_index_base_b.private_seg_size, 0
	.set _ZN9rocsparseL18bsrxmvn_4x4_kernelILj128ELj4EfiiaafEEvT3_20rocsparse_direction_NS_24const_host_device_scalarIT1_EES1_PKS1_PKT2_SA_S7_PKT4_PKT5_S5_PT6_21rocsparse_index_base_b.uses_vcc, 1
	.set _ZN9rocsparseL18bsrxmvn_4x4_kernelILj128ELj4EfiiaafEEvT3_20rocsparse_direction_NS_24const_host_device_scalarIT1_EES1_PKS1_PKT2_SA_S7_PKT4_PKT5_S5_PT6_21rocsparse_index_base_b.uses_flat_scratch, 0
	.set _ZN9rocsparseL18bsrxmvn_4x4_kernelILj128ELj4EfiiaafEEvT3_20rocsparse_direction_NS_24const_host_device_scalarIT1_EES1_PKS1_PKT2_SA_S7_PKT4_PKT5_S5_PT6_21rocsparse_index_base_b.has_dyn_sized_stack, 0
	.set _ZN9rocsparseL18bsrxmvn_4x4_kernelILj128ELj4EfiiaafEEvT3_20rocsparse_direction_NS_24const_host_device_scalarIT1_EES1_PKS1_PKT2_SA_S7_PKT4_PKT5_S5_PT6_21rocsparse_index_base_b.has_recursion, 0
	.set _ZN9rocsparseL18bsrxmvn_4x4_kernelILj128ELj4EfiiaafEEvT3_20rocsparse_direction_NS_24const_host_device_scalarIT1_EES1_PKS1_PKT2_SA_S7_PKT4_PKT5_S5_PT6_21rocsparse_index_base_b.has_indirect_call, 0
	.section	.AMDGPU.csdata,"",@progbits
; Kernel info:
; codeLenInByte = 5440
; TotalNumSgprs: 20
; NumVgprs: 94
; ScratchSize: 0
; MemoryBound: 0
; FloatMode: 240
; IeeeMode: 1
; LDSByteSize: 0 bytes/workgroup (compile time only)
; SGPRBlocks: 0
; VGPRBlocks: 11
; NumSGPRsForWavesPerEU: 20
; NumVGPRsForWavesPerEU: 94
; Occupancy: 16
; WaveLimiterHint : 1
; COMPUTE_PGM_RSRC2:SCRATCH_EN: 0
; COMPUTE_PGM_RSRC2:USER_SGPR: 2
; COMPUTE_PGM_RSRC2:TRAP_HANDLER: 0
; COMPUTE_PGM_RSRC2:TGID_X_EN: 1
; COMPUTE_PGM_RSRC2:TGID_Y_EN: 0
; COMPUTE_PGM_RSRC2:TGID_Z_EN: 0
; COMPUTE_PGM_RSRC2:TIDIG_COMP_CNT: 0
	.section	.text._ZN9rocsparseL18bsrxmvn_4x4_kernelILj128ELj8EfiiaafEEvT3_20rocsparse_direction_NS_24const_host_device_scalarIT1_EES1_PKS1_PKT2_SA_S7_PKT4_PKT5_S5_PT6_21rocsparse_index_base_b,"axG",@progbits,_ZN9rocsparseL18bsrxmvn_4x4_kernelILj128ELj8EfiiaafEEvT3_20rocsparse_direction_NS_24const_host_device_scalarIT1_EES1_PKS1_PKT2_SA_S7_PKT4_PKT5_S5_PT6_21rocsparse_index_base_b,comdat
	.globl	_ZN9rocsparseL18bsrxmvn_4x4_kernelILj128ELj8EfiiaafEEvT3_20rocsparse_direction_NS_24const_host_device_scalarIT1_EES1_PKS1_PKT2_SA_S7_PKT4_PKT5_S5_PT6_21rocsparse_index_base_b ; -- Begin function _ZN9rocsparseL18bsrxmvn_4x4_kernelILj128ELj8EfiiaafEEvT3_20rocsparse_direction_NS_24const_host_device_scalarIT1_EES1_PKS1_PKT2_SA_S7_PKT4_PKT5_S5_PT6_21rocsparse_index_base_b
	.p2align	8
	.type	_ZN9rocsparseL18bsrxmvn_4x4_kernelILj128ELj8EfiiaafEEvT3_20rocsparse_direction_NS_24const_host_device_scalarIT1_EES1_PKS1_PKT2_SA_S7_PKT4_PKT5_S5_PT6_21rocsparse_index_base_b,@function
_ZN9rocsparseL18bsrxmvn_4x4_kernelILj128ELj8EfiiaafEEvT3_20rocsparse_direction_NS_24const_host_device_scalarIT1_EES1_PKS1_PKT2_SA_S7_PKT4_PKT5_S5_PT6_21rocsparse_index_base_b: ; @_ZN9rocsparseL18bsrxmvn_4x4_kernelILj128ELj8EfiiaafEEvT3_20rocsparse_direction_NS_24const_host_device_scalarIT1_EES1_PKS1_PKT2_SA_S7_PKT4_PKT5_S5_PT6_21rocsparse_index_base_b
; %bb.0:
	s_clause 0x2
	s_load_b64 s[16:17], s[0:1], 0x58
	s_load_b64 s[14:15], s[0:1], 0x8
	;; [unrolled: 1-line block ×3, first 2 shown]
	s_wait_kmcnt 0x0
	s_bitcmp1_b32 s17, 0
	s_cselect_b32 s2, -1, 0
	s_delay_alu instid0(SALU_CYCLE_1)
	s_and_b32 vcc_lo, exec_lo, s2
	s_xor_b32 s2, s2, -1
	s_cbranch_vccnz .LBB76_2
; %bb.1:
	s_load_b32 s14, s[14:15], 0x0
.LBB76_2:
	s_and_not1_b32 vcc_lo, exec_lo, s2
	s_cbranch_vccnz .LBB76_4
; %bb.3:
	s_load_b32 s12, s[12:13], 0x0
.LBB76_4:
	s_wait_kmcnt 0x0
	s_cmp_neq_f32 s14, 0
	s_mov_b32 s6, 0
	s_cselect_b32 s2, -1, 0
	s_cmp_neq_f32 s12, 1.0
	s_cselect_b32 s3, -1, 0
	s_delay_alu instid0(SALU_CYCLE_1) | instskip(NEXT) | instid1(SALU_CYCLE_1)
	s_or_b32 s2, s2, s3
	s_and_not1_b32 vcc_lo, exec_lo, s2
	s_cbranch_vccnz .LBB76_10
; %bb.5:
	s_clause 0x1
	s_load_b64 s[4:5], s[0:1], 0x18
	s_load_b64 s[2:3], s[0:1], 0x0
	v_lshrrev_b32_e32 v1, 3, v0
	s_delay_alu instid0(VALU_DEP_1)
	v_lshl_or_b32 v4, ttmp9, 4, v1
	s_wait_kmcnt 0x0
	s_cmp_lg_u64 s[4:5], 0
	s_cbranch_scc0 .LBB76_11
; %bb.6:
	s_load_b32 s6, s[0:1], 0x10
	s_mov_b32 s7, 0
                                        ; implicit-def: $vgpr1
	s_wait_kmcnt 0x0
	v_cmp_gt_i32_e32 vcc_lo, s6, v4
	s_mov_b32 s6, 0
	s_and_saveexec_b32 s8, vcc_lo
	s_delay_alu instid0(SALU_CYCLE_1)
	s_xor_b32 s8, exec_lo, s8
	s_cbranch_execz .LBB76_8
; %bb.7:
	v_ashrrev_i32_e32 v5, 31, v4
	s_mov_b32 s6, exec_lo
	s_delay_alu instid0(VALU_DEP_1) | instskip(NEXT) | instid1(VALU_DEP_1)
	v_lshlrev_b64_e32 v[1:2], 2, v[4:5]
	v_add_co_u32 v1, vcc_lo, s4, v1
	s_delay_alu instid0(VALU_DEP_1)
	v_add_co_ci_u32_e64 v2, null, s5, v2, vcc_lo
	global_load_b32 v1, v[1:2], off
	s_wait_loadcnt 0x0
	v_subrev_nc_u32_e32 v1, s16, v1
.LBB76_8:
	s_or_b32 exec_lo, exec_lo, s8
	s_delay_alu instid0(SALU_CYCLE_1)
	s_and_b32 vcc_lo, exec_lo, s7
	s_wait_alu 0xfffe
	s_cbranch_vccz .LBB76_12
.LBB76_9:
	v_cmp_gt_i32_e32 vcc_lo, s2, v4
	s_and_not1_b32 s2, s6, exec_lo
	s_and_b32 s4, vcc_lo, exec_lo
	s_wait_alu 0xfffe
	s_or_b32 s6, s2, s4
	s_wait_alu 0xfffe
	s_and_saveexec_b32 s2, s6
	s_cbranch_execnz .LBB76_13
.LBB76_10:
	s_endpgm
.LBB76_11:
                                        ; implicit-def: $vgpr1
	s_cbranch_execnz .LBB76_9
.LBB76_12:
	v_mov_b32_e32 v4, v1
	s_and_saveexec_b32 s2, s6
	s_cbranch_execz .LBB76_10
.LBB76_13:
	s_load_b256 s[4:11], s[0:1], 0x20
	s_delay_alu instid0(VALU_DEP_1) | instskip(SKIP_1) | instid1(VALU_DEP_2)
	v_ashrrev_i32_e32 v5, 31, v4
	v_and_b32_e32 v9, 7, v0
	v_lshlrev_b64_e32 v[1:2], 2, v[4:5]
	s_wait_kmcnt 0x0
	s_delay_alu instid0(VALU_DEP_1) | instskip(SKIP_1) | instid1(VALU_DEP_2)
	v_add_co_u32 v5, vcc_lo, s4, v1
	s_wait_alu 0xfffd
	v_add_co_ci_u32_e64 v6, null, s5, v2, vcc_lo
	v_add_co_u32 v1, vcc_lo, s6, v1
	s_wait_alu 0xfffd
	v_add_co_ci_u32_e64 v2, null, s7, v2, vcc_lo
	global_load_b32 v15, v[5:6], off
	v_add_co_u32 v3, vcc_lo, v5, 4
	s_wait_alu 0xfffd
	v_add_co_ci_u32_e64 v5, null, 0, v6, vcc_lo
	s_cmp_eq_u64 s[6:7], 0
	s_load_b64 s[6:7], s[0:1], 0x40
	s_cselect_b32 vcc_lo, -1, 0
	s_cmp_eq_u32 s3, 1
	s_wait_alu 0xfffe
	v_dual_cndmask_b32 v2, v2, v5 :: v_dual_cndmask_b32 v1, v1, v3
	global_load_b32 v5, v[1:2], off
	s_wait_loadcnt 0x1
	v_subrev_nc_u32_e32 v0, s16, v15
	s_delay_alu instid0(VALU_DEP_1) | instskip(NEXT) | instid1(VALU_DEP_1)
	v_add_nc_u32_e32 v0, v0, v9
	v_ashrrev_i32_e32 v1, 31, v0
	s_wait_loadcnt 0x0
	v_subrev_nc_u32_e32 v11, s16, v5
	s_delay_alu instid0(VALU_DEP_2) | instskip(NEXT) | instid1(VALU_DEP_2)
	v_lshlrev_b64_e32 v[2:3], 4, v[0:1]
	v_cmp_lt_i32_e64 s2, v0, v11
	s_delay_alu instid0(VALU_DEP_2) | instskip(SKIP_1) | instid1(VALU_DEP_3)
	v_add_co_u32 v2, vcc_lo, s10, v2
	s_wait_alu 0xfffd
	v_add_co_ci_u32_e64 v3, null, s11, v3, vcc_lo
	s_cbranch_scc1 .LBB76_25
; %bb.14:
	v_dual_mov_b32 v10, 0 :: v_dual_mov_b32 v13, 0
	v_mov_b32_e32 v14, 0
	v_mov_b32_e32 v12, 0
	s_and_saveexec_b32 s10, s2
	s_cbranch_execz .LBB76_24
; %bb.15:
	v_dual_mov_b32 v12, 0 :: v_dual_add_nc_u32 v1, v15, v9
	v_not_b32_e32 v5, v15
	v_mov_b32_e32 v10, 0
	v_dual_mov_b32 v8, v3 :: v_dual_mov_b32 v7, v2
	s_delay_alu instid0(VALU_DEP_4) | instskip(SKIP_2) | instid1(VALU_DEP_2)
	v_subrev_nc_u32_e32 v1, s16, v1
	s_mov_b32 s3, exec_lo
	v_dual_mov_b32 v14, 0 :: v_dual_mov_b32 v13, 0
	v_add_nc_u32_e32 v1, 8, v1
	s_delay_alu instid0(VALU_DEP_1) | instskip(NEXT) | instid1(VALU_DEP_1)
	v_max_i32_e32 v1, v1, v11
	v_add3_u32 v1, s16, v1, v5
	v_mov_b32_e32 v5, v0
	s_delay_alu instid0(VALU_DEP_2) | instskip(NEXT) | instid1(VALU_DEP_1)
	v_sub_nc_u32_e32 v1, v1, v9
	v_and_b32_e32 v6, 24, v1
	s_delay_alu instid0(VALU_DEP_1)
	v_cmpx_ne_u32_e32 24, v6
	s_cbranch_execz .LBB76_19
; %bb.16:
	v_lshrrev_b32_e32 v5, 3, v1
	v_dual_mov_b32 v8, v3 :: v_dual_mov_b32 v13, 0
	v_mov_b32_e32 v14, 0
	s_delay_alu instid0(VALU_DEP_3) | instskip(SKIP_2) | instid1(VALU_DEP_2)
	v_dual_mov_b32 v12, 0 :: v_dual_add_nc_u32 v5, 1, v5
	v_mov_b32_e32 v10, 0
	s_mov_b32 s4, 0
	v_dual_mov_b32 v7, v2 :: v_dual_and_b32 v6, 3, v5
	v_mov_b32_e32 v5, v0
	s_delay_alu instid0(VALU_DEP_2)
	v_sub_nc_u32_e32 v16, 0, v6
.LBB76_17:                              ; =>This Inner Loop Header: Depth=1
	s_delay_alu instid0(VALU_DEP_2) | instskip(NEXT) | instid1(VALU_DEP_2)
	v_ashrrev_i32_e32 v6, 31, v5
	v_add_co_u32 v16, s5, v16, 1
	s_wait_alu 0xfffe
	s_or_b32 s4, s5, s4
	s_delay_alu instid0(VALU_DEP_2) | instskip(SKIP_1) | instid1(VALU_DEP_2)
	v_lshlrev_b64_e32 v[17:18], 2, v[5:6]
	v_add_nc_u32_e32 v5, 8, v5
	v_add_co_u32 v17, vcc_lo, s8, v17
	s_wait_alu 0xfffd
	s_delay_alu instid0(VALU_DEP_3) | instskip(SKIP_3) | instid1(VALU_DEP_1)
	v_add_co_ci_u32_e64 v18, null, s9, v18, vcc_lo
	global_load_b32 v6, v[17:18], off
	s_wait_loadcnt 0x0
	v_subrev_nc_u32_e32 v6, s16, v6
	v_lshlrev_b32_e32 v6, 2, v6
	s_delay_alu instid0(VALU_DEP_1) | instskip(SKIP_3) | instid1(VALU_DEP_2)
	v_ashrrev_i32_e32 v17, 31, v6
	s_wait_kmcnt 0x0
	v_add_co_u32 v21, vcc_lo, s6, v6
	s_wait_alu 0xfffd
	v_add_co_ci_u32_e64 v22, null, s7, v17, vcc_lo
	global_load_b128 v[17:20], v[7:8], off
	global_load_b32 v6, v[21:22], off
	v_add_co_u32 v7, vcc_lo, 0x80, v7
	s_wait_alu 0xfffd
	v_add_co_ci_u32_e64 v8, null, 0, v8, vcc_lo
	s_wait_loadcnt 0x1
	v_bfe_i32 v27, v19, 0, 8
	s_wait_loadcnt 0x0
	v_bfe_i32 v33, v6, 0, 8
	v_bfe_i32 v21, v17, 0, 8
	;; [unrolled: 1-line block ×4, first 2 shown]
	v_cvt_f32_i32_e32 v27, v27
	v_cvt_f32_i32_e32 v33, v33
	v_bfe_i32 v22, v17, 8, 8
	v_bfe_i32 v24, v18, 0, 8
	;; [unrolled: 1-line block ×4, first 2 shown]
	v_cvt_f32_i32_e32 v21, v21
	v_cvt_f32_i32_e32 v28, v28
	v_bfe_i32 v35, v6, 16, 8
	v_cvt_f32_i32_e32 v34, v34
	v_fmac_f32_e32 v13, v27, v33
	v_bfe_i32 v25, v18, 8, 8
	v_ashrrev_i32_e32 v19, 24, v19
	v_bfe_i32 v31, v20, 8, 8
	v_cvt_f32_i32_e32 v22, v22
	v_cvt_f32_i32_e32 v24, v24
	;; [unrolled: 1-line block ×4, first 2 shown]
	v_ashrrev_i32_e32 v6, 24, v6
	v_dual_fmac_f32 v12, v21, v33 :: v_dual_fmac_f32 v13, v28, v34
	v_cvt_f32_i32_e32 v21, v35
	v_bfe_i32 v23, v17, 16, 8
	v_bfe_i32 v26, v18, 16, 8
	;; [unrolled: 1-line block ×3, first 2 shown]
	v_cvt_f32_i32_e32 v25, v25
	v_cvt_f32_i32_e32 v19, v19
	;; [unrolled: 1-line block ×3, first 2 shown]
	v_fmac_f32_e32 v10, v30, v33
	v_dual_fmac_f32 v12, v22, v34 :: v_dual_fmac_f32 v13, v29, v21
	v_cvt_f32_i32_e32 v6, v6
	v_fmac_f32_e32 v14, v24, v33
	v_ashrrev_i32_e32 v17, 24, v17
	v_ashrrev_i32_e32 v18, 24, v18
	;; [unrolled: 1-line block ×3, first 2 shown]
	v_cvt_f32_i32_e32 v23, v23
	v_cvt_f32_i32_e32 v26, v26
	;; [unrolled: 1-line block ×3, first 2 shown]
	v_fmac_f32_e32 v10, v31, v34
	v_fmac_f32_e32 v13, v19, v6
	;; [unrolled: 1-line block ×3, first 2 shown]
	v_cvt_f32_i32_e32 v17, v17
	v_cvt_f32_i32_e32 v18, v18
	;; [unrolled: 1-line block ×3, first 2 shown]
	v_fmac_f32_e32 v12, v23, v21
	v_fmac_f32_e32 v14, v26, v21
	;; [unrolled: 1-line block ×3, first 2 shown]
	s_delay_alu instid0(VALU_DEP_3) | instskip(NEXT) | instid1(VALU_DEP_3)
	v_fmac_f32_e32 v12, v17, v6
	v_fmac_f32_e32 v14, v18, v6
	s_delay_alu instid0(VALU_DEP_3)
	v_fmac_f32_e32 v10, v20, v6
	s_wait_alu 0xfffe
	s_and_not1_b32 exec_lo, exec_lo, s4
	s_cbranch_execnz .LBB76_17
; %bb.18:
	s_or_b32 exec_lo, exec_lo, s4
.LBB76_19:
	s_wait_alu 0xfffe
	s_or_b32 exec_lo, exec_lo, s3
	s_delay_alu instid0(SALU_CYCLE_1)
	s_mov_b32 s11, exec_lo
	v_cmpx_lt_u32_e32 23, v1
	s_cbranch_execz .LBB76_23
; %bb.20:
	s_mov_b32 s13, 0
.LBB76_21:                              ; =>This Inner Loop Header: Depth=1
	v_ashrrev_i32_e32 v6, 31, v5
	s_delay_alu instid0(VALU_DEP_1) | instskip(NEXT) | instid1(VALU_DEP_1)
	v_lshlrev_b64_e32 v[16:17], 2, v[5:6]
	v_add_co_u32 v16, vcc_lo, s8, v16
	s_wait_alu 0xfffd
	s_delay_alu instid0(VALU_DEP_2)
	v_add_co_ci_u32_e64 v17, null, s9, v17, vcc_lo
	s_clause 0x3
	global_load_b32 v1, v[16:17], off
	global_load_b32 v6, v[16:17], off offset:32
	global_load_b32 v32, v[16:17], off offset:64
	;; [unrolled: 1-line block ×3, first 2 shown]
	s_clause 0x3
	global_load_b128 v[16:19], v[7:8], off
	global_load_b128 v[20:23], v[7:8], off offset:128
	global_load_b128 v[24:27], v[7:8], off offset:256
	global_load_b128 v[28:31], v[7:8], off offset:384
	s_wait_loadcnt 0x7
	v_subrev_nc_u32_e32 v1, s16, v1
	s_wait_loadcnt 0x6
	v_subrev_nc_u32_e32 v6, s16, v6
	;; [unrolled: 2-line block ×4, first 2 shown]
	s_wait_loadcnt 0x3
	v_bfe_i32 v41, v18, 8, 8
	v_lshlrev_b32_e32 v1, 2, v1
	v_bfe_i32 v42, v18, 16, 8
	v_lshlrev_b32_e32 v34, 2, v32
	v_lshlrev_b32_e32 v33, 2, v33
	v_cvt_f32_i32_e32 v41, v41
	v_lshlrev_b32_e32 v6, 2, v6
	v_ashrrev_i32_e32 v35, 31, v1
	s_wait_kmcnt 0x0
	v_add_co_u32 v38, s5, s6, v1
	v_ashrrev_i32_e32 v40, 31, v33
	v_ashrrev_i32_e32 v37, 31, v6
	v_add_co_u32 v32, vcc_lo, s6, v6
	v_ashrrev_i32_e32 v6, 31, v34
	v_add_co_u32 v34, s3, s6, v34
	s_wait_alu 0xf1ff
	v_add_co_ci_u32_e64 v39, null, s7, v35, s5
	v_add_co_u32 v36, s4, s6, v33
	s_wait_alu 0xfffd
	v_add_co_ci_u32_e64 v33, null, s7, v37, vcc_lo
	v_add_co_ci_u32_e64 v35, null, s7, v6, s3
	s_wait_alu 0xf1ff
	v_add_co_ci_u32_e64 v37, null, s7, v40, s4
	s_clause 0x3
	global_load_b32 v1, v[38:39], off
	global_load_b32 v6, v[32:33], off
	;; [unrolled: 1-line block ×4, first 2 shown]
	v_bfe_i32 v40, v18, 0, 8
	v_bfe_i32 v34, v16, 0, 8
	;; [unrolled: 1-line block ×5, first 2 shown]
	v_cvt_f32_i32_e32 v40, v40
	v_cvt_f32_i32_e32 v34, v34
	v_bfe_i32 v36, v16, 16, 8
	v_bfe_i32 v38, v17, 8, 8
	v_ashrrev_i32_e32 v18, 24, v18
	v_bfe_i32 v44, v19, 8, 8
	v_cvt_f32_i32_e32 v35, v35
	v_cvt_f32_i32_e32 v37, v37
	;; [unrolled: 1-line block ×4, first 2 shown]
	v_ashrrev_i32_e32 v16, 24, v16
	v_bfe_i32 v39, v17, 16, 8
	v_bfe_i32 v45, v19, 16, 8
	s_wait_loadcnt 0x6
	v_bfe_i32 v52, v22, 0, 8
	v_bfe_i32 v53, v22, 8, 8
	v_cvt_f32_i32_e32 v36, v36
	v_cvt_f32_i32_e32 v38, v38
	;; [unrolled: 1-line block ×4, first 2 shown]
	v_ashrrev_i32_e32 v17, 24, v17
	v_ashrrev_i32_e32 v19, 24, v19
	v_bfe_i32 v54, v22, 16, 8
	v_ashrrev_i32_e32 v22, 24, v22
	s_wait_loadcnt 0x5
	v_bfe_i32 v66, v26, 16, 8
	v_cvt_f32_i32_e32 v16, v16
	v_cvt_f32_i32_e32 v39, v39
	;; [unrolled: 1-line block ×5, first 2 shown]
	v_bfe_i32 v46, v20, 0, 8
	v_bfe_i32 v49, v21, 0, 8
	;; [unrolled: 1-line block ×4, first 2 shown]
	s_wait_loadcnt 0x4
	v_bfe_i32 v76, v30, 0, 8
	v_cvt_f32_i32_e32 v17, v17
	v_cvt_f32_i32_e32 v19, v19
	;; [unrolled: 1-line block ×5, first 2 shown]
	v_bfe_i32 v47, v20, 8, 8
	v_bfe_i32 v50, v21, 8, 8
	;; [unrolled: 1-line block ×4, first 2 shown]
	v_ashrrev_i32_e32 v26, 24, v26
	v_bfe_i32 v77, v30, 8, 8
	v_cvt_f32_i32_e32 v46, v46
	v_cvt_f32_i32_e32 v49, v49
	v_cvt_f32_i32_e32 v55, v55
	v_cvt_f32_i32_e32 v64, v64
	v_cvt_f32_i32_e32 v76, v76
	v_bfe_i32 v48, v20, 16, 8
	v_bfe_i32 v51, v21, 16, 8
	;; [unrolled: 1-line block ×4, first 2 shown]
	v_cvt_f32_i32_e32 v47, v47
	v_cvt_f32_i32_e32 v50, v50
	;; [unrolled: 1-line block ×6, first 2 shown]
	v_ashrrev_i32_e32 v20, 24, v20
	v_ashrrev_i32_e32 v21, 24, v21
	v_ashrrev_i32_e32 v23, 24, v23
	v_ashrrev_i32_e32 v30, 24, v30
	v_cvt_f32_i32_e32 v48, v48
	v_cvt_f32_i32_e32 v51, v51
	;; [unrolled: 1-line block ×4, first 2 shown]
	v_bfe_i32 v58, v24, 0, 8
	v_bfe_i32 v61, v25, 0, 8
	;; [unrolled: 1-line block ×3, first 2 shown]
	v_cvt_f32_i32_e32 v20, v20
	v_cvt_f32_i32_e32 v21, v21
	;; [unrolled: 1-line block ×4, first 2 shown]
	v_bfe_i32 v59, v24, 8, 8
	v_bfe_i32 v62, v25, 8, 8
	;; [unrolled: 1-line block ×3, first 2 shown]
	v_cvt_f32_i32_e32 v58, v58
	v_cvt_f32_i32_e32 v61, v61
	;; [unrolled: 1-line block ×3, first 2 shown]
	v_bfe_i32 v60, v24, 16, 8
	v_bfe_i32 v63, v25, 16, 8
	;; [unrolled: 1-line block ×3, first 2 shown]
	v_cvt_f32_i32_e32 v59, v59
	v_cvt_f32_i32_e32 v62, v62
	;; [unrolled: 1-line block ×3, first 2 shown]
	v_ashrrev_i32_e32 v24, 24, v24
	v_ashrrev_i32_e32 v25, 24, v25
	;; [unrolled: 1-line block ×3, first 2 shown]
	v_cvt_f32_i32_e32 v60, v60
	v_cvt_f32_i32_e32 v63, v63
	v_cvt_f32_i32_e32 v69, v69
	v_bfe_i32 v70, v28, 0, 8
	v_bfe_i32 v73, v29, 0, 8
	v_bfe_i32 v79, v31, 0, 8
	v_cvt_f32_i32_e32 v24, v24
	v_cvt_f32_i32_e32 v25, v25
	v_cvt_f32_i32_e32 v27, v27
	v_bfe_i32 v71, v28, 8, 8
	v_bfe_i32 v74, v29, 8, 8
	v_bfe_i32 v80, v31, 8, 8
	;; [unrolled: 6-line block ×3, first 2 shown]
	v_cvt_f32_i32_e32 v71, v71
	v_cvt_f32_i32_e32 v74, v74
	;; [unrolled: 1-line block ×3, first 2 shown]
	v_ashrrev_i32_e32 v28, 24, v28
	v_ashrrev_i32_e32 v29, 24, v29
	;; [unrolled: 1-line block ×3, first 2 shown]
	v_cvt_f32_i32_e32 v72, v72
	v_cvt_f32_i32_e32 v75, v75
	;; [unrolled: 1-line block ×6, first 2 shown]
	v_add_co_u32 v7, vcc_lo, 0x200, v7
	s_wait_alu 0xfffd
	v_add_co_ci_u32_e64 v8, null, 0, v8, vcc_lo
	s_wait_loadcnt 0x3
	v_bfe_i32 v82, v1, 0, 8
	v_bfe_i32 v83, v1, 8, 8
	;; [unrolled: 1-line block ×3, first 2 shown]
	v_ashrrev_i32_e32 v1, 24, v1
	s_wait_loadcnt 0x2
	v_bfe_i32 v87, v6, 16, 8
	v_cvt_f32_i32_e32 v82, v82
	v_cvt_f32_i32_e32 v83, v83
	v_add_nc_u32_e32 v5, 32, v5
	v_cvt_f32_i32_e32 v1, v1
	v_bfe_i32 v85, v6, 0, 8
	v_fmac_f32_e32 v13, v40, v82
	v_fmac_f32_e32 v12, v34, v82
	v_cvt_f32_i32_e32 v34, v84
	v_fmac_f32_e32 v14, v37, v82
	s_delay_alu instid0(VALU_DEP_4) | instskip(NEXT) | instid1(VALU_DEP_4)
	v_dual_fmac_f32 v10, v43, v82 :: v_dual_fmac_f32 v13, v41, v83
	v_fmac_f32_e32 v12, v35, v83
	v_bfe_i32 v86, v6, 8, 8
	v_ashrrev_i32_e32 v6, 24, v6
	s_wait_loadcnt 0x1
	v_bfe_i32 v88, v32, 0, 8
	v_dual_fmac_f32 v13, v42, v34 :: v_dual_fmac_f32 v10, v44, v83
	v_fmac_f32_e32 v12, v36, v34
	v_bfe_i32 v89, v32, 8, 8
	v_bfe_i32 v90, v32, 16, 8
	s_delay_alu instid0(VALU_DEP_4)
	v_fmac_f32_e32 v13, v18, v1
	v_fmac_f32_e32 v14, v38, v83
	;; [unrolled: 1-line block ×4, first 2 shown]
	v_cvt_f32_i32_e32 v16, v87
	v_ashrrev_i32_e32 v32, 24, v32
	v_fmac_f32_e32 v14, v39, v34
	v_cvt_f32_i32_e32 v34, v85
	v_fmac_f32_e32 v10, v19, v1
	s_wait_loadcnt 0x0
	v_bfe_i32 v91, v33, 0, 8
	v_bfe_i32 v92, v33, 8, 8
	v_fmac_f32_e32 v14, v17, v1
	v_cvt_f32_i32_e32 v1, v86
	v_fmac_f32_e32 v12, v46, v34
	v_fmac_f32_e32 v13, v52, v34
	;; [unrolled: 1-line block ×4, first 2 shown]
	v_bfe_i32 v93, v33, 16, 8
	v_fmac_f32_e32 v12, v47, v1
	v_fmac_f32_e32 v13, v53, v1
	v_fmac_f32_e32 v10, v56, v1
	v_fmac_f32_e32 v14, v50, v1
	v_cvt_f32_i32_e32 v1, v6
	v_fmac_f32_e32 v12, v48, v16
	v_fmac_f32_e32 v13, v54, v16
	v_fmac_f32_e32 v10, v57, v16
	v_fmac_f32_e32 v14, v51, v16
	v_cvt_f32_i32_e32 v6, v88
	;; [unrolled: 5-line block ×7, first 2 shown]
	v_fmac_f32_e32 v12, v70, v6
	v_fmac_f32_e32 v13, v76, v6
	;; [unrolled: 1-line block ×4, first 2 shown]
	v_ashrrev_i32_e32 v33, 24, v33
	v_cvt_f32_i32_e32 v6, v93
	v_fmac_f32_e32 v12, v71, v1
	v_fmac_f32_e32 v13, v77, v1
	;; [unrolled: 1-line block ×4, first 2 shown]
	v_cvt_f32_i32_e32 v1, v33
	v_fmac_f32_e32 v12, v72, v6
	v_fmac_f32_e32 v13, v78, v6
	;; [unrolled: 1-line block ×4, first 2 shown]
	v_cmp_ge_i32_e32 vcc_lo, v5, v11
	v_fmac_f32_e32 v12, v28, v1
	v_fmac_f32_e32 v13, v30, v1
	;; [unrolled: 1-line block ×4, first 2 shown]
	s_or_b32 s13, vcc_lo, s13
	s_delay_alu instid0(SALU_CYCLE_1)
	s_and_not1_b32 exec_lo, exec_lo, s13
	s_cbranch_execnz .LBB76_21
; %bb.22:
	s_or_b32 exec_lo, exec_lo, s13
.LBB76_23:
	s_wait_alu 0xfffe
	s_or_b32 exec_lo, exec_lo, s11
.LBB76_24:
	s_wait_alu 0xfffe
	s_or_b32 exec_lo, exec_lo, s10
	s_cbranch_execz .LBB76_26
	s_branch .LBB76_37
.LBB76_25:
                                        ; implicit-def: $vgpr10
                                        ; implicit-def: $vgpr13
                                        ; implicit-def: $vgpr14
                                        ; implicit-def: $vgpr12
.LBB76_26:
	v_dual_mov_b32 v10, 0 :: v_dual_mov_b32 v13, 0
	v_mov_b32_e32 v14, 0
	v_mov_b32_e32 v12, 0
	s_and_saveexec_b32 s5, s2
	s_cbranch_execz .LBB76_36
; %bb.27:
	v_dual_mov_b32 v12, 0 :: v_dual_add_nc_u32 v1, v15, v9
	v_not_b32_e32 v5, v15
	v_mov_b32_e32 v13, 0
	s_mov_b32 s2, exec_lo
	s_delay_alu instid0(VALU_DEP_3) | instskip(SKIP_1) | instid1(VALU_DEP_2)
	v_subrev_nc_u32_e32 v1, s16, v1
	v_mov_b32_e32 v14, 0
	v_dual_mov_b32 v10, 0 :: v_dual_add_nc_u32 v1, 8, v1
	s_delay_alu instid0(VALU_DEP_1) | instskip(NEXT) | instid1(VALU_DEP_1)
	v_max_i32_e32 v1, v1, v11
	v_add3_u32 v1, s16, v1, v5
	s_delay_alu instid0(VALU_DEP_1) | instskip(NEXT) | instid1(VALU_DEP_1)
	v_sub_nc_u32_e32 v5, v1, v9
	v_and_b32_e32 v1, 24, v5
	s_delay_alu instid0(VALU_DEP_1)
	v_cmpx_ne_u32_e32 24, v1
	s_cbranch_execz .LBB76_31
; %bb.28:
	v_lshrrev_b32_e32 v1, 3, v5
	v_dual_mov_b32 v13, 0 :: v_dual_mov_b32 v12, 0
	s_mov_b32 s3, 0
	s_delay_alu instid0(VALU_DEP_2) | instskip(NEXT) | instid1(VALU_DEP_1)
	v_dual_mov_b32 v10, 0 :: v_dual_add_nc_u32 v1, 1, v1
	v_dual_mov_b32 v14, 0 :: v_dual_and_b32 v1, 3, v1
	s_delay_alu instid0(VALU_DEP_1)
	v_sub_nc_u32_e32 v6, 0, v1
.LBB76_29:                              ; =>This Inner Loop Header: Depth=1
	v_ashrrev_i32_e32 v1, 31, v0
	s_delay_alu instid0(VALU_DEP_2) | instskip(SKIP_2) | instid1(VALU_DEP_2)
	v_add_co_u32 v6, s4, v6, 1
	s_wait_alu 0xfffe
	s_or_b32 s3, s4, s3
	v_lshlrev_b64_e32 v[7:8], 2, v[0:1]
	v_add_nc_u32_e32 v0, 8, v0
	s_delay_alu instid0(VALU_DEP_2) | instskip(SKIP_1) | instid1(VALU_DEP_3)
	v_add_co_u32 v7, vcc_lo, s8, v7
	s_wait_alu 0xfffd
	v_add_co_ci_u32_e64 v8, null, s9, v8, vcc_lo
	global_load_b32 v1, v[7:8], off
	s_wait_loadcnt 0x0
	v_subrev_nc_u32_e32 v1, s16, v1
	s_delay_alu instid0(VALU_DEP_1) | instskip(NEXT) | instid1(VALU_DEP_1)
	v_lshlrev_b32_e32 v1, 2, v1
	v_ashrrev_i32_e32 v8, 31, v1
	s_wait_kmcnt 0x0
	v_add_co_u32 v7, vcc_lo, s6, v1
	s_wait_alu 0xfffd
	s_delay_alu instid0(VALU_DEP_2)
	v_add_co_ci_u32_e64 v8, null, s7, v8, vcc_lo
	global_load_b128 v[15:18], v[2:3], off
	global_load_b32 v1, v[7:8], off
	v_add_co_u32 v2, vcc_lo, 0x80, v2
	s_wait_alu 0xfffd
	v_add_co_ci_u32_e64 v3, null, 0, v3, vcc_lo
	s_wait_loadcnt 0x1
	v_bfe_i32 v19, v15, 16, 8
	s_wait_loadcnt 0x0
	v_bfe_i32 v29, v1, 0, 8
	v_bfe_i32 v7, v15, 0, 8
	;; [unrolled: 1-line block ×3, first 2 shown]
	v_ashrrev_i32_e32 v15, 24, v15
	v_bfe_i32 v21, v16, 8, 8
	v_bfe_i32 v22, v16, 16, 8
	v_cvt_f32_i32_e32 v19, v19
	v_bfe_i32 v30, v1, 8, 8
	v_cvt_f32_i32_e32 v29, v29
	v_bfe_i32 v20, v16, 0, 8
	v_ashrrev_i32_e32 v16, 24, v16
	v_bfe_i32 v25, v17, 16, 8
	v_cvt_f32_i32_e32 v7, v7
	v_cvt_f32_i32_e32 v8, v8
	;; [unrolled: 1-line block ×5, first 2 shown]
	v_bfe_i32 v31, v1, 16, 8
	v_cvt_f32_i32_e32 v30, v30
	v_fmac_f32_e32 v13, v19, v29
	v_bfe_i32 v23, v17, 0, 8
	v_bfe_i32 v24, v17, 8, 8
	v_ashrrev_i32_e32 v17, 24, v17
	v_cvt_f32_i32_e32 v20, v20
	v_cvt_f32_i32_e32 v16, v16
	;; [unrolled: 1-line block ×3, first 2 shown]
	v_dual_fmac_f32 v12, v7, v29 :: v_dual_fmac_f32 v13, v22, v30
	v_fmac_f32_e32 v10, v15, v29
	v_cvt_f32_i32_e32 v7, v31
	v_fmac_f32_e32 v14, v8, v29
	v_bfe_i32 v26, v18, 0, 8
	v_bfe_i32 v27, v18, 8, 8
	;; [unrolled: 1-line block ×3, first 2 shown]
	v_ashrrev_i32_e32 v18, 24, v18
	v_cvt_f32_i32_e32 v23, v23
	v_cvt_f32_i32_e32 v24, v24
	;; [unrolled: 1-line block ×3, first 2 shown]
	v_ashrrev_i32_e32 v1, 24, v1
	v_fmac_f32_e32 v12, v20, v30
	v_dual_fmac_f32 v10, v16, v30 :: v_dual_fmac_f32 v13, v25, v7
	v_fmac_f32_e32 v14, v21, v30
	v_cvt_f32_i32_e32 v26, v26
	v_cvt_f32_i32_e32 v27, v27
	;; [unrolled: 1-line block ×5, first 2 shown]
	v_fmac_f32_e32 v12, v23, v7
	v_fmac_f32_e32 v14, v24, v7
	s_delay_alu instid0(VALU_DEP_3) | instskip(NEXT) | instid1(VALU_DEP_3)
	v_dual_fmac_f32 v10, v17, v7 :: v_dual_fmac_f32 v13, v28, v1
	v_fmac_f32_e32 v12, v26, v1
	s_delay_alu instid0(VALU_DEP_3) | instskip(NEXT) | instid1(VALU_DEP_3)
	v_fmac_f32_e32 v14, v27, v1
	v_fmac_f32_e32 v10, v18, v1
	s_wait_alu 0xfffe
	s_and_not1_b32 exec_lo, exec_lo, s3
	s_cbranch_execnz .LBB76_29
; %bb.30:
	s_or_b32 exec_lo, exec_lo, s3
.LBB76_31:
	s_wait_alu 0xfffe
	s_or_b32 exec_lo, exec_lo, s2
	s_delay_alu instid0(SALU_CYCLE_1)
	s_mov_b32 s10, exec_lo
	v_cmpx_lt_u32_e32 23, v5
	s_cbranch_execz .LBB76_35
; %bb.32:
	s_mov_b32 s11, 0
.LBB76_33:                              ; =>This Inner Loop Header: Depth=1
	v_ashrrev_i32_e32 v1, 31, v0
	s_delay_alu instid0(VALU_DEP_1) | instskip(NEXT) | instid1(VALU_DEP_1)
	v_lshlrev_b64_e32 v[5:6], 2, v[0:1]
	v_add_co_u32 v5, vcc_lo, s8, v5
	s_wait_alu 0xfffd
	s_delay_alu instid0(VALU_DEP_2)
	v_add_co_ci_u32_e64 v6, null, s9, v6, vcc_lo
	s_clause 0x3
	global_load_b32 v1, v[5:6], off
	global_load_b32 v27, v[5:6], off offset:32
	global_load_b32 v28, v[5:6], off offset:64
	;; [unrolled: 1-line block ×3, first 2 shown]
	s_clause 0x3
	global_load_b128 v[5:8], v[2:3], off
	global_load_b128 v[15:18], v[2:3], off offset:128
	global_load_b128 v[19:22], v[2:3], off offset:256
	;; [unrolled: 1-line block ×3, first 2 shown]
	s_wait_loadcnt 0x7
	v_subrev_nc_u32_e32 v1, s16, v1
	s_wait_loadcnt 0x6
	v_subrev_nc_u32_e32 v27, s16, v27
	;; [unrolled: 2-line block ×4, first 2 shown]
	s_wait_loadcnt 0x3
	v_bfe_i32 v38, v7, 16, 8
	v_lshlrev_b32_e32 v1, 2, v1
	v_lshlrev_b32_e32 v27, 2, v27
	;; [unrolled: 1-line block ×4, first 2 shown]
	s_wait_loadcnt 0x2
	v_bfe_i32 v44, v15, 16, 8
	v_ashrrev_i32_e32 v32, 31, v1
	v_ashrrev_i32_e32 v35, 31, v27
	;; [unrolled: 1-line block ×4, first 2 shown]
	s_wait_kmcnt 0x0
	v_add_co_u32 v33, s4, s6, v1
	v_add_co_u32 v27, vcc_lo, s6, v27
	v_add_co_u32 v29, s2, s6, v28
	s_wait_alu 0xf1ff
	v_add_co_ci_u32_e64 v34, null, s7, v32, s4
	v_add_co_u32 v31, s3, s6, v30
	s_wait_alu 0xfffd
	v_add_co_ci_u32_e64 v28, null, s7, v35, vcc_lo
	v_add_co_ci_u32_e64 v30, null, s7, v36, s2
	s_wait_alu 0xf1ff
	v_add_co_ci_u32_e64 v32, null, s7, v37, s3
	s_clause 0x3
	global_load_b32 v1, v[33:34], off
	global_load_b32 v27, v[27:28], off
	;; [unrolled: 1-line block ×4, first 2 shown]
	v_bfe_i32 v32, v5, 16, 8
	v_bfe_i32 v30, v5, 0, 8
	v_bfe_i32 v31, v5, 8, 8
	v_ashrrev_i32_e32 v5, 24, v5
	v_bfe_i32 v35, v6, 16, 8
	v_cvt_f32_i32_e32 v32, v32
	v_bfe_i32 v33, v6, 0, 8
	v_bfe_i32 v34, v6, 8, 8
	v_ashrrev_i32_e32 v6, 24, v6
	v_cvt_f32_i32_e32 v30, v30
	v_cvt_f32_i32_e32 v31, v31
	;; [unrolled: 1-line block ×4, first 2 shown]
	v_bfe_i32 v36, v7, 0, 8
	v_bfe_i32 v37, v7, 8, 8
	v_ashrrev_i32_e32 v7, 24, v7
	v_bfe_i32 v41, v8, 16, 8
	v_bfe_i32 v47, v16, 16, 8
	;; [unrolled: 1-line block ×3, first 2 shown]
	v_cvt_f32_i32_e32 v33, v33
	v_cvt_f32_i32_e32 v34, v34
	;; [unrolled: 1-line block ×5, first 2 shown]
	v_bfe_i32 v39, v8, 0, 8
	v_bfe_i32 v40, v8, 8, 8
	v_ashrrev_i32_e32 v8, 24, v8
	v_cvt_f32_i32_e32 v36, v36
	v_cvt_f32_i32_e32 v37, v37
	;; [unrolled: 1-line block ×6, first 2 shown]
	v_bfe_i32 v42, v15, 0, 8
	v_bfe_i32 v43, v15, 8, 8
	v_ashrrev_i32_e32 v15, 24, v15
	v_cvt_f32_i32_e32 v39, v39
	v_cvt_f32_i32_e32 v40, v40
	;; [unrolled: 1-line block ×3, first 2 shown]
	v_bfe_i32 v45, v16, 0, 8
	v_bfe_i32 v46, v16, 8, 8
	v_ashrrev_i32_e32 v16, 24, v16
	v_cvt_f32_i32_e32 v42, v42
	v_cvt_f32_i32_e32 v43, v43
	;; [unrolled: 1-line block ×3, first 2 shown]
	v_bfe_i32 v48, v17, 0, 8
	v_bfe_i32 v49, v17, 8, 8
	;; [unrolled: 1-line block ×3, first 2 shown]
	v_ashrrev_i32_e32 v17, 24, v17
	v_cvt_f32_i32_e32 v45, v45
	v_cvt_f32_i32_e32 v46, v46
	;; [unrolled: 1-line block ×3, first 2 shown]
	v_bfe_i32 v51, v18, 0, 8
	v_bfe_i32 v52, v18, 8, 8
	v_ashrrev_i32_e32 v18, 24, v18
	v_cvt_f32_i32_e32 v48, v48
	v_cvt_f32_i32_e32 v49, v49
	;; [unrolled: 1-line block ×4, first 2 shown]
	s_wait_loadcnt 0x5
	v_bfe_i32 v54, v19, 0, 8
	v_bfe_i32 v55, v19, 8, 8
	;; [unrolled: 1-line block ×3, first 2 shown]
	v_ashrrev_i32_e32 v19, 24, v19
	v_cvt_f32_i32_e32 v51, v51
	v_cvt_f32_i32_e32 v52, v52
	v_cvt_f32_i32_e32 v18, v18
	v_bfe_i32 v57, v20, 0, 8
	v_bfe_i32 v58, v20, 8, 8
	v_bfe_i32 v59, v20, 16, 8
	v_ashrrev_i32_e32 v20, 24, v20
	v_cvt_f32_i32_e32 v54, v54
	v_cvt_f32_i32_e32 v55, v55
	v_cvt_f32_i32_e32 v56, v56
	v_cvt_f32_i32_e32 v19, v19
	v_bfe_i32 v60, v21, 0, 8
	v_bfe_i32 v61, v21, 8, 8
	v_bfe_i32 v62, v21, 16, 8
	v_ashrrev_i32_e32 v21, 24, v21
	v_cvt_f32_i32_e32 v57, v57
	;; [unrolled: 8-line block ×3, first 2 shown]
	v_cvt_f32_i32_e32 v61, v61
	v_cvt_f32_i32_e32 v62, v62
	;; [unrolled: 1-line block ×3, first 2 shown]
	s_wait_loadcnt 0x4
	v_bfe_i32 v66, v23, 0, 8
	v_bfe_i32 v67, v23, 8, 8
	v_bfe_i32 v68, v23, 16, 8
	v_ashrrev_i32_e32 v23, 24, v23
	v_cvt_f32_i32_e32 v63, v63
	v_cvt_f32_i32_e32 v64, v64
	v_cvt_f32_i32_e32 v65, v65
	v_cvt_f32_i32_e32 v22, v22
	v_bfe_i32 v69, v24, 0, 8
	v_bfe_i32 v70, v24, 8, 8
	v_bfe_i32 v71, v24, 16, 8
	v_ashrrev_i32_e32 v24, 24, v24
	v_cvt_f32_i32_e32 v66, v66
	v_cvt_f32_i32_e32 v67, v67
	v_cvt_f32_i32_e32 v68, v68
	v_cvt_f32_i32_e32 v23, v23
	;; [unrolled: 8-line block ×4, first 2 shown]
	v_cvt_f32_i32_e32 v75, v75
	v_cvt_f32_i32_e32 v76, v76
	;; [unrolled: 1-line block ×4, first 2 shown]
	v_add_co_u32 v2, vcc_lo, 0x200, v2
	s_wait_alu 0xfffd
	v_add_co_ci_u32_e64 v3, null, 0, v3, vcc_lo
	s_wait_loadcnt 0x3
	v_bfe_i32 v78, v1, 0, 8
	v_bfe_i32 v79, v1, 8, 8
	;; [unrolled: 1-line block ×3, first 2 shown]
	v_ashrrev_i32_e32 v1, 24, v1
	s_wait_loadcnt 0x2
	v_bfe_i32 v81, v27, 0, 8
	v_cvt_f32_i32_e32 v78, v78
	v_cvt_f32_i32_e32 v79, v79
	v_bfe_i32 v82, v27, 8, 8
	v_cvt_f32_i32_e32 v1, v1
	v_bfe_i32 v83, v27, 16, 8
	v_fmac_f32_e32 v13, v32, v78
	v_fmac_f32_e32 v12, v30, v78
	;; [unrolled: 1-line block ×4, first 2 shown]
	v_cvt_f32_i32_e32 v5, v80
	v_dual_fmac_f32 v13, v35, v79 :: v_dual_add_nc_u32 v0, 32, v0
	v_fmac_f32_e32 v12, v33, v79
	s_delay_alu instid0(VALU_DEP_4) | instskip(SKIP_1) | instid1(VALU_DEP_4)
	v_fmac_f32_e32 v10, v6, v79
	v_ashrrev_i32_e32 v27, 24, v27
	v_fmac_f32_e32 v13, v38, v5
	v_fmac_f32_e32 v14, v34, v79
	;; [unrolled: 1-line block ×4, first 2 shown]
	s_wait_loadcnt 0x1
	v_bfe_i32 v84, v28, 0, 8
	v_fmac_f32_e32 v13, v41, v1
	v_fmac_f32_e32 v14, v37, v5
	v_cvt_f32_i32_e32 v5, v81
	v_fmac_f32_e32 v12, v39, v1
	v_fmac_f32_e32 v10, v8, v1
	v_bfe_i32 v85, v28, 8, 8
	v_fmac_f32_e32 v14, v40, v1
	v_cvt_f32_i32_e32 v1, v82
	v_fmac_f32_e32 v12, v42, v5
	v_fmac_f32_e32 v13, v44, v5
	v_fmac_f32_e32 v10, v15, v5
	v_fmac_f32_e32 v14, v43, v5
	v_cvt_f32_i32_e32 v5, v83
	v_fmac_f32_e32 v12, v45, v1
	v_fmac_f32_e32 v13, v47, v1
	v_fmac_f32_e32 v10, v16, v1
	;; [unrolled: 5-line block ×4, first 2 shown]
	v_fmac_f32_e32 v14, v52, v1
	v_bfe_i32 v86, v28, 16, 8
	v_cvt_f32_i32_e32 v1, v85
	v_fmac_f32_e32 v12, v54, v5
	v_fmac_f32_e32 v13, v56, v5
	;; [unrolled: 1-line block ×4, first 2 shown]
	v_ashrrev_i32_e32 v28, 24, v28
	v_cvt_f32_i32_e32 v5, v86
	v_fmac_f32_e32 v12, v57, v1
	v_fmac_f32_e32 v14, v58, v1
	v_fmac_f32_e32 v13, v59, v1
	v_fmac_f32_e32 v10, v20, v1
	s_wait_loadcnt 0x0
	v_bfe_i32 v87, v29, 0, 8
	v_cvt_f32_i32_e32 v1, v28
	v_fmac_f32_e32 v12, v60, v5
	v_fmac_f32_e32 v14, v61, v5
	v_fmac_f32_e32 v13, v62, v5
	v_fmac_f32_e32 v10, v21, v5
	v_bfe_i32 v88, v29, 8, 8
	v_cvt_f32_i32_e32 v5, v87
	v_fmac_f32_e32 v12, v63, v1
	v_fmac_f32_e32 v14, v64, v1
	v_fmac_f32_e32 v13, v65, v1
	v_fmac_f32_e32 v10, v22, v1
	;; [unrolled: 6-line block ×3, first 2 shown]
	v_ashrrev_i32_e32 v29, 24, v29
	v_cvt_f32_i32_e32 v5, v89
	v_fmac_f32_e32 v12, v69, v1
	v_fmac_f32_e32 v14, v70, v1
	;; [unrolled: 1-line block ×4, first 2 shown]
	v_cvt_f32_i32_e32 v1, v29
	v_fmac_f32_e32 v12, v72, v5
	v_fmac_f32_e32 v14, v73, v5
	;; [unrolled: 1-line block ×4, first 2 shown]
	v_cmp_ge_i32_e32 vcc_lo, v0, v11
	v_fmac_f32_e32 v12, v75, v1
	v_fmac_f32_e32 v14, v76, v1
	;; [unrolled: 1-line block ×4, first 2 shown]
	s_wait_alu 0xfffe
	s_or_b32 s11, vcc_lo, s11
	s_wait_alu 0xfffe
	s_and_not1_b32 exec_lo, exec_lo, s11
	s_cbranch_execnz .LBB76_33
; %bb.34:
	s_or_b32 exec_lo, exec_lo, s11
.LBB76_35:
	s_wait_alu 0xfffe
	s_or_b32 exec_lo, exec_lo, s10
.LBB76_36:
	s_wait_alu 0xfffe
	s_or_b32 exec_lo, exec_lo, s5
.LBB76_37:
	v_mbcnt_lo_u32_b32 v0, -1, 0
	s_mov_b32 s2, -1
	s_delay_alu instid0(VALU_DEP_1) | instskip(SKIP_2) | instid1(VALU_DEP_3)
	v_xor_b32_e32 v1, 4, v0
	v_xor_b32_e32 v6, 2, v0
	;; [unrolled: 1-line block ×3, first 2 shown]
	v_cmp_gt_i32_e32 vcc_lo, 32, v1
	s_wait_alu 0xfffd
	v_cndmask_b32_e32 v1, v0, v1, vcc_lo
	v_cmp_gt_i32_e32 vcc_lo, 32, v6
	s_wait_alu 0xfffd
	v_cndmask_b32_e32 v6, v0, v6, vcc_lo
	v_cmp_gt_i32_e32 vcc_lo, 32, v11
	s_delay_alu instid0(VALU_DEP_2)
	v_lshlrev_b32_e32 v6, 2, v6
	s_wait_alu 0xfffd
	v_dual_cndmask_b32 v0, v0, v11 :: v_dual_lshlrev_b32 v1, 2, v1
	v_cmp_eq_u32_e32 vcc_lo, 7, v9
	ds_bpermute_b32 v2, v1, v12
	s_wait_dscnt 0x0
	v_add_f32_e32 v2, v12, v2
	ds_bpermute_b32 v5, v1, v13
	ds_bpermute_b32 v3, v1, v14
	;; [unrolled: 1-line block ×3, first 2 shown]
	s_wait_dscnt 0x2
	v_add_f32_e32 v5, v13, v5
	s_wait_dscnt 0x1
	v_add_f32_e32 v3, v14, v3
	s_wait_dscnt 0x0
	v_add_f32_e32 v7, v10, v1
	ds_bpermute_b32 v1, v6, v2
	v_lshlrev_b32_e32 v11, 2, v0
	ds_bpermute_b32 v10, v6, v5
	ds_bpermute_b32 v8, v6, v3
	s_wait_dscnt 0x2
	v_add_f32_e32 v0, v2, v1
	s_wait_dscnt 0x1
	v_add_f32_e32 v2, v5, v10
	ds_bpermute_b32 v6, v6, v7
	s_wait_dscnt 0x1
	v_add_f32_e32 v1, v3, v8
	ds_bpermute_b32 v5, v11, v0
	;; [unrolled: 3-line block ×3, first 2 shown]
	ds_bpermute_b32 v7, v11, v2
	ds_bpermute_b32 v8, v11, v3
	s_and_b32 exec_lo, exec_lo, vcc_lo
	s_cbranch_execz .LBB76_10
; %bb.38:
	s_load_b64 s[0:1], s[0:1], 0x50
	s_wait_dscnt 0x2
	v_dual_add_f32 v0, v0, v5 :: v_dual_add_f32 v1, v1, v6
	s_wait_dscnt 0x0
	v_dual_add_f32 v2, v2, v7 :: v_dual_add_f32 v3, v3, v8
	v_lshlrev_b32_e32 v4, 2, v4
	s_delay_alu instid0(VALU_DEP_3) | instskip(NEXT) | instid1(VALU_DEP_3)
	v_dual_mul_f32 v0, s14, v0 :: v_dual_mul_f32 v1, s14, v1
	v_dual_mul_f32 v2, s14, v2 :: v_dual_mul_f32 v3, s14, v3
	s_cmp_eq_f32 s12, 0
	s_cbranch_scc0 .LBB76_40
; %bb.39:
	v_ashrrev_i32_e32 v5, 31, v4
	s_mov_b32 s2, 0
	s_delay_alu instid0(VALU_DEP_1) | instskip(SKIP_1) | instid1(VALU_DEP_1)
	v_lshlrev_b64_e32 v[5:6], 2, v[4:5]
	s_wait_kmcnt 0x0
	v_add_co_u32 v5, vcc_lo, s0, v5
	s_wait_alu 0xfffd
	s_delay_alu instid0(VALU_DEP_2)
	v_add_co_ci_u32_e64 v6, null, s1, v6, vcc_lo
	global_store_b128 v[5:6], v[0:3], off
.LBB76_40:
	s_wait_alu 0xfffe
	s_and_not1_b32 vcc_lo, exec_lo, s2
	s_wait_alu 0xfffe
	s_cbranch_vccnz .LBB76_10
; %bb.41:
	v_ashrrev_i32_e32 v5, 31, v4
	s_delay_alu instid0(VALU_DEP_1) | instskip(SKIP_1) | instid1(VALU_DEP_1)
	v_lshlrev_b64_e32 v[4:5], 2, v[4:5]
	s_wait_kmcnt 0x0
	v_add_co_u32 v8, vcc_lo, s0, v4
	s_wait_alu 0xfffd
	s_delay_alu instid0(VALU_DEP_2)
	v_add_co_ci_u32_e64 v9, null, s1, v5, vcc_lo
	global_load_b128 v[4:7], v[8:9], off
	s_wait_loadcnt 0x0
	v_dual_fmac_f32 v0, s12, v4 :: v_dual_fmac_f32 v1, s12, v5
	v_dual_fmac_f32 v2, s12, v6 :: v_dual_fmac_f32 v3, s12, v7
	global_store_b128 v[8:9], v[0:3], off
	s_endpgm
	.section	.rodata,"a",@progbits
	.p2align	6, 0x0
	.amdhsa_kernel _ZN9rocsparseL18bsrxmvn_4x4_kernelILj128ELj8EfiiaafEEvT3_20rocsparse_direction_NS_24const_host_device_scalarIT1_EES1_PKS1_PKT2_SA_S7_PKT4_PKT5_S5_PT6_21rocsparse_index_base_b
		.amdhsa_group_segment_fixed_size 0
		.amdhsa_private_segment_fixed_size 0
		.amdhsa_kernarg_size 96
		.amdhsa_user_sgpr_count 2
		.amdhsa_user_sgpr_dispatch_ptr 0
		.amdhsa_user_sgpr_queue_ptr 0
		.amdhsa_user_sgpr_kernarg_segment_ptr 1
		.amdhsa_user_sgpr_dispatch_id 0
		.amdhsa_user_sgpr_private_segment_size 0
		.amdhsa_wavefront_size32 1
		.amdhsa_uses_dynamic_stack 0
		.amdhsa_enable_private_segment 0
		.amdhsa_system_sgpr_workgroup_id_x 1
		.amdhsa_system_sgpr_workgroup_id_y 0
		.amdhsa_system_sgpr_workgroup_id_z 0
		.amdhsa_system_sgpr_workgroup_info 0
		.amdhsa_system_vgpr_workitem_id 0
		.amdhsa_next_free_vgpr 94
		.amdhsa_next_free_sgpr 18
		.amdhsa_reserve_vcc 1
		.amdhsa_float_round_mode_32 0
		.amdhsa_float_round_mode_16_64 0
		.amdhsa_float_denorm_mode_32 3
		.amdhsa_float_denorm_mode_16_64 3
		.amdhsa_fp16_overflow 0
		.amdhsa_workgroup_processor_mode 1
		.amdhsa_memory_ordered 1
		.amdhsa_forward_progress 1
		.amdhsa_inst_pref_size 44
		.amdhsa_round_robin_scheduling 0
		.amdhsa_exception_fp_ieee_invalid_op 0
		.amdhsa_exception_fp_denorm_src 0
		.amdhsa_exception_fp_ieee_div_zero 0
		.amdhsa_exception_fp_ieee_overflow 0
		.amdhsa_exception_fp_ieee_underflow 0
		.amdhsa_exception_fp_ieee_inexact 0
		.amdhsa_exception_int_div_zero 0
	.end_amdhsa_kernel
	.section	.text._ZN9rocsparseL18bsrxmvn_4x4_kernelILj128ELj8EfiiaafEEvT3_20rocsparse_direction_NS_24const_host_device_scalarIT1_EES1_PKS1_PKT2_SA_S7_PKT4_PKT5_S5_PT6_21rocsparse_index_base_b,"axG",@progbits,_ZN9rocsparseL18bsrxmvn_4x4_kernelILj128ELj8EfiiaafEEvT3_20rocsparse_direction_NS_24const_host_device_scalarIT1_EES1_PKS1_PKT2_SA_S7_PKT4_PKT5_S5_PT6_21rocsparse_index_base_b,comdat
.Lfunc_end76:
	.size	_ZN9rocsparseL18bsrxmvn_4x4_kernelILj128ELj8EfiiaafEEvT3_20rocsparse_direction_NS_24const_host_device_scalarIT1_EES1_PKS1_PKT2_SA_S7_PKT4_PKT5_S5_PT6_21rocsparse_index_base_b, .Lfunc_end76-_ZN9rocsparseL18bsrxmvn_4x4_kernelILj128ELj8EfiiaafEEvT3_20rocsparse_direction_NS_24const_host_device_scalarIT1_EES1_PKS1_PKT2_SA_S7_PKT4_PKT5_S5_PT6_21rocsparse_index_base_b
                                        ; -- End function
	.set _ZN9rocsparseL18bsrxmvn_4x4_kernelILj128ELj8EfiiaafEEvT3_20rocsparse_direction_NS_24const_host_device_scalarIT1_EES1_PKS1_PKT2_SA_S7_PKT4_PKT5_S5_PT6_21rocsparse_index_base_b.num_vgpr, 94
	.set _ZN9rocsparseL18bsrxmvn_4x4_kernelILj128ELj8EfiiaafEEvT3_20rocsparse_direction_NS_24const_host_device_scalarIT1_EES1_PKS1_PKT2_SA_S7_PKT4_PKT5_S5_PT6_21rocsparse_index_base_b.num_agpr, 0
	.set _ZN9rocsparseL18bsrxmvn_4x4_kernelILj128ELj8EfiiaafEEvT3_20rocsparse_direction_NS_24const_host_device_scalarIT1_EES1_PKS1_PKT2_SA_S7_PKT4_PKT5_S5_PT6_21rocsparse_index_base_b.numbered_sgpr, 18
	.set _ZN9rocsparseL18bsrxmvn_4x4_kernelILj128ELj8EfiiaafEEvT3_20rocsparse_direction_NS_24const_host_device_scalarIT1_EES1_PKS1_PKT2_SA_S7_PKT4_PKT5_S5_PT6_21rocsparse_index_base_b.num_named_barrier, 0
	.set _ZN9rocsparseL18bsrxmvn_4x4_kernelILj128ELj8EfiiaafEEvT3_20rocsparse_direction_NS_24const_host_device_scalarIT1_EES1_PKS1_PKT2_SA_S7_PKT4_PKT5_S5_PT6_21rocsparse_index_base_b.private_seg_size, 0
	.set _ZN9rocsparseL18bsrxmvn_4x4_kernelILj128ELj8EfiiaafEEvT3_20rocsparse_direction_NS_24const_host_device_scalarIT1_EES1_PKS1_PKT2_SA_S7_PKT4_PKT5_S5_PT6_21rocsparse_index_base_b.uses_vcc, 1
	.set _ZN9rocsparseL18bsrxmvn_4x4_kernelILj128ELj8EfiiaafEEvT3_20rocsparse_direction_NS_24const_host_device_scalarIT1_EES1_PKS1_PKT2_SA_S7_PKT4_PKT5_S5_PT6_21rocsparse_index_base_b.uses_flat_scratch, 0
	.set _ZN9rocsparseL18bsrxmvn_4x4_kernelILj128ELj8EfiiaafEEvT3_20rocsparse_direction_NS_24const_host_device_scalarIT1_EES1_PKS1_PKT2_SA_S7_PKT4_PKT5_S5_PT6_21rocsparse_index_base_b.has_dyn_sized_stack, 0
	.set _ZN9rocsparseL18bsrxmvn_4x4_kernelILj128ELj8EfiiaafEEvT3_20rocsparse_direction_NS_24const_host_device_scalarIT1_EES1_PKS1_PKT2_SA_S7_PKT4_PKT5_S5_PT6_21rocsparse_index_base_b.has_recursion, 0
	.set _ZN9rocsparseL18bsrxmvn_4x4_kernelILj128ELj8EfiiaafEEvT3_20rocsparse_direction_NS_24const_host_device_scalarIT1_EES1_PKS1_PKT2_SA_S7_PKT4_PKT5_S5_PT6_21rocsparse_index_base_b.has_indirect_call, 0
	.section	.AMDGPU.csdata,"",@progbits
; Kernel info:
; codeLenInByte = 5536
; TotalNumSgprs: 20
; NumVgprs: 94
; ScratchSize: 0
; MemoryBound: 0
; FloatMode: 240
; IeeeMode: 1
; LDSByteSize: 0 bytes/workgroup (compile time only)
; SGPRBlocks: 0
; VGPRBlocks: 11
; NumSGPRsForWavesPerEU: 20
; NumVGPRsForWavesPerEU: 94
; Occupancy: 16
; WaveLimiterHint : 1
; COMPUTE_PGM_RSRC2:SCRATCH_EN: 0
; COMPUTE_PGM_RSRC2:USER_SGPR: 2
; COMPUTE_PGM_RSRC2:TRAP_HANDLER: 0
; COMPUTE_PGM_RSRC2:TGID_X_EN: 1
; COMPUTE_PGM_RSRC2:TGID_Y_EN: 0
; COMPUTE_PGM_RSRC2:TGID_Z_EN: 0
; COMPUTE_PGM_RSRC2:TIDIG_COMP_CNT: 0
	.section	.text._ZN9rocsparseL18bsrxmvn_4x4_kernelILj128ELj16EfiiaafEEvT3_20rocsparse_direction_NS_24const_host_device_scalarIT1_EES1_PKS1_PKT2_SA_S7_PKT4_PKT5_S5_PT6_21rocsparse_index_base_b,"axG",@progbits,_ZN9rocsparseL18bsrxmvn_4x4_kernelILj128ELj16EfiiaafEEvT3_20rocsparse_direction_NS_24const_host_device_scalarIT1_EES1_PKS1_PKT2_SA_S7_PKT4_PKT5_S5_PT6_21rocsparse_index_base_b,comdat
	.globl	_ZN9rocsparseL18bsrxmvn_4x4_kernelILj128ELj16EfiiaafEEvT3_20rocsparse_direction_NS_24const_host_device_scalarIT1_EES1_PKS1_PKT2_SA_S7_PKT4_PKT5_S5_PT6_21rocsparse_index_base_b ; -- Begin function _ZN9rocsparseL18bsrxmvn_4x4_kernelILj128ELj16EfiiaafEEvT3_20rocsparse_direction_NS_24const_host_device_scalarIT1_EES1_PKS1_PKT2_SA_S7_PKT4_PKT5_S5_PT6_21rocsparse_index_base_b
	.p2align	8
	.type	_ZN9rocsparseL18bsrxmvn_4x4_kernelILj128ELj16EfiiaafEEvT3_20rocsparse_direction_NS_24const_host_device_scalarIT1_EES1_PKS1_PKT2_SA_S7_PKT4_PKT5_S5_PT6_21rocsparse_index_base_b,@function
_ZN9rocsparseL18bsrxmvn_4x4_kernelILj128ELj16EfiiaafEEvT3_20rocsparse_direction_NS_24const_host_device_scalarIT1_EES1_PKS1_PKT2_SA_S7_PKT4_PKT5_S5_PT6_21rocsparse_index_base_b: ; @_ZN9rocsparseL18bsrxmvn_4x4_kernelILj128ELj16EfiiaafEEvT3_20rocsparse_direction_NS_24const_host_device_scalarIT1_EES1_PKS1_PKT2_SA_S7_PKT4_PKT5_S5_PT6_21rocsparse_index_base_b
; %bb.0:
	s_clause 0x2
	s_load_b64 s[16:17], s[0:1], 0x58
	s_load_b64 s[14:15], s[0:1], 0x8
	s_load_b64 s[12:13], s[0:1], 0x48
	s_wait_kmcnt 0x0
	s_bitcmp1_b32 s17, 0
	s_cselect_b32 s2, -1, 0
	s_delay_alu instid0(SALU_CYCLE_1)
	s_and_b32 vcc_lo, exec_lo, s2
	s_xor_b32 s2, s2, -1
	s_cbranch_vccnz .LBB77_2
; %bb.1:
	s_load_b32 s14, s[14:15], 0x0
.LBB77_2:
	s_and_not1_b32 vcc_lo, exec_lo, s2
	s_cbranch_vccnz .LBB77_4
; %bb.3:
	s_load_b32 s12, s[12:13], 0x0
.LBB77_4:
	s_wait_kmcnt 0x0
	s_cmp_neq_f32 s14, 0
	s_mov_b32 s6, 0
	s_cselect_b32 s2, -1, 0
	s_cmp_neq_f32 s12, 1.0
	s_cselect_b32 s3, -1, 0
	s_delay_alu instid0(SALU_CYCLE_1) | instskip(NEXT) | instid1(SALU_CYCLE_1)
	s_or_b32 s2, s2, s3
	s_and_not1_b32 vcc_lo, exec_lo, s2
	s_cbranch_vccnz .LBB77_10
; %bb.5:
	s_clause 0x1
	s_load_b64 s[4:5], s[0:1], 0x18
	s_load_b64 s[2:3], s[0:1], 0x0
	v_lshrrev_b32_e32 v1, 4, v0
	s_delay_alu instid0(VALU_DEP_1)
	v_lshl_or_b32 v4, ttmp9, 3, v1
	s_wait_kmcnt 0x0
	s_cmp_lg_u64 s[4:5], 0
	s_cbranch_scc0 .LBB77_11
; %bb.6:
	s_load_b32 s6, s[0:1], 0x10
	s_mov_b32 s7, 0
                                        ; implicit-def: $vgpr1
	s_wait_kmcnt 0x0
	v_cmp_gt_i32_e32 vcc_lo, s6, v4
	s_mov_b32 s6, 0
	s_and_saveexec_b32 s8, vcc_lo
	s_delay_alu instid0(SALU_CYCLE_1)
	s_xor_b32 s8, exec_lo, s8
	s_cbranch_execz .LBB77_8
; %bb.7:
	v_ashrrev_i32_e32 v5, 31, v4
	s_mov_b32 s6, exec_lo
	s_delay_alu instid0(VALU_DEP_1) | instskip(NEXT) | instid1(VALU_DEP_1)
	v_lshlrev_b64_e32 v[1:2], 2, v[4:5]
	v_add_co_u32 v1, vcc_lo, s4, v1
	s_delay_alu instid0(VALU_DEP_1)
	v_add_co_ci_u32_e64 v2, null, s5, v2, vcc_lo
	global_load_b32 v1, v[1:2], off
	s_wait_loadcnt 0x0
	v_subrev_nc_u32_e32 v1, s16, v1
.LBB77_8:
	s_or_b32 exec_lo, exec_lo, s8
	s_delay_alu instid0(SALU_CYCLE_1)
	s_and_b32 vcc_lo, exec_lo, s7
	s_wait_alu 0xfffe
	s_cbranch_vccz .LBB77_12
.LBB77_9:
	v_cmp_gt_i32_e32 vcc_lo, s2, v4
	s_and_not1_b32 s2, s6, exec_lo
	s_and_b32 s4, vcc_lo, exec_lo
	s_wait_alu 0xfffe
	s_or_b32 s6, s2, s4
	s_wait_alu 0xfffe
	s_and_saveexec_b32 s2, s6
	s_cbranch_execnz .LBB77_13
.LBB77_10:
	s_endpgm
.LBB77_11:
                                        ; implicit-def: $vgpr1
	s_cbranch_execnz .LBB77_9
.LBB77_12:
	v_mov_b32_e32 v4, v1
	s_and_saveexec_b32 s2, s6
	s_cbranch_execz .LBB77_10
.LBB77_13:
	s_load_b256 s[4:11], s[0:1], 0x20
	s_delay_alu instid0(VALU_DEP_1) | instskip(SKIP_1) | instid1(VALU_DEP_2)
	v_ashrrev_i32_e32 v5, 31, v4
	v_and_b32_e32 v9, 15, v0
	v_lshlrev_b64_e32 v[1:2], 2, v[4:5]
	s_wait_kmcnt 0x0
	s_delay_alu instid0(VALU_DEP_1) | instskip(SKIP_1) | instid1(VALU_DEP_2)
	v_add_co_u32 v5, vcc_lo, s4, v1
	s_wait_alu 0xfffd
	v_add_co_ci_u32_e64 v6, null, s5, v2, vcc_lo
	v_add_co_u32 v1, vcc_lo, s6, v1
	s_wait_alu 0xfffd
	v_add_co_ci_u32_e64 v2, null, s7, v2, vcc_lo
	global_load_b32 v15, v[5:6], off
	v_add_co_u32 v3, vcc_lo, v5, 4
	s_wait_alu 0xfffd
	v_add_co_ci_u32_e64 v5, null, 0, v6, vcc_lo
	s_cmp_eq_u64 s[6:7], 0
	s_load_b64 s[6:7], s[0:1], 0x40
	s_cselect_b32 vcc_lo, -1, 0
	s_cmp_eq_u32 s3, 1
	s_wait_alu 0xfffe
	v_dual_cndmask_b32 v2, v2, v5 :: v_dual_cndmask_b32 v1, v1, v3
	global_load_b32 v5, v[1:2], off
	s_wait_loadcnt 0x1
	v_subrev_nc_u32_e32 v0, s16, v15
	s_delay_alu instid0(VALU_DEP_1) | instskip(NEXT) | instid1(VALU_DEP_1)
	v_add_nc_u32_e32 v0, v0, v9
	v_ashrrev_i32_e32 v1, 31, v0
	s_wait_loadcnt 0x0
	v_subrev_nc_u32_e32 v12, s16, v5
	s_delay_alu instid0(VALU_DEP_2) | instskip(NEXT) | instid1(VALU_DEP_2)
	v_lshlrev_b64_e32 v[2:3], 4, v[0:1]
	v_cmp_lt_i32_e64 s2, v0, v12
	s_delay_alu instid0(VALU_DEP_2) | instskip(SKIP_1) | instid1(VALU_DEP_3)
	v_add_co_u32 v2, vcc_lo, s10, v2
	s_wait_alu 0xfffd
	v_add_co_ci_u32_e64 v3, null, s11, v3, vcc_lo
	s_cbranch_scc1 .LBB77_25
; %bb.14:
	v_dual_mov_b32 v10, 0 :: v_dual_mov_b32 v13, 0
	v_dual_mov_b32 v14, 0 :: v_dual_mov_b32 v11, 0
	s_and_saveexec_b32 s10, s2
	s_cbranch_execz .LBB77_24
; %bb.15:
	v_dual_mov_b32 v14, 0 :: v_dual_add_nc_u32 v1, v15, v9
	v_not_b32_e32 v5, v15
	v_dual_mov_b32 v13, 0 :: v_dual_mov_b32 v8, v3
	s_delay_alu instid0(VALU_DEP_3) | instskip(SKIP_2) | instid1(VALU_DEP_2)
	v_subrev_nc_u32_e32 v1, s16, v1
	v_mov_b32_e32 v7, v2
	s_mov_b32 s3, exec_lo
	v_dual_mov_b32 v10, 0 :: v_dual_add_nc_u32 v1, 16, v1
	s_delay_alu instid0(VALU_DEP_1) | instskip(NEXT) | instid1(VALU_DEP_1)
	v_max_i32_e32 v1, v1, v12
	v_add3_u32 v1, s16, v1, v5
	v_mov_b32_e32 v5, v0
	s_delay_alu instid0(VALU_DEP_2) | instskip(NEXT) | instid1(VALU_DEP_1)
	v_sub_nc_u32_e32 v1, v1, v9
	v_dual_mov_b32 v11, 0 :: v_dual_and_b32 v6, 48, v1
	s_delay_alu instid0(VALU_DEP_1)
	v_cmpx_ne_u32_e32 48, v6
	s_cbranch_execz .LBB77_19
; %bb.16:
	v_lshrrev_b32_e32 v5, 4, v1
	v_dual_mov_b32 v8, v3 :: v_dual_mov_b32 v13, 0
	v_dual_mov_b32 v14, 0 :: v_dual_mov_b32 v11, 0
	s_delay_alu instid0(VALU_DEP_3) | instskip(SKIP_1) | instid1(VALU_DEP_1)
	v_dual_mov_b32 v10, 0 :: v_dual_add_nc_u32 v5, 1, v5
	s_mov_b32 s4, 0
	v_dual_mov_b32 v7, v2 :: v_dual_and_b32 v6, 3, v5
	v_mov_b32_e32 v5, v0
	s_delay_alu instid0(VALU_DEP_2)
	v_sub_nc_u32_e32 v16, 0, v6
.LBB77_17:                              ; =>This Inner Loop Header: Depth=1
	s_delay_alu instid0(VALU_DEP_1) | instskip(NEXT) | instid1(VALU_DEP_2)
	v_ashrrev_i32_e32 v6, 31, v5
	v_add_co_u32 v16, s5, v16, 1
	s_wait_alu 0xfffe
	s_or_b32 s4, s5, s4
	s_delay_alu instid0(VALU_DEP_2) | instskip(NEXT) | instid1(VALU_DEP_1)
	v_lshlrev_b64_e32 v[17:18], 2, v[5:6]
	v_add_co_u32 v17, vcc_lo, s8, v17
	s_wait_alu 0xfffd
	s_delay_alu instid0(VALU_DEP_2) | instskip(SKIP_3) | instid1(VALU_DEP_1)
	v_add_co_ci_u32_e64 v18, null, s9, v18, vcc_lo
	global_load_b32 v6, v[17:18], off
	s_wait_loadcnt 0x0
	v_subrev_nc_u32_e32 v6, s16, v6
	v_lshlrev_b32_e32 v6, 2, v6
	s_delay_alu instid0(VALU_DEP_1) | instskip(SKIP_3) | instid1(VALU_DEP_2)
	v_ashrrev_i32_e32 v17, 31, v6
	s_wait_kmcnt 0x0
	v_add_co_u32 v21, vcc_lo, s6, v6
	s_wait_alu 0xfffd
	v_add_co_ci_u32_e64 v22, null, s7, v17, vcc_lo
	global_load_b128 v[17:20], v[7:8], off
	global_load_b32 v6, v[21:22], off
	v_add_co_u32 v7, vcc_lo, 0x100, v7
	s_wait_alu 0xfffd
	v_add_co_ci_u32_e64 v8, null, 0, v8, vcc_lo
	s_wait_loadcnt 0x1
	v_bfe_i32 v21, v17, 0, 8
	v_bfe_i32 v24, v18, 0, 8
	s_wait_loadcnt 0x0
	v_bfe_i32 v33, v6, 0, 8
	v_bfe_i32 v22, v17, 8, 8
	;; [unrolled: 1-line block ×5, first 2 shown]
	v_cvt_f32_i32_e32 v21, v21
	v_cvt_f32_i32_e32 v24, v24
	v_bfe_i32 v34, v6, 8, 8
	v_cvt_f32_i32_e32 v33, v33
	v_bfe_i32 v28, v19, 8, 8
	v_bfe_i32 v31, v20, 8, 8
	v_cvt_f32_i32_e32 v22, v22
	v_cvt_f32_i32_e32 v25, v25
	v_cvt_f32_i32_e32 v27, v27
	v_cvt_f32_i32_e32 v30, v30
	v_cvt_f32_i32_e32 v34, v34
	v_fmac_f32_e32 v11, v21, v33
	v_fmac_f32_e32 v14, v24, v33
	v_bfe_i32 v23, v17, 16, 8
	v_bfe_i32 v26, v18, 16, 8
	;; [unrolled: 1-line block ×4, first 2 shown]
	v_cvt_f32_i32_e32 v28, v28
	v_cvt_f32_i32_e32 v31, v31
	v_bfe_i32 v35, v6, 16, 8
	v_fmac_f32_e32 v11, v22, v34
	v_dual_fmac_f32 v13, v27, v33 :: v_dual_fmac_f32 v14, v25, v34
	v_fmac_f32_e32 v10, v30, v33
	v_ashrrev_i32_e32 v17, 24, v17
	v_ashrrev_i32_e32 v18, 24, v18
	;; [unrolled: 1-line block ×4, first 2 shown]
	v_cvt_f32_i32_e32 v23, v23
	v_cvt_f32_i32_e32 v26, v26
	;; [unrolled: 1-line block ×4, first 2 shown]
	v_ashrrev_i32_e32 v6, 24, v6
	v_cvt_f32_i32_e32 v21, v35
	v_fmac_f32_e32 v13, v28, v34
	v_fmac_f32_e32 v10, v31, v34
	v_cvt_f32_i32_e32 v17, v17
	v_cvt_f32_i32_e32 v18, v18
	;; [unrolled: 1-line block ×5, first 2 shown]
	v_fmac_f32_e32 v14, v26, v21
	v_fmac_f32_e32 v11, v23, v21
	;; [unrolled: 1-line block ×4, first 2 shown]
	s_delay_alu instid0(VALU_DEP_4) | instskip(NEXT) | instid1(VALU_DEP_4)
	v_fmac_f32_e32 v14, v18, v6
	v_fmac_f32_e32 v11, v17, v6
	s_delay_alu instid0(VALU_DEP_4) | instskip(NEXT) | instid1(VALU_DEP_4)
	v_fmac_f32_e32 v13, v19, v6
	v_dual_fmac_f32 v10, v20, v6 :: v_dual_add_nc_u32 v5, 16, v5
	s_wait_alu 0xfffe
	s_and_not1_b32 exec_lo, exec_lo, s4
	s_cbranch_execnz .LBB77_17
; %bb.18:
	s_or_b32 exec_lo, exec_lo, s4
.LBB77_19:
	s_wait_alu 0xfffe
	s_or_b32 exec_lo, exec_lo, s3
	s_delay_alu instid0(SALU_CYCLE_1)
	s_mov_b32 s11, exec_lo
	v_cmpx_lt_u32_e32 47, v1
	s_cbranch_execz .LBB77_23
; %bb.20:
	s_mov_b32 s13, 0
.LBB77_21:                              ; =>This Inner Loop Header: Depth=1
	v_ashrrev_i32_e32 v6, 31, v5
	s_delay_alu instid0(VALU_DEP_1) | instskip(NEXT) | instid1(VALU_DEP_1)
	v_lshlrev_b64_e32 v[16:17], 2, v[5:6]
	v_add_co_u32 v16, vcc_lo, s8, v16
	s_wait_alu 0xfffd
	s_delay_alu instid0(VALU_DEP_2)
	v_add_co_ci_u32_e64 v17, null, s9, v17, vcc_lo
	s_clause 0x3
	global_load_b32 v1, v[16:17], off
	global_load_b32 v6, v[16:17], off offset:64
	global_load_b32 v32, v[16:17], off offset:128
	global_load_b32 v33, v[16:17], off offset:192
	s_clause 0x3
	global_load_b128 v[16:19], v[7:8], off
	global_load_b128 v[20:23], v[7:8], off offset:256
	global_load_b128 v[24:27], v[7:8], off offset:512
	global_load_b128 v[28:31], v[7:8], off offset:768
	s_wait_loadcnt 0x7
	v_subrev_nc_u32_e32 v1, s16, v1
	s_wait_loadcnt 0x6
	v_subrev_nc_u32_e32 v6, s16, v6
	;; [unrolled: 2-line block ×4, first 2 shown]
	s_wait_loadcnt 0x3
	v_bfe_i32 v43, v19, 0, 8
	v_lshlrev_b32_e32 v1, 2, v1
	v_lshlrev_b32_e32 v6, 2, v6
	;; [unrolled: 1-line block ×3, first 2 shown]
	v_bfe_i32 v44, v19, 8, 8
	v_cvt_f32_i32_e32 v43, v43
	v_lshlrev_b32_e32 v33, 2, v33
	v_ashrrev_i32_e32 v35, 31, v1
	v_ashrrev_i32_e32 v37, 31, v6
	s_wait_kmcnt 0x0
	v_add_co_u32 v32, vcc_lo, s6, v6
	v_ashrrev_i32_e32 v6, 31, v34
	v_ashrrev_i32_e32 v40, 31, v33
	v_add_co_u32 v38, s5, s6, v1
	v_add_co_u32 v34, s3, s6, v34
	s_wait_alu 0xf1ff
	v_add_co_ci_u32_e64 v39, null, s7, v35, s5
	v_add_co_u32 v36, s4, s6, v33
	s_wait_alu 0xfffd
	v_add_co_ci_u32_e64 v33, null, s7, v37, vcc_lo
	v_add_co_ci_u32_e64 v35, null, s7, v6, s3
	s_wait_alu 0xf1ff
	v_add_co_ci_u32_e64 v37, null, s7, v40, s4
	s_clause 0x3
	global_load_b32 v1, v[38:39], off
	global_load_b32 v6, v[32:33], off
	;; [unrolled: 1-line block ×4, first 2 shown]
	v_bfe_i32 v34, v16, 0, 8
	v_bfe_i32 v37, v17, 0, 8
	;; [unrolled: 1-line block ×5, first 2 shown]
	v_cvt_f32_i32_e32 v34, v34
	v_cvt_f32_i32_e32 v37, v37
	v_bfe_i32 v36, v16, 16, 8
	v_bfe_i32 v39, v17, 16, 8
	;; [unrolled: 1-line block ×3, first 2 shown]
	v_cvt_f32_i32_e32 v35, v35
	v_cvt_f32_i32_e32 v38, v38
	;; [unrolled: 1-line block ×4, first 2 shown]
	v_ashrrev_i32_e32 v16, 24, v16
	v_ashrrev_i32_e32 v17, 24, v17
	v_bfe_i32 v42, v18, 16, 8
	v_bfe_i32 v45, v19, 16, 8
	v_cvt_f32_i32_e32 v36, v36
	v_cvt_f32_i32_e32 v39, v39
	;; [unrolled: 1-line block ×3, first 2 shown]
	v_ashrrev_i32_e32 v18, 24, v18
	v_ashrrev_i32_e32 v19, 24, v19
	v_cvt_f32_i32_e32 v16, v16
	v_cvt_f32_i32_e32 v17, v17
	;; [unrolled: 1-line block ×4, first 2 shown]
	s_wait_loadcnt 0x6
	v_bfe_i32 v49, v21, 0, 8
	v_bfe_i32 v52, v22, 0, 8
	v_cvt_f32_i32_e32 v18, v18
	v_cvt_f32_i32_e32 v19, v19
	v_bfe_i32 v46, v20, 0, 8
	v_bfe_i32 v50, v21, 8, 8
	;; [unrolled: 1-line block ×4, first 2 shown]
	v_cvt_f32_i32_e32 v49, v49
	v_cvt_f32_i32_e32 v52, v52
	v_bfe_i32 v47, v20, 8, 8
	v_bfe_i32 v51, v21, 16, 8
	;; [unrolled: 1-line block ×3, first 2 shown]
	v_cvt_f32_i32_e32 v46, v46
	v_cvt_f32_i32_e32 v50, v50
	;; [unrolled: 1-line block ×4, first 2 shown]
	v_bfe_i32 v48, v20, 16, 8
	v_ashrrev_i32_e32 v20, 24, v20
	v_ashrrev_i32_e32 v21, 24, v21
	v_bfe_i32 v54, v22, 16, 8
	v_bfe_i32 v57, v23, 16, 8
	v_cvt_f32_i32_e32 v47, v47
	v_cvt_f32_i32_e32 v51, v51
	;; [unrolled: 1-line block ×3, first 2 shown]
	v_ashrrev_i32_e32 v22, 24, v22
	v_ashrrev_i32_e32 v23, 24, v23
	s_wait_loadcnt 0x5
	v_bfe_i32 v61, v25, 0, 8
	v_cvt_f32_i32_e32 v48, v48
	v_cvt_f32_i32_e32 v20, v20
	;; [unrolled: 1-line block ×5, first 2 shown]
	v_bfe_i32 v62, v25, 8, 8
	v_bfe_i32 v64, v26, 0, 8
	;; [unrolled: 1-line block ×3, first 2 shown]
	v_cvt_f32_i32_e32 v22, v22
	v_cvt_f32_i32_e32 v23, v23
	;; [unrolled: 1-line block ×3, first 2 shown]
	v_bfe_i32 v58, v24, 0, 8
	v_bfe_i32 v65, v26, 8, 8
	;; [unrolled: 1-line block ×3, first 2 shown]
	v_cvt_f32_i32_e32 v62, v62
	v_cvt_f32_i32_e32 v64, v64
	;; [unrolled: 1-line block ×3, first 2 shown]
	v_bfe_i32 v59, v24, 8, 8
	v_bfe_i32 v63, v25, 16, 8
	;; [unrolled: 1-line block ×4, first 2 shown]
	v_cvt_f32_i32_e32 v58, v58
	v_cvt_f32_i32_e32 v65, v65
	;; [unrolled: 1-line block ×3, first 2 shown]
	v_bfe_i32 v60, v24, 16, 8
	v_ashrrev_i32_e32 v24, 24, v24
	v_ashrrev_i32_e32 v25, 24, v25
	;; [unrolled: 1-line block ×4, first 2 shown]
	v_cvt_f32_i32_e32 v59, v59
	v_cvt_f32_i32_e32 v63, v63
	;; [unrolled: 1-line block ×4, first 2 shown]
	s_wait_loadcnt 0x4
	v_bfe_i32 v73, v29, 0, 8
	v_bfe_i32 v76, v30, 0, 8
	v_cvt_f32_i32_e32 v60, v60
	v_cvt_f32_i32_e32 v24, v24
	;; [unrolled: 1-line block ×5, first 2 shown]
	v_bfe_i32 v70, v28, 0, 8
	v_bfe_i32 v74, v29, 8, 8
	;; [unrolled: 1-line block ×4, first 2 shown]
	v_cvt_f32_i32_e32 v73, v73
	v_cvt_f32_i32_e32 v76, v76
	v_bfe_i32 v71, v28, 8, 8
	v_bfe_i32 v80, v31, 8, 8
	v_cvt_f32_i32_e32 v70, v70
	v_cvt_f32_i32_e32 v74, v74
	;; [unrolled: 1-line block ×4, first 2 shown]
	v_bfe_i32 v72, v28, 16, 8
	v_bfe_i32 v75, v29, 16, 8
	;; [unrolled: 1-line block ×4, first 2 shown]
	v_cvt_f32_i32_e32 v71, v71
	v_cvt_f32_i32_e32 v80, v80
	v_ashrrev_i32_e32 v28, 24, v28
	v_ashrrev_i32_e32 v29, 24, v29
	;; [unrolled: 1-line block ×4, first 2 shown]
	v_cvt_f32_i32_e32 v72, v72
	v_cvt_f32_i32_e32 v75, v75
	;; [unrolled: 1-line block ×8, first 2 shown]
	v_add_co_u32 v7, vcc_lo, 0x400, v7
	s_wait_alu 0xfffd
	v_add_co_ci_u32_e64 v8, null, 0, v8, vcc_lo
	s_wait_loadcnt 0x3
	v_bfe_i32 v82, v1, 0, 8
	v_bfe_i32 v83, v1, 8, 8
	;; [unrolled: 1-line block ×3, first 2 shown]
	v_ashrrev_i32_e32 v1, 24, v1
	s_wait_loadcnt 0x2
	v_bfe_i32 v85, v6, 0, 8
	v_cvt_f32_i32_e32 v82, v82
	v_cvt_f32_i32_e32 v83, v83
	v_bfe_i32 v86, v6, 8, 8
	v_cvt_f32_i32_e32 v1, v1
	v_bfe_i32 v87, v6, 16, 8
	v_fmac_f32_e32 v14, v37, v82
	v_fmac_f32_e32 v10, v43, v82
	;; [unrolled: 1-line block ×3, first 2 shown]
	v_add_nc_u32_e32 v5, 64, v5
	v_fmac_f32_e32 v13, v40, v82
	v_cvt_f32_i32_e32 v34, v84
	v_fmac_f32_e32 v14, v38, v83
	v_fmac_f32_e32 v10, v44, v83
	;; [unrolled: 1-line block ×4, first 2 shown]
	v_ashrrev_i32_e32 v6, 24, v6
	v_fmac_f32_e32 v14, v39, v34
	s_wait_loadcnt 0x1
	v_bfe_i32 v88, v32, 0, 8
	v_fmac_f32_e32 v11, v36, v34
	v_bfe_i32 v89, v32, 8, 8
	v_bfe_i32 v90, v32, 16, 8
	v_fmac_f32_e32 v14, v17, v1
	s_delay_alu instid0(VALU_DEP_4) | instskip(SKIP_3) | instid1(VALU_DEP_4)
	v_dual_fmac_f32 v10, v45, v34 :: v_dual_fmac_f32 v11, v16, v1
	v_fmac_f32_e32 v13, v42, v34
	v_cvt_f32_i32_e32 v34, v85
	v_cvt_f32_i32_e32 v16, v87
	v_fmac_f32_e32 v10, v19, v1
	v_ashrrev_i32_e32 v32, 24, v32
	s_delay_alu instid0(VALU_DEP_4)
	v_dual_fmac_f32 v13, v18, v1 :: v_dual_fmac_f32 v14, v49, v34
	v_cvt_f32_i32_e32 v1, v86
	s_wait_loadcnt 0x0
	v_bfe_i32 v91, v33, 0, 8
	v_bfe_i32 v92, v33, 8, 8
	v_fmac_f32_e32 v13, v52, v34
	v_bfe_i32 v93, v33, 16, 8
	v_fmac_f32_e32 v14, v50, v1
	v_fmac_f32_e32 v10, v55, v34
	v_ashrrev_i32_e32 v33, 24, v33
	v_fmac_f32_e32 v13, v53, v1
	v_fmac_f32_e32 v11, v46, v34
	v_cmp_ge_i32_e32 vcc_lo, v5, v12
	v_fmac_f32_e32 v10, v56, v1
	s_delay_alu instid0(VALU_DEP_3) | instskip(SKIP_2) | instid1(VALU_DEP_4)
	v_fmac_f32_e32 v11, v47, v1
	v_cvt_f32_i32_e32 v1, v6
	v_fmac_f32_e32 v14, v51, v16
	v_fmac_f32_e32 v10, v57, v16
	v_fmac_f32_e32 v13, v54, v16
	v_fmac_f32_e32 v11, v48, v16
	v_cvt_f32_i32_e32 v6, v88
	v_fmac_f32_e32 v14, v21, v1
	v_fmac_f32_e32 v10, v23, v1
	;; [unrolled: 1-line block ×4, first 2 shown]
	v_cvt_f32_i32_e32 v1, v89
	v_fmac_f32_e32 v14, v61, v6
	s_or_b32 s13, vcc_lo, s13
	s_delay_alu instid0(VALU_DEP_1) | instskip(NEXT) | instid1(VALU_DEP_1)
	v_dual_fmac_f32 v13, v64, v6 :: v_dual_fmac_f32 v14, v62, v1
	v_dual_fmac_f32 v10, v67, v6 :: v_dual_fmac_f32 v13, v65, v1
	v_fmac_f32_e32 v11, v58, v6
	v_cvt_f32_i32_e32 v6, v90
	s_delay_alu instid0(VALU_DEP_3) | instskip(NEXT) | instid1(VALU_DEP_3)
	v_fmac_f32_e32 v10, v68, v1
	v_fmac_f32_e32 v11, v59, v1
	v_cvt_f32_i32_e32 v1, v32
	s_delay_alu instid0(VALU_DEP_4) | instskip(NEXT) | instid1(VALU_DEP_4)
	v_fmac_f32_e32 v14, v63, v6
	v_fmac_f32_e32 v10, v69, v6
	;; [unrolled: 1-line block ×4, first 2 shown]
	v_cvt_f32_i32_e32 v6, v91
	v_fmac_f32_e32 v14, v25, v1
	v_fmac_f32_e32 v10, v27, v1
	;; [unrolled: 1-line block ×4, first 2 shown]
	v_cvt_f32_i32_e32 v1, v92
	v_fmac_f32_e32 v14, v73, v6
	s_delay_alu instid0(VALU_DEP_1) | instskip(NEXT) | instid1(VALU_DEP_1)
	v_dual_fmac_f32 v13, v76, v6 :: v_dual_fmac_f32 v14, v74, v1
	v_dual_fmac_f32 v10, v79, v6 :: v_dual_fmac_f32 v13, v77, v1
	v_fmac_f32_e32 v11, v70, v6
	v_cvt_f32_i32_e32 v6, v93
	s_delay_alu instid0(VALU_DEP_3) | instskip(NEXT) | instid1(VALU_DEP_3)
	v_fmac_f32_e32 v10, v80, v1
	v_fmac_f32_e32 v11, v71, v1
	v_cvt_f32_i32_e32 v1, v33
	s_delay_alu instid0(VALU_DEP_4) | instskip(NEXT) | instid1(VALU_DEP_4)
	v_fmac_f32_e32 v14, v75, v6
	v_fmac_f32_e32 v10, v81, v6
	;; [unrolled: 1-line block ×3, first 2 shown]
	s_delay_alu instid0(VALU_DEP_3) | instskip(NEXT) | instid1(VALU_DEP_3)
	v_dual_fmac_f32 v11, v72, v6 :: v_dual_fmac_f32 v14, v29, v1
	v_fmac_f32_e32 v10, v31, v1
	s_delay_alu instid0(VALU_DEP_3) | instskip(NEXT) | instid1(VALU_DEP_3)
	v_fmac_f32_e32 v13, v30, v1
	v_fmac_f32_e32 v11, v28, v1
	s_and_not1_b32 exec_lo, exec_lo, s13
	s_cbranch_execnz .LBB77_21
; %bb.22:
	s_or_b32 exec_lo, exec_lo, s13
.LBB77_23:
	s_wait_alu 0xfffe
	s_or_b32 exec_lo, exec_lo, s11
.LBB77_24:
	s_wait_alu 0xfffe
	s_or_b32 exec_lo, exec_lo, s10
	s_cbranch_execz .LBB77_26
	s_branch .LBB77_37
.LBB77_25:
                                        ; implicit-def: $vgpr10
                                        ; implicit-def: $vgpr13
                                        ; implicit-def: $vgpr14
                                        ; implicit-def: $vgpr11
.LBB77_26:
	v_dual_mov_b32 v10, 0 :: v_dual_mov_b32 v13, 0
	v_dual_mov_b32 v14, 0 :: v_dual_mov_b32 v11, 0
	s_and_saveexec_b32 s5, s2
	s_cbranch_execz .LBB77_36
; %bb.27:
	v_dual_mov_b32 v14, 0 :: v_dual_add_nc_u32 v1, v15, v9
	v_not_b32_e32 v5, v15
	v_mov_b32_e32 v11, 0
	v_mov_b32_e32 v13, 0
	s_delay_alu instid0(VALU_DEP_4) | instskip(SKIP_1) | instid1(VALU_DEP_1)
	v_subrev_nc_u32_e32 v1, s16, v1
	s_mov_b32 s2, exec_lo
	v_dual_mov_b32 v10, 0 :: v_dual_add_nc_u32 v1, 16, v1
	s_delay_alu instid0(VALU_DEP_1) | instskip(NEXT) | instid1(VALU_DEP_1)
	v_max_i32_e32 v1, v1, v12
	v_add3_u32 v1, s16, v1, v5
	s_delay_alu instid0(VALU_DEP_1) | instskip(NEXT) | instid1(VALU_DEP_1)
	v_sub_nc_u32_e32 v5, v1, v9
	v_and_b32_e32 v1, 48, v5
	s_delay_alu instid0(VALU_DEP_1)
	v_cmpx_ne_u32_e32 48, v1
	s_cbranch_execz .LBB77_31
; %bb.28:
	v_lshrrev_b32_e32 v1, 4, v5
	v_mov_b32_e32 v13, 0
	v_mov_b32_e32 v11, 0
	s_mov_b32 s3, 0
	s_delay_alu instid0(VALU_DEP_3) | instskip(NEXT) | instid1(VALU_DEP_1)
	v_dual_mov_b32 v10, 0 :: v_dual_add_nc_u32 v1, 1, v1
	v_dual_mov_b32 v14, 0 :: v_dual_and_b32 v1, 3, v1
	s_delay_alu instid0(VALU_DEP_1)
	v_sub_nc_u32_e32 v6, 0, v1
.LBB77_29:                              ; =>This Inner Loop Header: Depth=1
	v_ashrrev_i32_e32 v1, 31, v0
	s_delay_alu instid0(VALU_DEP_2) | instskip(SKIP_2) | instid1(VALU_DEP_2)
	v_add_co_u32 v6, s4, v6, 1
	s_wait_alu 0xfffe
	s_or_b32 s3, s4, s3
	v_lshlrev_b64_e32 v[7:8], 2, v[0:1]
	v_add_nc_u32_e32 v0, 16, v0
	s_delay_alu instid0(VALU_DEP_2) | instskip(SKIP_1) | instid1(VALU_DEP_3)
	v_add_co_u32 v7, vcc_lo, s8, v7
	s_wait_alu 0xfffd
	v_add_co_ci_u32_e64 v8, null, s9, v8, vcc_lo
	global_load_b32 v1, v[7:8], off
	s_wait_loadcnt 0x0
	v_subrev_nc_u32_e32 v1, s16, v1
	s_delay_alu instid0(VALU_DEP_1) | instskip(NEXT) | instid1(VALU_DEP_1)
	v_lshlrev_b32_e32 v1, 2, v1
	v_ashrrev_i32_e32 v8, 31, v1
	s_wait_kmcnt 0x0
	v_add_co_u32 v7, vcc_lo, s6, v1
	s_wait_alu 0xfffd
	s_delay_alu instid0(VALU_DEP_2)
	v_add_co_ci_u32_e64 v8, null, s7, v8, vcc_lo
	global_load_b128 v[15:18], v[2:3], off
	global_load_b32 v1, v[7:8], off
	v_add_co_u32 v2, vcc_lo, 0x100, v2
	s_wait_alu 0xfffd
	v_add_co_ci_u32_e64 v3, null, 0, v3, vcc_lo
	s_wait_loadcnt 0x1
	v_bfe_i32 v7, v15, 0, 8
	v_bfe_i32 v8, v15, 8, 8
	;; [unrolled: 1-line block ×3, first 2 shown]
	v_ashrrev_i32_e32 v15, 24, v15
	s_wait_loadcnt 0x0
	v_bfe_i32 v29, v1, 0, 8
	v_bfe_i32 v20, v16, 0, 8
	;; [unrolled: 1-line block ×4, first 2 shown]
	v_ashrrev_i32_e32 v16, 24, v16
	v_bfe_i32 v24, v17, 8, 8
	v_cvt_f32_i32_e32 v7, v7
	v_cvt_f32_i32_e32 v8, v8
	;; [unrolled: 1-line block ×4, first 2 shown]
	v_bfe_i32 v30, v1, 8, 8
	v_bfe_i32 v31, v1, 16, 8
	v_cvt_f32_i32_e32 v29, v29
	v_bfe_i32 v23, v17, 0, 8
	v_bfe_i32 v25, v17, 16, 8
	v_ashrrev_i32_e32 v17, 24, v17
	v_cvt_f32_i32_e32 v20, v20
	v_cvt_f32_i32_e32 v21, v21
	;; [unrolled: 1-line block ×6, first 2 shown]
	v_fmac_f32_e32 v10, v15, v29
	v_fmac_f32_e32 v11, v7, v29
	v_cvt_f32_i32_e32 v7, v31
	v_fmac_f32_e32 v13, v19, v29
	v_fmac_f32_e32 v14, v8, v29
	v_bfe_i32 v26, v18, 0, 8
	v_bfe_i32 v27, v18, 8, 8
	;; [unrolled: 1-line block ×3, first 2 shown]
	v_ashrrev_i32_e32 v18, 24, v18
	v_cvt_f32_i32_e32 v23, v23
	v_cvt_f32_i32_e32 v25, v25
	;; [unrolled: 1-line block ×3, first 2 shown]
	v_ashrrev_i32_e32 v1, 24, v1
	v_fmac_f32_e32 v13, v22, v30
	v_fmac_f32_e32 v14, v21, v30
	;; [unrolled: 1-line block ×4, first 2 shown]
	v_cvt_f32_i32_e32 v26, v26
	v_cvt_f32_i32_e32 v27, v27
	;; [unrolled: 1-line block ×5, first 2 shown]
	v_fmac_f32_e32 v11, v23, v7
	v_fmac_f32_e32 v14, v24, v7
	;; [unrolled: 1-line block ×3, first 2 shown]
	s_delay_alu instid0(VALU_DEP_3) | instskip(NEXT) | instid1(VALU_DEP_3)
	v_dual_fmac_f32 v10, v17, v7 :: v_dual_fmac_f32 v11, v26, v1
	v_fmac_f32_e32 v14, v27, v1
	s_delay_alu instid0(VALU_DEP_3) | instskip(NEXT) | instid1(VALU_DEP_3)
	v_fmac_f32_e32 v13, v28, v1
	v_fmac_f32_e32 v10, v18, v1
	s_wait_alu 0xfffe
	s_and_not1_b32 exec_lo, exec_lo, s3
	s_cbranch_execnz .LBB77_29
; %bb.30:
	s_or_b32 exec_lo, exec_lo, s3
.LBB77_31:
	s_wait_alu 0xfffe
	s_or_b32 exec_lo, exec_lo, s2
	s_delay_alu instid0(SALU_CYCLE_1)
	s_mov_b32 s10, exec_lo
	v_cmpx_lt_u32_e32 47, v5
	s_cbranch_execz .LBB77_35
; %bb.32:
	s_mov_b32 s11, 0
.LBB77_33:                              ; =>This Inner Loop Header: Depth=1
	v_ashrrev_i32_e32 v1, 31, v0
	s_delay_alu instid0(VALU_DEP_1) | instskip(NEXT) | instid1(VALU_DEP_1)
	v_lshlrev_b64_e32 v[5:6], 2, v[0:1]
	v_add_co_u32 v5, vcc_lo, s8, v5
	s_wait_alu 0xfffd
	s_delay_alu instid0(VALU_DEP_2)
	v_add_co_ci_u32_e64 v6, null, s9, v6, vcc_lo
	s_clause 0x3
	global_load_b32 v1, v[5:6], off
	global_load_b32 v27, v[5:6], off offset:64
	global_load_b32 v28, v[5:6], off offset:128
	;; [unrolled: 1-line block ×3, first 2 shown]
	s_clause 0x3
	global_load_b128 v[5:8], v[2:3], off
	global_load_b128 v[15:18], v[2:3], off offset:256
	global_load_b128 v[19:22], v[2:3], off offset:512
	;; [unrolled: 1-line block ×3, first 2 shown]
	s_wait_loadcnt 0x7
	v_subrev_nc_u32_e32 v1, s16, v1
	s_wait_loadcnt 0x6
	v_subrev_nc_u32_e32 v27, s16, v27
	;; [unrolled: 2-line block ×4, first 2 shown]
	s_wait_loadcnt 0x3
	v_bfe_i32 v38, v7, 16, 8
	v_lshlrev_b32_e32 v1, 2, v1
	v_lshlrev_b32_e32 v27, 2, v27
	;; [unrolled: 1-line block ×4, first 2 shown]
	v_bfe_i32 v39, v8, 0, 8
	v_ashrrev_i32_e32 v32, 31, v1
	v_ashrrev_i32_e32 v35, 31, v27
	;; [unrolled: 1-line block ×4, first 2 shown]
	s_wait_kmcnt 0x0
	v_add_co_u32 v33, s4, s6, v1
	v_add_co_u32 v27, vcc_lo, s6, v27
	v_add_co_u32 v29, s2, s6, v28
	s_wait_alu 0xf1ff
	v_add_co_ci_u32_e64 v34, null, s7, v32, s4
	v_add_co_u32 v31, s3, s6, v30
	s_wait_alu 0xfffd
	v_add_co_ci_u32_e64 v28, null, s7, v35, vcc_lo
	v_add_co_ci_u32_e64 v30, null, s7, v36, s2
	s_wait_alu 0xf1ff
	v_add_co_ci_u32_e64 v32, null, s7, v37, s3
	s_clause 0x3
	global_load_b32 v1, v[33:34], off
	global_load_b32 v27, v[27:28], off
	;; [unrolled: 1-line block ×4, first 2 shown]
	v_bfe_i32 v30, v5, 0, 8
	v_bfe_i32 v31, v5, 8, 8
	;; [unrolled: 1-line block ×3, first 2 shown]
	v_ashrrev_i32_e32 v5, 24, v5
	v_bfe_i32 v33, v6, 0, 8
	v_cvt_f32_i32_e32 v30, v30
	v_bfe_i32 v34, v6, 8, 8
	v_bfe_i32 v35, v6, 16, 8
	v_ashrrev_i32_e32 v6, 24, v6
	v_bfe_i32 v36, v7, 0, 8
	v_cvt_f32_i32_e32 v31, v31
	v_cvt_f32_i32_e32 v32, v32
	;; [unrolled: 1-line block ×4, first 2 shown]
	v_bfe_i32 v37, v7, 8, 8
	v_ashrrev_i32_e32 v7, 24, v7
	v_cvt_f32_i32_e32 v34, v34
	v_cvt_f32_i32_e32 v35, v35
	;; [unrolled: 1-line block ×4, first 2 shown]
	v_bfe_i32 v40, v8, 8, 8
	v_bfe_i32 v41, v8, 16, 8
	v_ashrrev_i32_e32 v8, 24, v8
	v_cvt_f32_i32_e32 v37, v37
	v_cvt_f32_i32_e32 v38, v38
	;; [unrolled: 1-line block ×4, first 2 shown]
	s_wait_loadcnt 0x6
	v_bfe_i32 v42, v15, 0, 8
	v_bfe_i32 v43, v15, 8, 8
	;; [unrolled: 1-line block ×3, first 2 shown]
	v_ashrrev_i32_e32 v15, 24, v15
	v_cvt_f32_i32_e32 v40, v40
	v_cvt_f32_i32_e32 v41, v41
	v_cvt_f32_i32_e32 v8, v8
	v_bfe_i32 v45, v16, 0, 8
	v_bfe_i32 v46, v16, 8, 8
	v_bfe_i32 v47, v16, 16, 8
	v_ashrrev_i32_e32 v16, 24, v16
	v_cvt_f32_i32_e32 v42, v42
	v_cvt_f32_i32_e32 v43, v43
	v_cvt_f32_i32_e32 v44, v44
	v_cvt_f32_i32_e32 v15, v15
	v_bfe_i32 v48, v17, 0, 8
	v_bfe_i32 v49, v17, 8, 8
	v_bfe_i32 v50, v17, 16, 8
	v_ashrrev_i32_e32 v17, 24, v17
	v_cvt_f32_i32_e32 v45, v45
	;; [unrolled: 8-line block ×3, first 2 shown]
	v_cvt_f32_i32_e32 v49, v49
	v_cvt_f32_i32_e32 v50, v50
	;; [unrolled: 1-line block ×3, first 2 shown]
	s_wait_loadcnt 0x5
	v_bfe_i32 v54, v19, 0, 8
	v_bfe_i32 v55, v19, 8, 8
	v_bfe_i32 v56, v19, 16, 8
	v_ashrrev_i32_e32 v19, 24, v19
	v_cvt_f32_i32_e32 v51, v51
	v_cvt_f32_i32_e32 v52, v52
	v_cvt_f32_i32_e32 v53, v53
	v_cvt_f32_i32_e32 v18, v18
	v_bfe_i32 v57, v20, 0, 8
	v_bfe_i32 v58, v20, 8, 8
	v_bfe_i32 v59, v20, 16, 8
	v_ashrrev_i32_e32 v20, 24, v20
	v_cvt_f32_i32_e32 v54, v54
	v_cvt_f32_i32_e32 v55, v55
	v_cvt_f32_i32_e32 v56, v56
	v_cvt_f32_i32_e32 v19, v19
	v_bfe_i32 v60, v21, 0, 8
	v_bfe_i32 v61, v21, 8, 8
	v_bfe_i32 v62, v21, 16, 8
	v_ashrrev_i32_e32 v21, 24, v21
	v_cvt_f32_i32_e32 v57, v57
	v_cvt_f32_i32_e32 v58, v58
	v_cvt_f32_i32_e32 v59, v59
	v_cvt_f32_i32_e32 v20, v20
	v_bfe_i32 v63, v22, 0, 8
	v_bfe_i32 v64, v22, 8, 8
	v_bfe_i32 v65, v22, 16, 8
	v_ashrrev_i32_e32 v22, 24, v22
	v_cvt_f32_i32_e32 v60, v60
	v_cvt_f32_i32_e32 v61, v61
	v_cvt_f32_i32_e32 v62, v62
	v_cvt_f32_i32_e32 v21, v21
	s_wait_loadcnt 0x4
	v_bfe_i32 v66, v23, 0, 8
	v_bfe_i32 v67, v23, 8, 8
	v_bfe_i32 v68, v23, 16, 8
	v_ashrrev_i32_e32 v23, 24, v23
	v_cvt_f32_i32_e32 v63, v63
	v_cvt_f32_i32_e32 v64, v64
	v_cvt_f32_i32_e32 v65, v65
	v_cvt_f32_i32_e32 v22, v22
	v_bfe_i32 v69, v24, 0, 8
	v_bfe_i32 v70, v24, 8, 8
	v_bfe_i32 v71, v24, 16, 8
	v_ashrrev_i32_e32 v24, 24, v24
	v_cvt_f32_i32_e32 v66, v66
	v_cvt_f32_i32_e32 v67, v67
	v_cvt_f32_i32_e32 v68, v68
	v_cvt_f32_i32_e32 v23, v23
	;; [unrolled: 8-line block ×4, first 2 shown]
	v_cvt_f32_i32_e32 v75, v75
	v_cvt_f32_i32_e32 v76, v76
	;; [unrolled: 1-line block ×4, first 2 shown]
	v_add_co_u32 v2, vcc_lo, 0x400, v2
	s_wait_alu 0xfffd
	v_add_co_ci_u32_e64 v3, null, 0, v3, vcc_lo
	s_wait_loadcnt 0x3
	v_bfe_i32 v78, v1, 0, 8
	v_bfe_i32 v79, v1, 8, 8
	;; [unrolled: 1-line block ×3, first 2 shown]
	v_ashrrev_i32_e32 v1, 24, v1
	s_wait_loadcnt 0x2
	v_bfe_i32 v81, v27, 0, 8
	v_cvt_f32_i32_e32 v78, v78
	v_cvt_f32_i32_e32 v79, v79
	v_bfe_i32 v82, v27, 8, 8
	v_cvt_f32_i32_e32 v1, v1
	v_bfe_i32 v83, v27, 16, 8
	v_dual_fmac_f32 v11, v30, v78 :: v_dual_add_nc_u32 v0, 64, v0
	v_fmac_f32_e32 v14, v31, v78
	v_fmac_f32_e32 v13, v32, v78
	;; [unrolled: 1-line block ×3, first 2 shown]
	v_cvt_f32_i32_e32 v5, v80
	v_fmac_f32_e32 v11, v33, v79
	v_fmac_f32_e32 v14, v34, v79
	v_ashrrev_i32_e32 v27, 24, v27
	s_wait_loadcnt 0x1
	v_bfe_i32 v84, v28, 0, 8
	v_bfe_i32 v85, v28, 8, 8
	v_fmac_f32_e32 v11, v36, v5
	v_dual_fmac_f32 v13, v35, v79 :: v_dual_fmac_f32 v14, v37, v5
	v_fmac_f32_e32 v10, v6, v79
	v_bfe_i32 v86, v28, 16, 8
	s_delay_alu instid0(VALU_DEP_4) | instskip(NEXT) | instid1(VALU_DEP_4)
	v_fmac_f32_e32 v11, v39, v1
	v_fmac_f32_e32 v13, v38, v5
	;; [unrolled: 1-line block ×4, first 2 shown]
	v_cvt_f32_i32_e32 v5, v81
	v_ashrrev_i32_e32 v28, 24, v28
	v_fmac_f32_e32 v13, v41, v1
	s_wait_loadcnt 0x0
	v_bfe_i32 v87, v29, 0, 8
	v_fmac_f32_e32 v10, v8, v1
	v_cvt_f32_i32_e32 v1, v82
	v_fmac_f32_e32 v11, v42, v5
	v_fmac_f32_e32 v14, v43, v5
	v_fmac_f32_e32 v13, v44, v5
	v_fmac_f32_e32 v10, v15, v5
	v_cvt_f32_i32_e32 v5, v83
	v_fmac_f32_e32 v11, v45, v1
	v_fmac_f32_e32 v14, v46, v1
	v_fmac_f32_e32 v13, v47, v1
	;; [unrolled: 5-line block ×7, first 2 shown]
	v_fmac_f32_e32 v10, v21, v5
	v_bfe_i32 v88, v29, 8, 8
	v_cvt_f32_i32_e32 v5, v87
	v_fmac_f32_e32 v11, v63, v1
	v_fmac_f32_e32 v14, v64, v1
	;; [unrolled: 1-line block ×4, first 2 shown]
	v_bfe_i32 v89, v29, 16, 8
	v_cvt_f32_i32_e32 v1, v88
	v_fmac_f32_e32 v11, v66, v5
	v_fmac_f32_e32 v14, v67, v5
	;; [unrolled: 1-line block ×4, first 2 shown]
	v_ashrrev_i32_e32 v29, 24, v29
	v_cvt_f32_i32_e32 v5, v89
	v_fmac_f32_e32 v11, v69, v1
	v_fmac_f32_e32 v14, v70, v1
	;; [unrolled: 1-line block ×4, first 2 shown]
	v_cvt_f32_i32_e32 v1, v29
	v_fmac_f32_e32 v11, v72, v5
	v_fmac_f32_e32 v14, v73, v5
	v_fmac_f32_e32 v13, v74, v5
	v_fmac_f32_e32 v10, v25, v5
	v_cmp_ge_i32_e32 vcc_lo, v0, v12
	v_fmac_f32_e32 v11, v75, v1
	v_fmac_f32_e32 v14, v76, v1
	v_fmac_f32_e32 v13, v77, v1
	v_fmac_f32_e32 v10, v26, v1
	s_wait_alu 0xfffe
	s_or_b32 s11, vcc_lo, s11
	s_wait_alu 0xfffe
	s_and_not1_b32 exec_lo, exec_lo, s11
	s_cbranch_execnz .LBB77_33
; %bb.34:
	s_or_b32 exec_lo, exec_lo, s11
.LBB77_35:
	s_wait_alu 0xfffe
	s_or_b32 exec_lo, exec_lo, s10
.LBB77_36:
	s_wait_alu 0xfffe
	s_or_b32 exec_lo, exec_lo, s5
.LBB77_37:
	v_mbcnt_lo_u32_b32 v0, -1, 0
	s_mov_b32 s2, -1
	s_delay_alu instid0(VALU_DEP_1) | instskip(SKIP_1) | instid1(VALU_DEP_2)
	v_xor_b32_e32 v1, 8, v0
	v_xor_b32_e32 v6, 4, v0
	v_cmp_gt_i32_e32 vcc_lo, 32, v1
	s_wait_alu 0xfffd
	v_cndmask_b32_e32 v1, v0, v1, vcc_lo
	s_delay_alu instid0(VALU_DEP_3) | instskip(SKIP_2) | instid1(VALU_DEP_1)
	v_cmp_gt_i32_e32 vcc_lo, 32, v6
	s_wait_alu 0xfffd
	v_cndmask_b32_e32 v6, v0, v6, vcc_lo
	v_lshlrev_b32_e32 v6, 2, v6
	v_lshlrev_b32_e32 v1, 2, v1
	ds_bpermute_b32 v2, v1, v11
	s_wait_dscnt 0x0
	v_add_f32_e32 v2, v11, v2
	ds_bpermute_b32 v3, v1, v14
	ds_bpermute_b32 v5, v1, v13
	;; [unrolled: 1-line block ×3, first 2 shown]
	v_xor_b32_e32 v11, 2, v0
	ds_bpermute_b32 v7, v6, v2
	v_cmp_gt_i32_e32 vcc_lo, 32, v11
	s_wait_dscnt 0x3
	v_add_f32_e32 v3, v14, v3
	s_wait_dscnt 0x2
	v_add_f32_e32 v5, v13, v5
	;; [unrolled: 2-line block ×4, first 2 shown]
	ds_bpermute_b32 v8, v6, v3
	ds_bpermute_b32 v10, v6, v5
	;; [unrolled: 1-line block ×3, first 2 shown]
	s_wait_alu 0xfffd
	v_cndmask_b32_e32 v11, v0, v11, vcc_lo
	s_wait_dscnt 0x2
	v_add_f32_e32 v3, v3, v8
	s_wait_dscnt 0x1
	v_add_f32_e32 v5, v5, v10
	s_wait_dscnt 0x0
	v_dual_add_f32 v6, v1, v6 :: v_dual_lshlrev_b32 v11, 2, v11
	ds_bpermute_b32 v1, v11, v2
	ds_bpermute_b32 v7, v11, v3
	;; [unrolled: 1-line block ×4, first 2 shown]
	v_xor_b32_e32 v11, 1, v0
	s_delay_alu instid0(VALU_DEP_1) | instskip(SKIP_4) | instid1(VALU_DEP_2)
	v_cmp_gt_i32_e32 vcc_lo, 32, v11
	s_wait_alu 0xfffd
	v_cndmask_b32_e32 v0, v0, v11, vcc_lo
	v_cmp_eq_u32_e32 vcc_lo, 15, v9
	s_wait_dscnt 0x3
	v_dual_add_f32 v0, v2, v1 :: v_dual_lshlrev_b32 v11, 2, v0
	s_wait_dscnt 0x1
	v_dual_add_f32 v1, v3, v7 :: v_dual_add_f32 v2, v5, v8
	s_wait_dscnt 0x0
	v_add_f32_e32 v3, v6, v10
	ds_bpermute_b32 v5, v11, v0
	ds_bpermute_b32 v6, v11, v1
	;; [unrolled: 1-line block ×4, first 2 shown]
	s_and_b32 exec_lo, exec_lo, vcc_lo
	s_cbranch_execz .LBB77_10
; %bb.38:
	s_load_b64 s[0:1], s[0:1], 0x50
	s_wait_dscnt 0x2
	v_dual_add_f32 v0, v0, v5 :: v_dual_add_f32 v1, v1, v6
	s_wait_dscnt 0x0
	v_dual_add_f32 v2, v2, v7 :: v_dual_add_f32 v3, v3, v8
	v_lshlrev_b32_e32 v4, 2, v4
	s_delay_alu instid0(VALU_DEP_3) | instskip(NEXT) | instid1(VALU_DEP_3)
	v_dual_mul_f32 v0, s14, v0 :: v_dual_mul_f32 v1, s14, v1
	v_dual_mul_f32 v2, s14, v2 :: v_dual_mul_f32 v3, s14, v3
	s_cmp_eq_f32 s12, 0
	s_cbranch_scc0 .LBB77_40
; %bb.39:
	v_ashrrev_i32_e32 v5, 31, v4
	s_mov_b32 s2, 0
	s_delay_alu instid0(VALU_DEP_1) | instskip(SKIP_1) | instid1(VALU_DEP_1)
	v_lshlrev_b64_e32 v[5:6], 2, v[4:5]
	s_wait_kmcnt 0x0
	v_add_co_u32 v5, vcc_lo, s0, v5
	s_wait_alu 0xfffd
	s_delay_alu instid0(VALU_DEP_2)
	v_add_co_ci_u32_e64 v6, null, s1, v6, vcc_lo
	global_store_b128 v[5:6], v[0:3], off
.LBB77_40:
	s_wait_alu 0xfffe
	s_and_not1_b32 vcc_lo, exec_lo, s2
	s_wait_alu 0xfffe
	s_cbranch_vccnz .LBB77_10
; %bb.41:
	v_ashrrev_i32_e32 v5, 31, v4
	s_delay_alu instid0(VALU_DEP_1) | instskip(SKIP_1) | instid1(VALU_DEP_1)
	v_lshlrev_b64_e32 v[4:5], 2, v[4:5]
	s_wait_kmcnt 0x0
	v_add_co_u32 v8, vcc_lo, s0, v4
	s_wait_alu 0xfffd
	s_delay_alu instid0(VALU_DEP_2)
	v_add_co_ci_u32_e64 v9, null, s1, v5, vcc_lo
	global_load_b128 v[4:7], v[8:9], off
	s_wait_loadcnt 0x0
	v_dual_fmac_f32 v0, s12, v4 :: v_dual_fmac_f32 v1, s12, v5
	v_dual_fmac_f32 v2, s12, v6 :: v_dual_fmac_f32 v3, s12, v7
	global_store_b128 v[8:9], v[0:3], off
	s_endpgm
	.section	.rodata,"a",@progbits
	.p2align	6, 0x0
	.amdhsa_kernel _ZN9rocsparseL18bsrxmvn_4x4_kernelILj128ELj16EfiiaafEEvT3_20rocsparse_direction_NS_24const_host_device_scalarIT1_EES1_PKS1_PKT2_SA_S7_PKT4_PKT5_S5_PT6_21rocsparse_index_base_b
		.amdhsa_group_segment_fixed_size 0
		.amdhsa_private_segment_fixed_size 0
		.amdhsa_kernarg_size 96
		.amdhsa_user_sgpr_count 2
		.amdhsa_user_sgpr_dispatch_ptr 0
		.amdhsa_user_sgpr_queue_ptr 0
		.amdhsa_user_sgpr_kernarg_segment_ptr 1
		.amdhsa_user_sgpr_dispatch_id 0
		.amdhsa_user_sgpr_private_segment_size 0
		.amdhsa_wavefront_size32 1
		.amdhsa_uses_dynamic_stack 0
		.amdhsa_enable_private_segment 0
		.amdhsa_system_sgpr_workgroup_id_x 1
		.amdhsa_system_sgpr_workgroup_id_y 0
		.amdhsa_system_sgpr_workgroup_id_z 0
		.amdhsa_system_sgpr_workgroup_info 0
		.amdhsa_system_vgpr_workitem_id 0
		.amdhsa_next_free_vgpr 94
		.amdhsa_next_free_sgpr 18
		.amdhsa_reserve_vcc 1
		.amdhsa_float_round_mode_32 0
		.amdhsa_float_round_mode_16_64 0
		.amdhsa_float_denorm_mode_32 3
		.amdhsa_float_denorm_mode_16_64 3
		.amdhsa_fp16_overflow 0
		.amdhsa_workgroup_processor_mode 1
		.amdhsa_memory_ordered 1
		.amdhsa_forward_progress 1
		.amdhsa_inst_pref_size 45
		.amdhsa_round_robin_scheduling 0
		.amdhsa_exception_fp_ieee_invalid_op 0
		.amdhsa_exception_fp_denorm_src 0
		.amdhsa_exception_fp_ieee_div_zero 0
		.amdhsa_exception_fp_ieee_overflow 0
		.amdhsa_exception_fp_ieee_underflow 0
		.amdhsa_exception_fp_ieee_inexact 0
		.amdhsa_exception_int_div_zero 0
	.end_amdhsa_kernel
	.section	.text._ZN9rocsparseL18bsrxmvn_4x4_kernelILj128ELj16EfiiaafEEvT3_20rocsparse_direction_NS_24const_host_device_scalarIT1_EES1_PKS1_PKT2_SA_S7_PKT4_PKT5_S5_PT6_21rocsparse_index_base_b,"axG",@progbits,_ZN9rocsparseL18bsrxmvn_4x4_kernelILj128ELj16EfiiaafEEvT3_20rocsparse_direction_NS_24const_host_device_scalarIT1_EES1_PKS1_PKT2_SA_S7_PKT4_PKT5_S5_PT6_21rocsparse_index_base_b,comdat
.Lfunc_end77:
	.size	_ZN9rocsparseL18bsrxmvn_4x4_kernelILj128ELj16EfiiaafEEvT3_20rocsparse_direction_NS_24const_host_device_scalarIT1_EES1_PKS1_PKT2_SA_S7_PKT4_PKT5_S5_PT6_21rocsparse_index_base_b, .Lfunc_end77-_ZN9rocsparseL18bsrxmvn_4x4_kernelILj128ELj16EfiiaafEEvT3_20rocsparse_direction_NS_24const_host_device_scalarIT1_EES1_PKS1_PKT2_SA_S7_PKT4_PKT5_S5_PT6_21rocsparse_index_base_b
                                        ; -- End function
	.set _ZN9rocsparseL18bsrxmvn_4x4_kernelILj128ELj16EfiiaafEEvT3_20rocsparse_direction_NS_24const_host_device_scalarIT1_EES1_PKS1_PKT2_SA_S7_PKT4_PKT5_S5_PT6_21rocsparse_index_base_b.num_vgpr, 94
	.set _ZN9rocsparseL18bsrxmvn_4x4_kernelILj128ELj16EfiiaafEEvT3_20rocsparse_direction_NS_24const_host_device_scalarIT1_EES1_PKS1_PKT2_SA_S7_PKT4_PKT5_S5_PT6_21rocsparse_index_base_b.num_agpr, 0
	.set _ZN9rocsparseL18bsrxmvn_4x4_kernelILj128ELj16EfiiaafEEvT3_20rocsparse_direction_NS_24const_host_device_scalarIT1_EES1_PKS1_PKT2_SA_S7_PKT4_PKT5_S5_PT6_21rocsparse_index_base_b.numbered_sgpr, 18
	.set _ZN9rocsparseL18bsrxmvn_4x4_kernelILj128ELj16EfiiaafEEvT3_20rocsparse_direction_NS_24const_host_device_scalarIT1_EES1_PKS1_PKT2_SA_S7_PKT4_PKT5_S5_PT6_21rocsparse_index_base_b.num_named_barrier, 0
	.set _ZN9rocsparseL18bsrxmvn_4x4_kernelILj128ELj16EfiiaafEEvT3_20rocsparse_direction_NS_24const_host_device_scalarIT1_EES1_PKS1_PKT2_SA_S7_PKT4_PKT5_S5_PT6_21rocsparse_index_base_b.private_seg_size, 0
	.set _ZN9rocsparseL18bsrxmvn_4x4_kernelILj128ELj16EfiiaafEEvT3_20rocsparse_direction_NS_24const_host_device_scalarIT1_EES1_PKS1_PKT2_SA_S7_PKT4_PKT5_S5_PT6_21rocsparse_index_base_b.uses_vcc, 1
	.set _ZN9rocsparseL18bsrxmvn_4x4_kernelILj128ELj16EfiiaafEEvT3_20rocsparse_direction_NS_24const_host_device_scalarIT1_EES1_PKS1_PKT2_SA_S7_PKT4_PKT5_S5_PT6_21rocsparse_index_base_b.uses_flat_scratch, 0
	.set _ZN9rocsparseL18bsrxmvn_4x4_kernelILj128ELj16EfiiaafEEvT3_20rocsparse_direction_NS_24const_host_device_scalarIT1_EES1_PKS1_PKT2_SA_S7_PKT4_PKT5_S5_PT6_21rocsparse_index_base_b.has_dyn_sized_stack, 0
	.set _ZN9rocsparseL18bsrxmvn_4x4_kernelILj128ELj16EfiiaafEEvT3_20rocsparse_direction_NS_24const_host_device_scalarIT1_EES1_PKS1_PKT2_SA_S7_PKT4_PKT5_S5_PT6_21rocsparse_index_base_b.has_recursion, 0
	.set _ZN9rocsparseL18bsrxmvn_4x4_kernelILj128ELj16EfiiaafEEvT3_20rocsparse_direction_NS_24const_host_device_scalarIT1_EES1_PKS1_PKT2_SA_S7_PKT4_PKT5_S5_PT6_21rocsparse_index_base_b.has_indirect_call, 0
	.section	.AMDGPU.csdata,"",@progbits
; Kernel info:
; codeLenInByte = 5652
; TotalNumSgprs: 20
; NumVgprs: 94
; ScratchSize: 0
; MemoryBound: 0
; FloatMode: 240
; IeeeMode: 1
; LDSByteSize: 0 bytes/workgroup (compile time only)
; SGPRBlocks: 0
; VGPRBlocks: 11
; NumSGPRsForWavesPerEU: 20
; NumVGPRsForWavesPerEU: 94
; Occupancy: 16
; WaveLimiterHint : 1
; COMPUTE_PGM_RSRC2:SCRATCH_EN: 0
; COMPUTE_PGM_RSRC2:USER_SGPR: 2
; COMPUTE_PGM_RSRC2:TRAP_HANDLER: 0
; COMPUTE_PGM_RSRC2:TGID_X_EN: 1
; COMPUTE_PGM_RSRC2:TGID_Y_EN: 0
; COMPUTE_PGM_RSRC2:TGID_Z_EN: 0
; COMPUTE_PGM_RSRC2:TIDIG_COMP_CNT: 0
	.section	.text._ZN9rocsparseL18bsrxmvn_4x4_kernelILj128ELj32EfiiaafEEvT3_20rocsparse_direction_NS_24const_host_device_scalarIT1_EES1_PKS1_PKT2_SA_S7_PKT4_PKT5_S5_PT6_21rocsparse_index_base_b,"axG",@progbits,_ZN9rocsparseL18bsrxmvn_4x4_kernelILj128ELj32EfiiaafEEvT3_20rocsparse_direction_NS_24const_host_device_scalarIT1_EES1_PKS1_PKT2_SA_S7_PKT4_PKT5_S5_PT6_21rocsparse_index_base_b,comdat
	.globl	_ZN9rocsparseL18bsrxmvn_4x4_kernelILj128ELj32EfiiaafEEvT3_20rocsparse_direction_NS_24const_host_device_scalarIT1_EES1_PKS1_PKT2_SA_S7_PKT4_PKT5_S5_PT6_21rocsparse_index_base_b ; -- Begin function _ZN9rocsparseL18bsrxmvn_4x4_kernelILj128ELj32EfiiaafEEvT3_20rocsparse_direction_NS_24const_host_device_scalarIT1_EES1_PKS1_PKT2_SA_S7_PKT4_PKT5_S5_PT6_21rocsparse_index_base_b
	.p2align	8
	.type	_ZN9rocsparseL18bsrxmvn_4x4_kernelILj128ELj32EfiiaafEEvT3_20rocsparse_direction_NS_24const_host_device_scalarIT1_EES1_PKS1_PKT2_SA_S7_PKT4_PKT5_S5_PT6_21rocsparse_index_base_b,@function
_ZN9rocsparseL18bsrxmvn_4x4_kernelILj128ELj32EfiiaafEEvT3_20rocsparse_direction_NS_24const_host_device_scalarIT1_EES1_PKS1_PKT2_SA_S7_PKT4_PKT5_S5_PT6_21rocsparse_index_base_b: ; @_ZN9rocsparseL18bsrxmvn_4x4_kernelILj128ELj32EfiiaafEEvT3_20rocsparse_direction_NS_24const_host_device_scalarIT1_EES1_PKS1_PKT2_SA_S7_PKT4_PKT5_S5_PT6_21rocsparse_index_base_b
; %bb.0:
	s_clause 0x2
	s_load_b64 s[16:17], s[0:1], 0x58
	s_load_b64 s[14:15], s[0:1], 0x8
	;; [unrolled: 1-line block ×3, first 2 shown]
	s_wait_kmcnt 0x0
	s_bitcmp1_b32 s17, 0
	s_cselect_b32 s2, -1, 0
	s_delay_alu instid0(SALU_CYCLE_1)
	s_and_b32 vcc_lo, exec_lo, s2
	s_xor_b32 s2, s2, -1
	s_cbranch_vccnz .LBB78_2
; %bb.1:
	s_load_b32 s14, s[14:15], 0x0
.LBB78_2:
	s_and_not1_b32 vcc_lo, exec_lo, s2
	s_cbranch_vccnz .LBB78_4
; %bb.3:
	s_load_b32 s12, s[12:13], 0x0
.LBB78_4:
	s_wait_kmcnt 0x0
	s_cmp_neq_f32 s14, 0
	s_mov_b32 s6, 0
	s_cselect_b32 s2, -1, 0
	s_cmp_neq_f32 s12, 1.0
	s_cselect_b32 s3, -1, 0
	s_delay_alu instid0(SALU_CYCLE_1) | instskip(NEXT) | instid1(SALU_CYCLE_1)
	s_or_b32 s2, s2, s3
	s_and_not1_b32 vcc_lo, exec_lo, s2
	s_cbranch_vccnz .LBB78_10
; %bb.5:
	s_clause 0x1
	s_load_b64 s[4:5], s[0:1], 0x18
	s_load_b64 s[2:3], s[0:1], 0x0
	v_lshrrev_b32_e32 v1, 5, v0
	s_delay_alu instid0(VALU_DEP_1)
	v_lshl_or_b32 v4, ttmp9, 2, v1
	s_wait_kmcnt 0x0
	s_cmp_lg_u64 s[4:5], 0
	s_cbranch_scc0 .LBB78_11
; %bb.6:
	s_load_b32 s6, s[0:1], 0x10
	s_mov_b32 s7, 0
                                        ; implicit-def: $vgpr1
	s_wait_kmcnt 0x0
	v_cmp_gt_i32_e32 vcc_lo, s6, v4
	s_mov_b32 s6, 0
	s_and_saveexec_b32 s8, vcc_lo
	s_delay_alu instid0(SALU_CYCLE_1)
	s_xor_b32 s8, exec_lo, s8
	s_cbranch_execz .LBB78_8
; %bb.7:
	v_ashrrev_i32_e32 v5, 31, v4
	s_mov_b32 s6, exec_lo
	s_delay_alu instid0(VALU_DEP_1) | instskip(NEXT) | instid1(VALU_DEP_1)
	v_lshlrev_b64_e32 v[1:2], 2, v[4:5]
	v_add_co_u32 v1, vcc_lo, s4, v1
	s_delay_alu instid0(VALU_DEP_1)
	v_add_co_ci_u32_e64 v2, null, s5, v2, vcc_lo
	global_load_b32 v1, v[1:2], off
	s_wait_loadcnt 0x0
	v_subrev_nc_u32_e32 v1, s16, v1
.LBB78_8:
	s_or_b32 exec_lo, exec_lo, s8
	s_delay_alu instid0(SALU_CYCLE_1)
	s_and_b32 vcc_lo, exec_lo, s7
	s_wait_alu 0xfffe
	s_cbranch_vccz .LBB78_12
.LBB78_9:
	v_cmp_gt_i32_e32 vcc_lo, s2, v4
	s_and_not1_b32 s2, s6, exec_lo
	s_and_b32 s4, vcc_lo, exec_lo
	s_wait_alu 0xfffe
	s_or_b32 s6, s2, s4
	s_wait_alu 0xfffe
	s_and_saveexec_b32 s2, s6
	s_cbranch_execnz .LBB78_13
.LBB78_10:
	s_endpgm
.LBB78_11:
                                        ; implicit-def: $vgpr1
	s_cbranch_execnz .LBB78_9
.LBB78_12:
	v_mov_b32_e32 v4, v1
	s_and_saveexec_b32 s2, s6
	s_cbranch_execz .LBB78_10
.LBB78_13:
	s_load_b256 s[4:11], s[0:1], 0x20
	s_delay_alu instid0(VALU_DEP_1) | instskip(SKIP_1) | instid1(VALU_DEP_2)
	v_ashrrev_i32_e32 v5, 31, v4
	v_and_b32_e32 v9, 31, v0
	v_lshlrev_b64_e32 v[1:2], 2, v[4:5]
	s_wait_kmcnt 0x0
	s_delay_alu instid0(VALU_DEP_1) | instskip(SKIP_1) | instid1(VALU_DEP_2)
	v_add_co_u32 v5, vcc_lo, s4, v1
	s_wait_alu 0xfffd
	v_add_co_ci_u32_e64 v6, null, s5, v2, vcc_lo
	v_add_co_u32 v1, vcc_lo, s6, v1
	s_wait_alu 0xfffd
	v_add_co_ci_u32_e64 v2, null, s7, v2, vcc_lo
	global_load_b32 v15, v[5:6], off
	v_add_co_u32 v3, vcc_lo, v5, 4
	s_wait_alu 0xfffd
	v_add_co_ci_u32_e64 v5, null, 0, v6, vcc_lo
	s_cmp_eq_u64 s[6:7], 0
	s_load_b64 s[6:7], s[0:1], 0x40
	s_cselect_b32 vcc_lo, -1, 0
	s_cmp_eq_u32 s3, 1
	s_wait_alu 0xfffe
	v_dual_cndmask_b32 v2, v2, v5 :: v_dual_cndmask_b32 v1, v1, v3
	global_load_b32 v5, v[1:2], off
	s_wait_loadcnt 0x1
	v_subrev_nc_u32_e32 v0, s16, v15
	s_delay_alu instid0(VALU_DEP_1) | instskip(NEXT) | instid1(VALU_DEP_1)
	v_add_nc_u32_e32 v0, v0, v9
	v_ashrrev_i32_e32 v1, 31, v0
	s_wait_loadcnt 0x0
	v_subrev_nc_u32_e32 v14, s16, v5
	s_delay_alu instid0(VALU_DEP_2) | instskip(NEXT) | instid1(VALU_DEP_2)
	v_lshlrev_b64_e32 v[2:3], 4, v[0:1]
	v_cmp_lt_i32_e64 s2, v0, v14
	s_delay_alu instid0(VALU_DEP_2) | instskip(SKIP_1) | instid1(VALU_DEP_3)
	v_add_co_u32 v2, vcc_lo, s10, v2
	s_wait_alu 0xfffd
	v_add_co_ci_u32_e64 v3, null, s11, v3, vcc_lo
	s_cbranch_scc1 .LBB78_25
; %bb.14:
	v_dual_mov_b32 v10, 0 :: v_dual_mov_b32 v13, 0
	v_dual_mov_b32 v12, 0 :: v_dual_mov_b32 v11, 0
	s_and_saveexec_b32 s10, s2
	s_cbranch_execz .LBB78_24
; %bb.15:
	v_dual_mov_b32 v12, 0 :: v_dual_add_nc_u32 v1, v15, v9
	v_not_b32_e32 v5, v15
	v_dual_mov_b32 v13, 0 :: v_dual_mov_b32 v8, v3
	s_delay_alu instid0(VALU_DEP_3) | instskip(SKIP_2) | instid1(VALU_DEP_2)
	v_subrev_nc_u32_e32 v1, s16, v1
	v_mov_b32_e32 v7, v2
	s_mov_b32 s3, exec_lo
	v_dual_mov_b32 v10, 0 :: v_dual_add_nc_u32 v1, 32, v1
	s_delay_alu instid0(VALU_DEP_1) | instskip(NEXT) | instid1(VALU_DEP_1)
	v_max_i32_e32 v1, v1, v14
	v_add3_u32 v1, s16, v1, v5
	v_mov_b32_e32 v5, v0
	s_delay_alu instid0(VALU_DEP_2) | instskip(NEXT) | instid1(VALU_DEP_1)
	v_sub_nc_u32_e32 v1, v1, v9
	v_dual_mov_b32 v11, 0 :: v_dual_and_b32 v6, 0x60, v1
	s_delay_alu instid0(VALU_DEP_1)
	v_cmpx_ne_u32_e32 0x60, v6
	s_cbranch_execz .LBB78_19
; %bb.16:
	v_lshrrev_b32_e32 v5, 5, v1
	v_mov_b32_e32 v8, v3
	v_dual_mov_b32 v12, 0 :: v_dual_mov_b32 v13, 0
	v_mov_b32_e32 v11, 0
	s_delay_alu instid0(VALU_DEP_4) | instskip(SKIP_1) | instid1(VALU_DEP_1)
	v_dual_mov_b32 v10, 0 :: v_dual_add_nc_u32 v5, 1, v5
	s_mov_b32 s4, 0
	v_dual_mov_b32 v7, v2 :: v_dual_and_b32 v6, 3, v5
	v_mov_b32_e32 v5, v0
	s_delay_alu instid0(VALU_DEP_2)
	v_sub_nc_u32_e32 v16, 0, v6
.LBB78_17:                              ; =>This Inner Loop Header: Depth=1
	s_delay_alu instid0(VALU_DEP_2) | instskip(NEXT) | instid1(VALU_DEP_2)
	v_ashrrev_i32_e32 v6, 31, v5
	v_add_co_u32 v16, s5, v16, 1
	s_wait_alu 0xfffe
	s_or_b32 s4, s5, s4
	s_delay_alu instid0(VALU_DEP_2) | instskip(NEXT) | instid1(VALU_DEP_1)
	v_lshlrev_b64_e32 v[17:18], 2, v[5:6]
	v_add_co_u32 v17, vcc_lo, s8, v17
	s_wait_alu 0xfffd
	s_delay_alu instid0(VALU_DEP_2) | instskip(SKIP_3) | instid1(VALU_DEP_1)
	v_add_co_ci_u32_e64 v18, null, s9, v18, vcc_lo
	global_load_b32 v6, v[17:18], off
	s_wait_loadcnt 0x0
	v_subrev_nc_u32_e32 v6, s16, v6
	v_lshlrev_b32_e32 v6, 2, v6
	s_delay_alu instid0(VALU_DEP_1) | instskip(SKIP_3) | instid1(VALU_DEP_2)
	v_ashrrev_i32_e32 v17, 31, v6
	s_wait_kmcnt 0x0
	v_add_co_u32 v21, vcc_lo, s6, v6
	s_wait_alu 0xfffd
	v_add_co_ci_u32_e64 v22, null, s7, v17, vcc_lo
	global_load_b128 v[17:20], v[7:8], off
	global_load_b32 v6, v[21:22], off
	v_add_co_u32 v7, vcc_lo, 0x200, v7
	s_wait_alu 0xfffd
	v_add_co_ci_u32_e64 v8, null, 0, v8, vcc_lo
	s_wait_loadcnt 0x1
	v_bfe_i32 v21, v17, 0, 8
	v_bfe_i32 v24, v18, 0, 8
	;; [unrolled: 1-line block ×4, first 2 shown]
	s_wait_loadcnt 0x0
	v_bfe_i32 v33, v6, 0, 8
	v_bfe_i32 v22, v17, 8, 8
	;; [unrolled: 1-line block ×5, first 2 shown]
	v_cvt_f32_i32_e32 v21, v21
	v_cvt_f32_i32_e32 v24, v24
	v_cvt_f32_i32_e32 v27, v27
	v_cvt_f32_i32_e32 v30, v30
	v_bfe_i32 v34, v6, 8, 8
	v_cvt_f32_i32_e32 v33, v33
	v_bfe_i32 v23, v17, 16, 8
	v_bfe_i32 v26, v18, 16, 8
	;; [unrolled: 1-line block ×4, first 2 shown]
	v_cvt_f32_i32_e32 v22, v22
	v_cvt_f32_i32_e32 v25, v25
	;; [unrolled: 1-line block ×4, first 2 shown]
	v_bfe_i32 v35, v6, 16, 8
	v_cvt_f32_i32_e32 v34, v34
	v_fmac_f32_e32 v11, v21, v33
	v_fmac_f32_e32 v12, v27, v33
	;; [unrolled: 1-line block ×4, first 2 shown]
	v_ashrrev_i32_e32 v17, 24, v17
	v_ashrrev_i32_e32 v18, 24, v18
	;; [unrolled: 1-line block ×4, first 2 shown]
	v_cvt_f32_i32_e32 v23, v23
	v_cvt_f32_i32_e32 v26, v26
	;; [unrolled: 1-line block ×4, first 2 shown]
	v_ashrrev_i32_e32 v6, 24, v6
	v_cvt_f32_i32_e32 v21, v35
	v_fmac_f32_e32 v11, v22, v34
	v_fmac_f32_e32 v12, v28, v34
	;; [unrolled: 1-line block ×4, first 2 shown]
	v_cvt_f32_i32_e32 v17, v17
	v_cvt_f32_i32_e32 v18, v18
	;; [unrolled: 1-line block ×5, first 2 shown]
	v_fmac_f32_e32 v11, v23, v21
	v_fmac_f32_e32 v12, v29, v21
	v_fmac_f32_e32 v13, v26, v21
	s_delay_alu instid0(VALU_DEP_3) | instskip(NEXT) | instid1(VALU_DEP_3)
	v_dual_fmac_f32 v10, v32, v21 :: v_dual_fmac_f32 v11, v17, v6
	v_dual_fmac_f32 v12, v19, v6 :: v_dual_add_nc_u32 v5, 32, v5
	s_delay_alu instid0(VALU_DEP_3) | instskip(NEXT) | instid1(VALU_DEP_3)
	v_fmac_f32_e32 v13, v18, v6
	v_fmac_f32_e32 v10, v20, v6
	s_wait_alu 0xfffe
	s_and_not1_b32 exec_lo, exec_lo, s4
	s_cbranch_execnz .LBB78_17
; %bb.18:
	s_or_b32 exec_lo, exec_lo, s4
.LBB78_19:
	s_wait_alu 0xfffe
	s_or_b32 exec_lo, exec_lo, s3
	s_delay_alu instid0(SALU_CYCLE_1)
	s_mov_b32 s11, exec_lo
	v_cmpx_lt_u32_e32 0x5f, v1
	s_cbranch_execz .LBB78_23
; %bb.20:
	s_mov_b32 s13, 0
.LBB78_21:                              ; =>This Inner Loop Header: Depth=1
	v_ashrrev_i32_e32 v6, 31, v5
	s_delay_alu instid0(VALU_DEP_1) | instskip(NEXT) | instid1(VALU_DEP_1)
	v_lshlrev_b64_e32 v[16:17], 2, v[5:6]
	v_add_co_u32 v16, vcc_lo, s8, v16
	s_wait_alu 0xfffd
	s_delay_alu instid0(VALU_DEP_2)
	v_add_co_ci_u32_e64 v17, null, s9, v17, vcc_lo
	s_clause 0x3
	global_load_b32 v1, v[16:17], off
	global_load_b32 v6, v[16:17], off offset:128
	global_load_b32 v32, v[16:17], off offset:256
	;; [unrolled: 1-line block ×3, first 2 shown]
	s_clause 0x3
	global_load_b128 v[16:19], v[7:8], off
	global_load_b128 v[20:23], v[7:8], off offset:512
	global_load_b128 v[24:27], v[7:8], off offset:1024
	global_load_b128 v[28:31], v[7:8], off offset:1536
	s_wait_loadcnt 0x7
	v_subrev_nc_u32_e32 v1, s16, v1
	s_wait_loadcnt 0x6
	v_subrev_nc_u32_e32 v6, s16, v6
	;; [unrolled: 2-line block ×4, first 2 shown]
	s_wait_loadcnt 0x3
	v_bfe_i32 v43, v19, 0, 8
	v_bfe_i32 v41, v18, 8, 8
	v_lshlrev_b32_e32 v6, 2, v6
	v_lshlrev_b32_e32 v34, 2, v32
	v_bfe_i32 v44, v19, 8, 8
	v_cvt_f32_i32_e32 v43, v43
	v_lshlrev_b32_e32 v33, 2, v33
	v_ashrrev_i32_e32 v37, 31, v6
	s_wait_kmcnt 0x0
	v_add_co_u32 v32, vcc_lo, s6, v6
	v_ashrrev_i32_e32 v6, 31, v34
	v_ashrrev_i32_e32 v40, 31, v33
	v_add_co_u32 v36, s4, s6, v33
	s_wait_alu 0xfffd
	v_add_co_ci_u32_e64 v33, null, s7, v37, vcc_lo
	s_wait_alu 0xf1ff
	v_add_co_ci_u32_e64 v37, null, s7, v40, s4
	v_bfe_i32 v40, v18, 0, 8
	v_add_co_u32 v34, s3, s6, v34
	v_bfe_i32 v42, v18, 16, 8
	v_cvt_f32_i32_e32 v41, v41
	s_delay_alu instid0(VALU_DEP_4)
	v_cvt_f32_i32_e32 v40, v40
	v_lshlrev_b32_e32 v1, 2, v1
	v_cvt_f32_i32_e32 v44, v44
	v_ashrrev_i32_e32 v18, 24, v18
	v_bfe_i32 v45, v19, 16, 8
	v_cvt_f32_i32_e32 v42, v42
	v_ashrrev_i32_e32 v35, 31, v1
	v_add_co_u32 v38, s5, s6, v1
	v_ashrrev_i32_e32 v19, 24, v19
	s_wait_loadcnt 0x2
	v_bfe_i32 v46, v20, 0, 8
	s_wait_alu 0xf1ff
	v_add_co_ci_u32_e64 v39, null, s7, v35, s5
	v_add_co_ci_u32_e64 v35, null, s7, v6, s3
	s_clause 0x3
	global_load_b32 v1, v[38:39], off
	global_load_b32 v6, v[32:33], off
	;; [unrolled: 1-line block ×4, first 2 shown]
	v_bfe_i32 v34, v16, 0, 8
	v_bfe_i32 v35, v16, 8, 8
	;; [unrolled: 1-line block ×5, first 2 shown]
	v_cvt_f32_i32_e32 v34, v34
	v_cvt_f32_i32_e32 v35, v35
	;; [unrolled: 1-line block ×3, first 2 shown]
	v_ashrrev_i32_e32 v16, 24, v16
	v_bfe_i32 v39, v17, 16, 8
	v_cvt_f32_i32_e32 v36, v36
	v_cvt_f32_i32_e32 v38, v38
	v_ashrrev_i32_e32 v17, 24, v17
	v_bfe_i32 v52, v22, 0, 8
	v_bfe_i32 v53, v22, 8, 8
	v_cvt_f32_i32_e32 v16, v16
	v_cvt_f32_i32_e32 v39, v39
	;; [unrolled: 1-line block ×4, first 2 shown]
	v_bfe_i32 v47, v20, 8, 8
	v_bfe_i32 v49, v21, 0, 8
	;; [unrolled: 1-line block ×3, first 2 shown]
	v_cvt_f32_i32_e32 v17, v17
	v_cvt_f32_i32_e32 v19, v19
	;; [unrolled: 1-line block ×5, first 2 shown]
	v_bfe_i32 v48, v20, 16, 8
	v_bfe_i32 v50, v21, 8, 8
	;; [unrolled: 1-line block ×4, first 2 shown]
	v_cvt_f32_i32_e32 v47, v47
	v_cvt_f32_i32_e32 v49, v49
	;; [unrolled: 1-line block ×3, first 2 shown]
	v_ashrrev_i32_e32 v20, 24, v20
	v_bfe_i32 v51, v21, 16, 8
	v_ashrrev_i32_e32 v22, 24, v22
	v_bfe_i32 v57, v23, 16, 8
	v_cvt_f32_i32_e32 v48, v48
	v_cvt_f32_i32_e32 v50, v50
	;; [unrolled: 1-line block ×4, first 2 shown]
	v_ashrrev_i32_e32 v21, 24, v21
	v_ashrrev_i32_e32 v23, 24, v23
	s_wait_loadcnt 0x5
	v_bfe_i32 v58, v24, 0, 8
	v_bfe_i32 v64, v26, 0, 8
	v_cvt_f32_i32_e32 v20, v20
	v_cvt_f32_i32_e32 v51, v51
	;; [unrolled: 1-line block ×4, first 2 shown]
	v_bfe_i32 v61, v25, 0, 8
	v_bfe_i32 v67, v27, 0, 8
	v_cvt_f32_i32_e32 v21, v21
	v_cvt_f32_i32_e32 v23, v23
	;; [unrolled: 1-line block ×4, first 2 shown]
	v_bfe_i32 v59, v24, 8, 8
	v_bfe_i32 v62, v25, 8, 8
	;; [unrolled: 1-line block ×4, first 2 shown]
	v_cvt_f32_i32_e32 v61, v61
	v_cvt_f32_i32_e32 v67, v67
	v_bfe_i32 v60, v24, 16, 8
	v_bfe_i32 v63, v25, 16, 8
	v_bfe_i32 v66, v26, 16, 8
	v_bfe_i32 v69, v27, 16, 8
	v_cvt_f32_i32_e32 v59, v59
	v_cvt_f32_i32_e32 v62, v62
	;; [unrolled: 1-line block ×4, first 2 shown]
	v_ashrrev_i32_e32 v24, 24, v24
	v_ashrrev_i32_e32 v25, 24, v25
	;; [unrolled: 1-line block ×4, first 2 shown]
	v_cvt_f32_i32_e32 v60, v60
	v_cvt_f32_i32_e32 v63, v63
	;; [unrolled: 1-line block ×4, first 2 shown]
	s_wait_loadcnt 0x4
	v_bfe_i32 v70, v28, 0, 8
	v_bfe_i32 v73, v29, 0, 8
	v_bfe_i32 v76, v30, 0, 8
	v_bfe_i32 v79, v31, 0, 8
	v_cvt_f32_i32_e32 v24, v24
	v_cvt_f32_i32_e32 v25, v25
	v_cvt_f32_i32_e32 v26, v26
	v_cvt_f32_i32_e32 v27, v27
	v_bfe_i32 v71, v28, 8, 8
	v_bfe_i32 v74, v29, 8, 8
	v_bfe_i32 v77, v30, 8, 8
	v_bfe_i32 v80, v31, 8, 8
	v_cvt_f32_i32_e32 v70, v70
	v_cvt_f32_i32_e32 v73, v73
	v_cvt_f32_i32_e32 v76, v76
	v_cvt_f32_i32_e32 v79, v79
	;; [unrolled: 8-line block ×3, first 2 shown]
	v_ashrrev_i32_e32 v28, 24, v28
	v_ashrrev_i32_e32 v29, 24, v29
	;; [unrolled: 1-line block ×4, first 2 shown]
	v_cvt_f32_i32_e32 v72, v72
	v_cvt_f32_i32_e32 v75, v75
	;; [unrolled: 1-line block ×8, first 2 shown]
	v_add_co_u32 v7, vcc_lo, 0x800, v7
	s_wait_alu 0xfffd
	v_add_co_ci_u32_e64 v8, null, 0, v8, vcc_lo
	s_wait_loadcnt 0x3
	v_bfe_i32 v82, v1, 0, 8
	v_bfe_i32 v83, v1, 8, 8
	;; [unrolled: 1-line block ×3, first 2 shown]
	v_ashrrev_i32_e32 v1, 24, v1
	s_wait_loadcnt 0x2
	v_bfe_i32 v85, v6, 0, 8
	v_cvt_f32_i32_e32 v82, v82
	v_cvt_f32_i32_e32 v83, v83
	v_bfe_i32 v86, v6, 8, 8
	v_cvt_f32_i32_e32 v1, v1
	v_bfe_i32 v87, v6, 16, 8
	v_fmac_f32_e32 v12, v40, v82
	v_fmac_f32_e32 v10, v43, v82
	;; [unrolled: 1-line block ×3, first 2 shown]
	v_add_nc_u32_e32 v5, 0x80, v5
	v_fmac_f32_e32 v13, v37, v82
	v_cvt_f32_i32_e32 v34, v84
	v_fmac_f32_e32 v12, v41, v83
	v_fmac_f32_e32 v10, v44, v83
	;; [unrolled: 1-line block ×4, first 2 shown]
	v_ashrrev_i32_e32 v6, 24, v6
	v_fmac_f32_e32 v12, v42, v34
	v_fmac_f32_e32 v10, v45, v34
	;; [unrolled: 1-line block ×4, first 2 shown]
	v_cvt_f32_i32_e32 v34, v85
	v_fmac_f32_e32 v12, v18, v1
	s_wait_loadcnt 0x1
	v_bfe_i32 v88, v32, 0, 8
	v_fmac_f32_e32 v11, v16, v1
	v_fmac_f32_e32 v13, v17, v1
	;; [unrolled: 1-line block ×3, first 2 shown]
	v_cvt_f32_i32_e32 v1, v86
	v_fmac_f32_e32 v12, v52, v34
	v_fmac_f32_e32 v11, v46, v34
	v_cvt_f32_i32_e32 v16, v87
	v_fmac_f32_e32 v10, v55, v34
	v_fmac_f32_e32 v13, v49, v34
	;; [unrolled: 1-line block ×4, first 2 shown]
	v_bfe_i32 v89, v32, 8, 8
	v_fmac_f32_e32 v10, v56, v1
	v_fmac_f32_e32 v13, v50, v1
	v_cvt_f32_i32_e32 v1, v6
	v_fmac_f32_e32 v12, v54, v16
	v_fmac_f32_e32 v11, v48, v16
	v_cvt_f32_i32_e32 v6, v88
	v_bfe_i32 v90, v32, 16, 8
	v_ashrrev_i32_e32 v32, 24, v32
	v_dual_fmac_f32 v12, v22, v1 :: v_dual_fmac_f32 v13, v51, v16
	v_dual_fmac_f32 v10, v57, v16 :: v_dual_fmac_f32 v11, v20, v1
	s_wait_loadcnt 0x0
	v_bfe_i32 v91, v33, 0, 8
	s_delay_alu instid0(VALU_DEP_3)
	v_fmac_f32_e32 v12, v64, v6
	v_bfe_i32 v92, v33, 8, 8
	v_dual_fmac_f32 v10, v23, v1 :: v_dual_fmac_f32 v11, v58, v6
	v_fmac_f32_e32 v13, v21, v1
	v_cvt_f32_i32_e32 v1, v89
	v_bfe_i32 v93, v33, 16, 8
	s_delay_alu instid0(VALU_DEP_4)
	v_fmac_f32_e32 v10, v67, v6
	v_ashrrev_i32_e32 v33, 24, v33
	v_fmac_f32_e32 v13, v61, v6
	v_cvt_f32_i32_e32 v6, v90
	v_fmac_f32_e32 v12, v65, v1
	v_fmac_f32_e32 v11, v59, v1
	v_fmac_f32_e32 v10, v68, v1
	v_fmac_f32_e32 v13, v62, v1
	v_cvt_f32_i32_e32 v1, v32
	v_fmac_f32_e32 v12, v66, v6
	v_fmac_f32_e32 v11, v60, v6
	;; [unrolled: 1-line block ×4, first 2 shown]
	v_cvt_f32_i32_e32 v6, v91
	v_fmac_f32_e32 v12, v26, v1
	v_cmp_ge_i32_e32 vcc_lo, v5, v14
	v_fmac_f32_e32 v10, v27, v1
	v_fmac_f32_e32 v11, v24, v1
	s_delay_alu instid0(VALU_DEP_4) | instskip(SKIP_1) | instid1(VALU_DEP_4)
	v_dual_fmac_f32 v13, v25, v1 :: v_dual_fmac_f32 v12, v76, v6
	v_cvt_f32_i32_e32 v1, v92
	v_fmac_f32_e32 v10, v79, v6
	s_delay_alu instid0(VALU_DEP_4) | instskip(NEXT) | instid1(VALU_DEP_4)
	v_fmac_f32_e32 v11, v70, v6
	v_fmac_f32_e32 v13, v73, v6
	v_cvt_f32_i32_e32 v6, v93
	v_fmac_f32_e32 v12, v77, v1
	v_fmac_f32_e32 v10, v80, v1
	;; [unrolled: 1-line block ×4, first 2 shown]
	v_cvt_f32_i32_e32 v1, v33
	v_fmac_f32_e32 v12, v78, v6
	v_fmac_f32_e32 v10, v81, v6
	;; [unrolled: 1-line block ×4, first 2 shown]
	s_or_b32 s13, vcc_lo, s13
	v_fmac_f32_e32 v12, v30, v1
	v_fmac_f32_e32 v10, v31, v1
	;; [unrolled: 1-line block ×4, first 2 shown]
	s_and_not1_b32 exec_lo, exec_lo, s13
	s_cbranch_execnz .LBB78_21
; %bb.22:
	s_or_b32 exec_lo, exec_lo, s13
.LBB78_23:
	s_wait_alu 0xfffe
	s_or_b32 exec_lo, exec_lo, s11
.LBB78_24:
	s_wait_alu 0xfffe
	s_or_b32 exec_lo, exec_lo, s10
	s_cbranch_execz .LBB78_26
	s_branch .LBB78_37
.LBB78_25:
                                        ; implicit-def: $vgpr10
                                        ; implicit-def: $vgpr12
                                        ; implicit-def: $vgpr13
                                        ; implicit-def: $vgpr11
.LBB78_26:
	v_dual_mov_b32 v10, 0 :: v_dual_mov_b32 v13, 0
	v_dual_mov_b32 v12, 0 :: v_dual_mov_b32 v11, 0
	s_and_saveexec_b32 s5, s2
	s_cbranch_execz .LBB78_36
; %bb.27:
	v_dual_mov_b32 v12, 0 :: v_dual_add_nc_u32 v1, v15, v9
	v_not_b32_e32 v5, v15
	v_mov_b32_e32 v11, 0
	v_mov_b32_e32 v13, 0
	s_delay_alu instid0(VALU_DEP_4) | instskip(SKIP_1) | instid1(VALU_DEP_1)
	v_subrev_nc_u32_e32 v1, s16, v1
	s_mov_b32 s2, exec_lo
	v_dual_mov_b32 v10, 0 :: v_dual_add_nc_u32 v1, 32, v1
	s_delay_alu instid0(VALU_DEP_1) | instskip(NEXT) | instid1(VALU_DEP_1)
	v_max_i32_e32 v1, v1, v14
	v_add3_u32 v1, s16, v1, v5
	s_delay_alu instid0(VALU_DEP_1) | instskip(NEXT) | instid1(VALU_DEP_1)
	v_sub_nc_u32_e32 v5, v1, v9
	v_and_b32_e32 v1, 0x60, v5
	s_delay_alu instid0(VALU_DEP_1)
	v_cmpx_ne_u32_e32 0x60, v1
	s_cbranch_execz .LBB78_31
; %bb.28:
	v_lshrrev_b32_e32 v1, 5, v5
	v_mov_b32_e32 v13, 0
	v_mov_b32_e32 v11, 0
	s_mov_b32 s3, 0
	s_delay_alu instid0(VALU_DEP_3) | instskip(NEXT) | instid1(VALU_DEP_1)
	v_dual_mov_b32 v10, 0 :: v_dual_add_nc_u32 v1, 1, v1
	v_dual_mov_b32 v12, 0 :: v_dual_and_b32 v1, 3, v1
	s_delay_alu instid0(VALU_DEP_1)
	v_sub_nc_u32_e32 v6, 0, v1
.LBB78_29:                              ; =>This Inner Loop Header: Depth=1
	v_ashrrev_i32_e32 v1, 31, v0
	s_delay_alu instid0(VALU_DEP_2) | instskip(SKIP_2) | instid1(VALU_DEP_2)
	v_add_co_u32 v6, s4, v6, 1
	s_wait_alu 0xfffe
	s_or_b32 s3, s4, s3
	v_lshlrev_b64_e32 v[7:8], 2, v[0:1]
	v_add_nc_u32_e32 v0, 32, v0
	s_delay_alu instid0(VALU_DEP_2) | instskip(SKIP_1) | instid1(VALU_DEP_3)
	v_add_co_u32 v7, vcc_lo, s8, v7
	s_wait_alu 0xfffd
	v_add_co_ci_u32_e64 v8, null, s9, v8, vcc_lo
	global_load_b32 v1, v[7:8], off
	s_wait_loadcnt 0x0
	v_subrev_nc_u32_e32 v1, s16, v1
	s_delay_alu instid0(VALU_DEP_1) | instskip(NEXT) | instid1(VALU_DEP_1)
	v_lshlrev_b32_e32 v1, 2, v1
	v_ashrrev_i32_e32 v8, 31, v1
	s_wait_kmcnt 0x0
	v_add_co_u32 v7, vcc_lo, s6, v1
	s_wait_alu 0xfffd
	s_delay_alu instid0(VALU_DEP_2)
	v_add_co_ci_u32_e64 v8, null, s7, v8, vcc_lo
	global_load_b128 v[15:18], v[2:3], off
	global_load_b32 v1, v[7:8], off
	v_add_co_u32 v2, vcc_lo, 0x200, v2
	s_wait_alu 0xfffd
	v_add_co_ci_u32_e64 v3, null, 0, v3, vcc_lo
	s_wait_loadcnt 0x1
	v_bfe_i32 v7, v15, 0, 8
	v_bfe_i32 v8, v15, 8, 8
	;; [unrolled: 1-line block ×3, first 2 shown]
	v_ashrrev_i32_e32 v15, 24, v15
	s_wait_loadcnt 0x0
	v_bfe_i32 v29, v1, 0, 8
	v_bfe_i32 v20, v16, 0, 8
	v_bfe_i32 v21, v16, 8, 8
	v_bfe_i32 v22, v16, 16, 8
	v_ashrrev_i32_e32 v16, 24, v16
	v_cvt_f32_i32_e32 v15, v15
	v_bfe_i32 v30, v1, 8, 8
	v_cvt_f32_i32_e32 v29, v29
	v_cvt_f32_i32_e32 v7, v7
	;; [unrolled: 1-line block ×6, first 2 shown]
	v_fmac_f32_e32 v10, v15, v29
	v_bfe_i32 v23, v17, 0, 8
	v_bfe_i32 v25, v17, 16, 8
	v_cvt_f32_i32_e32 v8, v8
	v_cvt_f32_i32_e32 v20, v20
	;; [unrolled: 1-line block ×3, first 2 shown]
	v_bfe_i32 v31, v1, 16, 8
	v_dual_fmac_f32 v11, v7, v29 :: v_dual_fmac_f32 v10, v16, v30
	v_fmac_f32_e32 v12, v19, v29
	v_bfe_i32 v24, v17, 8, 8
	v_ashrrev_i32_e32 v17, 24, v17
	v_bfe_i32 v26, v18, 0, 8
	v_cvt_f32_i32_e32 v23, v23
	v_cvt_f32_i32_e32 v25, v25
	v_ashrrev_i32_e32 v1, 24, v1
	v_cvt_f32_i32_e32 v7, v31
	v_fmac_f32_e32 v11, v20, v30
	v_dual_fmac_f32 v12, v22, v30 :: v_dual_fmac_f32 v13, v8, v29
	v_bfe_i32 v27, v18, 8, 8
	v_bfe_i32 v28, v18, 16, 8
	v_ashrrev_i32_e32 v18, 24, v18
	v_cvt_f32_i32_e32 v24, v24
	v_cvt_f32_i32_e32 v17, v17
	v_cvt_f32_i32_e32 v26, v26
	v_cvt_f32_i32_e32 v1, v1
	v_fmac_f32_e32 v11, v23, v7
	v_fmac_f32_e32 v12, v25, v7
	;; [unrolled: 1-line block ×3, first 2 shown]
	v_cvt_f32_i32_e32 v27, v27
	v_cvt_f32_i32_e32 v28, v28
	;; [unrolled: 1-line block ×3, first 2 shown]
	v_dual_fmac_f32 v10, v17, v7 :: v_dual_fmac_f32 v11, v26, v1
	v_fmac_f32_e32 v13, v24, v7
	s_delay_alu instid0(VALU_DEP_4) | instskip(NEXT) | instid1(VALU_DEP_3)
	v_fmac_f32_e32 v12, v28, v1
	v_fmac_f32_e32 v10, v18, v1
	s_delay_alu instid0(VALU_DEP_3)
	v_fmac_f32_e32 v13, v27, v1
	s_wait_alu 0xfffe
	s_and_not1_b32 exec_lo, exec_lo, s3
	s_cbranch_execnz .LBB78_29
; %bb.30:
	s_or_b32 exec_lo, exec_lo, s3
.LBB78_31:
	s_wait_alu 0xfffe
	s_or_b32 exec_lo, exec_lo, s2
	s_delay_alu instid0(SALU_CYCLE_1)
	s_mov_b32 s10, exec_lo
	v_cmpx_lt_u32_e32 0x5f, v5
	s_cbranch_execz .LBB78_35
; %bb.32:
	s_mov_b32 s11, 0
.LBB78_33:                              ; =>This Inner Loop Header: Depth=1
	v_ashrrev_i32_e32 v1, 31, v0
	s_delay_alu instid0(VALU_DEP_1) | instskip(NEXT) | instid1(VALU_DEP_1)
	v_lshlrev_b64_e32 v[5:6], 2, v[0:1]
	v_add_co_u32 v5, vcc_lo, s8, v5
	s_wait_alu 0xfffd
	s_delay_alu instid0(VALU_DEP_2)
	v_add_co_ci_u32_e64 v6, null, s9, v6, vcc_lo
	s_clause 0x3
	global_load_b32 v1, v[5:6], off
	global_load_b32 v27, v[5:6], off offset:128
	global_load_b32 v28, v[5:6], off offset:256
	;; [unrolled: 1-line block ×3, first 2 shown]
	s_clause 0x3
	global_load_b128 v[5:8], v[2:3], off
	global_load_b128 v[15:18], v[2:3], off offset:512
	global_load_b128 v[19:22], v[2:3], off offset:1024
	global_load_b128 v[23:26], v[2:3], off offset:1536
	s_wait_loadcnt 0x7
	v_subrev_nc_u32_e32 v1, s16, v1
	s_wait_loadcnt 0x6
	v_subrev_nc_u32_e32 v27, s16, v27
	;; [unrolled: 2-line block ×4, first 2 shown]
	s_wait_loadcnt 0x3
	v_bfe_i32 v38, v7, 16, 8
	v_lshlrev_b32_e32 v1, 2, v1
	v_lshlrev_b32_e32 v27, 2, v27
	;; [unrolled: 1-line block ×4, first 2 shown]
	v_bfe_i32 v39, v8, 0, 8
	v_ashrrev_i32_e32 v32, 31, v1
	v_ashrrev_i32_e32 v35, 31, v27
	;; [unrolled: 1-line block ×4, first 2 shown]
	s_wait_kmcnt 0x0
	v_add_co_u32 v33, s4, s6, v1
	v_add_co_u32 v27, vcc_lo, s6, v27
	v_add_co_u32 v29, s2, s6, v28
	s_wait_alu 0xf1ff
	v_add_co_ci_u32_e64 v34, null, s7, v32, s4
	v_add_co_u32 v31, s3, s6, v30
	s_wait_alu 0xfffd
	v_add_co_ci_u32_e64 v28, null, s7, v35, vcc_lo
	v_add_co_ci_u32_e64 v30, null, s7, v36, s2
	s_wait_alu 0xf1ff
	v_add_co_ci_u32_e64 v32, null, s7, v37, s3
	s_clause 0x3
	global_load_b32 v1, v[33:34], off
	global_load_b32 v27, v[27:28], off
	;; [unrolled: 1-line block ×4, first 2 shown]
	v_bfe_i32 v30, v5, 0, 8
	v_bfe_i32 v31, v5, 8, 8
	;; [unrolled: 1-line block ×3, first 2 shown]
	v_ashrrev_i32_e32 v5, 24, v5
	v_bfe_i32 v33, v6, 0, 8
	v_bfe_i32 v34, v6, 8, 8
	;; [unrolled: 1-line block ×3, first 2 shown]
	v_ashrrev_i32_e32 v6, 24, v6
	v_cvt_f32_i32_e32 v30, v30
	v_cvt_f32_i32_e32 v31, v31
	;; [unrolled: 1-line block ×4, first 2 shown]
	v_bfe_i32 v36, v7, 0, 8
	v_bfe_i32 v37, v7, 8, 8
	v_ashrrev_i32_e32 v7, 24, v7
	v_cvt_f32_i32_e32 v33, v33
	v_cvt_f32_i32_e32 v34, v34
	;; [unrolled: 1-line block ×4, first 2 shown]
	v_bfe_i32 v40, v8, 8, 8
	v_bfe_i32 v41, v8, 16, 8
	v_ashrrev_i32_e32 v8, 24, v8
	v_cvt_f32_i32_e32 v36, v36
	v_cvt_f32_i32_e32 v37, v37
	v_cvt_f32_i32_e32 v38, v38
	v_cvt_f32_i32_e32 v7, v7
	s_wait_loadcnt 0x6
	v_bfe_i32 v42, v15, 0, 8
	v_bfe_i32 v43, v15, 8, 8
	v_bfe_i32 v44, v15, 16, 8
	v_ashrrev_i32_e32 v15, 24, v15
	v_cvt_f32_i32_e32 v39, v39
	v_cvt_f32_i32_e32 v40, v40
	v_cvt_f32_i32_e32 v41, v41
	v_cvt_f32_i32_e32 v8, v8
	v_bfe_i32 v45, v16, 0, 8
	v_bfe_i32 v46, v16, 8, 8
	v_bfe_i32 v47, v16, 16, 8
	v_ashrrev_i32_e32 v16, 24, v16
	v_cvt_f32_i32_e32 v42, v42
	v_cvt_f32_i32_e32 v43, v43
	v_cvt_f32_i32_e32 v44, v44
	v_cvt_f32_i32_e32 v15, v15
	v_bfe_i32 v48, v17, 0, 8
	v_bfe_i32 v49, v17, 8, 8
	v_bfe_i32 v50, v17, 16, 8
	v_ashrrev_i32_e32 v17, 24, v17
	v_cvt_f32_i32_e32 v45, v45
	v_cvt_f32_i32_e32 v46, v46
	v_cvt_f32_i32_e32 v47, v47
	v_cvt_f32_i32_e32 v16, v16
	v_bfe_i32 v51, v18, 0, 8
	v_bfe_i32 v52, v18, 8, 8
	v_bfe_i32 v53, v18, 16, 8
	v_ashrrev_i32_e32 v18, 24, v18
	v_cvt_f32_i32_e32 v48, v48
	v_cvt_f32_i32_e32 v49, v49
	v_cvt_f32_i32_e32 v50, v50
	v_cvt_f32_i32_e32 v17, v17
	s_wait_loadcnt 0x5
	v_bfe_i32 v54, v19, 0, 8
	v_bfe_i32 v55, v19, 8, 8
	v_bfe_i32 v56, v19, 16, 8
	v_ashrrev_i32_e32 v19, 24, v19
	v_cvt_f32_i32_e32 v51, v51
	v_cvt_f32_i32_e32 v52, v52
	v_cvt_f32_i32_e32 v53, v53
	v_cvt_f32_i32_e32 v18, v18
	v_bfe_i32 v57, v20, 0, 8
	v_bfe_i32 v58, v20, 8, 8
	v_bfe_i32 v59, v20, 16, 8
	v_ashrrev_i32_e32 v20, 24, v20
	v_cvt_f32_i32_e32 v54, v54
	v_cvt_f32_i32_e32 v55, v55
	v_cvt_f32_i32_e32 v56, v56
	v_cvt_f32_i32_e32 v19, v19
	v_bfe_i32 v60, v21, 0, 8
	v_bfe_i32 v61, v21, 8, 8
	v_bfe_i32 v62, v21, 16, 8
	v_ashrrev_i32_e32 v21, 24, v21
	v_cvt_f32_i32_e32 v57, v57
	v_cvt_f32_i32_e32 v58, v58
	v_cvt_f32_i32_e32 v59, v59
	v_cvt_f32_i32_e32 v20, v20
	v_bfe_i32 v63, v22, 0, 8
	;; [unrolled: 33-line block ×3, first 2 shown]
	v_bfe_i32 v76, v26, 8, 8
	v_bfe_i32 v77, v26, 16, 8
	v_ashrrev_i32_e32 v26, 24, v26
	v_cvt_f32_i32_e32 v72, v72
	v_cvt_f32_i32_e32 v73, v73
	v_cvt_f32_i32_e32 v74, v74
	v_cvt_f32_i32_e32 v25, v25
	v_cvt_f32_i32_e32 v75, v75
	v_cvt_f32_i32_e32 v76, v76
	v_cvt_f32_i32_e32 v77, v77
	v_cvt_f32_i32_e32 v26, v26
	v_add_co_u32 v2, vcc_lo, 0x800, v2
	s_wait_alu 0xfffd
	v_add_co_ci_u32_e64 v3, null, 0, v3, vcc_lo
	s_wait_loadcnt 0x3
	v_bfe_i32 v78, v1, 0, 8
	v_bfe_i32 v79, v1, 8, 8
	;; [unrolled: 1-line block ×3, first 2 shown]
	v_ashrrev_i32_e32 v1, 24, v1
	s_wait_loadcnt 0x2
	v_bfe_i32 v81, v27, 0, 8
	v_cvt_f32_i32_e32 v78, v78
	v_cvt_f32_i32_e32 v79, v79
	v_bfe_i32 v82, v27, 8, 8
	v_cvt_f32_i32_e32 v1, v1
	v_bfe_i32 v83, v27, 16, 8
	v_fmac_f32_e32 v11, v30, v78
	v_fmac_f32_e32 v13, v31, v78
	;; [unrolled: 1-line block ×4, first 2 shown]
	s_delay_alu instid0(VALU_DEP_4) | instskip(SKIP_1) | instid1(VALU_DEP_4)
	v_dual_fmac_f32 v11, v33, v79 :: v_dual_add_nc_u32 v0, 0x80, v0
	v_cvt_f32_i32_e32 v5, v80
	v_fmac_f32_e32 v12, v35, v79
	s_delay_alu instid0(VALU_DEP_4)
	v_fmac_f32_e32 v10, v6, v79
	v_fmac_f32_e32 v13, v34, v79
	v_ashrrev_i32_e32 v27, 24, v27
	v_fmac_f32_e32 v11, v36, v5
	v_fmac_f32_e32 v12, v38, v5
	v_fmac_f32_e32 v10, v7, v5
	v_fmac_f32_e32 v13, v37, v5
	v_cvt_f32_i32_e32 v5, v81
	v_fmac_f32_e32 v11, v39, v1
	v_fmac_f32_e32 v12, v41, v1
	v_fmac_f32_e32 v10, v8, v1
	v_fmac_f32_e32 v13, v40, v1
	v_cvt_f32_i32_e32 v1, v82
	;; [unrolled: 5-line block ×3, first 2 shown]
	v_fmac_f32_e32 v11, v45, v1
	v_fmac_f32_e32 v12, v47, v1
	;; [unrolled: 1-line block ×4, first 2 shown]
	s_wait_loadcnt 0x1
	v_bfe_i32 v84, v28, 0, 8
	v_cvt_f32_i32_e32 v1, v27
	v_fmac_f32_e32 v11, v48, v5
	v_fmac_f32_e32 v12, v50, v5
	v_fmac_f32_e32 v13, v49, v5
	v_fmac_f32_e32 v10, v17, v5
	v_bfe_i32 v85, v28, 8, 8
	v_cvt_f32_i32_e32 v5, v84
	v_fmac_f32_e32 v11, v51, v1
	v_fmac_f32_e32 v13, v52, v1
	v_fmac_f32_e32 v12, v53, v1
	v_fmac_f32_e32 v10, v18, v1
	;; [unrolled: 6-line block ×3, first 2 shown]
	v_ashrrev_i32_e32 v28, 24, v28
	v_cvt_f32_i32_e32 v5, v86
	v_fmac_f32_e32 v11, v57, v1
	v_fmac_f32_e32 v13, v58, v1
	;; [unrolled: 1-line block ×4, first 2 shown]
	s_wait_loadcnt 0x0
	v_bfe_i32 v87, v29, 0, 8
	v_cvt_f32_i32_e32 v1, v28
	v_fmac_f32_e32 v11, v60, v5
	v_fmac_f32_e32 v13, v61, v5
	v_fmac_f32_e32 v12, v62, v5
	v_fmac_f32_e32 v10, v21, v5
	v_bfe_i32 v88, v29, 8, 8
	v_cvt_f32_i32_e32 v5, v87
	v_fmac_f32_e32 v11, v63, v1
	v_fmac_f32_e32 v13, v64, v1
	v_fmac_f32_e32 v12, v65, v1
	v_fmac_f32_e32 v10, v22, v1
	;; [unrolled: 6-line block ×3, first 2 shown]
	v_ashrrev_i32_e32 v29, 24, v29
	v_cvt_f32_i32_e32 v5, v89
	v_fmac_f32_e32 v11, v69, v1
	v_fmac_f32_e32 v13, v70, v1
	;; [unrolled: 1-line block ×4, first 2 shown]
	v_cvt_f32_i32_e32 v1, v29
	v_fmac_f32_e32 v11, v72, v5
	v_fmac_f32_e32 v13, v73, v5
	;; [unrolled: 1-line block ×4, first 2 shown]
	v_cmp_ge_i32_e32 vcc_lo, v0, v14
	v_fmac_f32_e32 v11, v75, v1
	v_fmac_f32_e32 v13, v76, v1
	;; [unrolled: 1-line block ×4, first 2 shown]
	s_wait_alu 0xfffe
	s_or_b32 s11, vcc_lo, s11
	s_wait_alu 0xfffe
	s_and_not1_b32 exec_lo, exec_lo, s11
	s_cbranch_execnz .LBB78_33
; %bb.34:
	s_or_b32 exec_lo, exec_lo, s11
.LBB78_35:
	s_wait_alu 0xfffe
	s_or_b32 exec_lo, exec_lo, s10
.LBB78_36:
	s_wait_alu 0xfffe
	s_or_b32 exec_lo, exec_lo, s5
.LBB78_37:
	v_mbcnt_lo_u32_b32 v0, -1, 0
	s_mov_b32 s2, -1
	s_delay_alu instid0(VALU_DEP_1) | instskip(SKIP_1) | instid1(VALU_DEP_2)
	v_xor_b32_e32 v1, 16, v0
	v_xor_b32_e32 v6, 8, v0
	v_cmp_gt_i32_e32 vcc_lo, 32, v1
	s_wait_alu 0xfffd
	v_cndmask_b32_e32 v1, v0, v1, vcc_lo
	s_delay_alu instid0(VALU_DEP_3) | instskip(SKIP_2) | instid1(VALU_DEP_1)
	v_cmp_gt_i32_e32 vcc_lo, 32, v6
	s_wait_alu 0xfffd
	v_cndmask_b32_e32 v6, v0, v6, vcc_lo
	v_lshlrev_b32_e32 v6, 2, v6
	v_lshlrev_b32_e32 v1, 2, v1
	ds_bpermute_b32 v2, v1, v11
	s_wait_dscnt 0x0
	v_add_f32_e32 v2, v11, v2
	ds_bpermute_b32 v3, v1, v13
	ds_bpermute_b32 v5, v1, v12
	;; [unrolled: 1-line block ×3, first 2 shown]
	v_xor_b32_e32 v11, 4, v0
	ds_bpermute_b32 v7, v6, v2
	v_cmp_gt_i32_e32 vcc_lo, 32, v11
	s_wait_dscnt 0x3
	v_add_f32_e32 v3, v13, v3
	s_wait_dscnt 0x2
	v_add_f32_e32 v5, v12, v5
	;; [unrolled: 2-line block ×4, first 2 shown]
	ds_bpermute_b32 v8, v6, v3
	ds_bpermute_b32 v10, v6, v5
	;; [unrolled: 1-line block ×3, first 2 shown]
	s_wait_alu 0xfffd
	v_cndmask_b32_e32 v11, v0, v11, vcc_lo
	s_wait_dscnt 0x1
	v_add_f32_e32 v5, v5, v10
	s_wait_dscnt 0x0
	v_add_f32_e32 v1, v1, v6
	v_lshlrev_b32_e32 v11, 2, v11
	ds_bpermute_b32 v6, v11, v2
	ds_bpermute_b32 v10, v11, v1
	s_wait_dscnt 0x1
	v_dual_add_f32 v2, v2, v6 :: v_dual_add_f32 v3, v3, v8
	s_wait_dscnt 0x0
	v_add_f32_e32 v6, v1, v10
	ds_bpermute_b32 v8, v11, v5
	ds_bpermute_b32 v7, v11, v3
	v_xor_b32_e32 v11, 2, v0
	s_delay_alu instid0(VALU_DEP_1)
	v_cmp_gt_i32_e32 vcc_lo, 32, v11
	s_wait_dscnt 0x1
	v_add_f32_e32 v5, v5, v8
	s_wait_alu 0xfffd
	v_cndmask_b32_e32 v11, v0, v11, vcc_lo
	s_wait_dscnt 0x0
	v_add_f32_e32 v3, v3, v7
	s_delay_alu instid0(VALU_DEP_2)
	v_lshlrev_b32_e32 v11, 2, v11
	ds_bpermute_b32 v1, v11, v2
	ds_bpermute_b32 v7, v11, v3
	;; [unrolled: 1-line block ×4, first 2 shown]
	v_xor_b32_e32 v11, 1, v0
	s_delay_alu instid0(VALU_DEP_1) | instskip(SKIP_4) | instid1(VALU_DEP_2)
	v_cmp_gt_i32_e32 vcc_lo, 32, v11
	s_wait_alu 0xfffd
	v_cndmask_b32_e32 v0, v0, v11, vcc_lo
	v_cmp_eq_u32_e32 vcc_lo, 31, v9
	s_wait_dscnt 0x3
	v_dual_add_f32 v0, v2, v1 :: v_dual_lshlrev_b32 v11, 2, v0
	s_wait_dscnt 0x1
	v_dual_add_f32 v1, v3, v7 :: v_dual_add_f32 v2, v5, v8
	s_wait_dscnt 0x0
	v_add_f32_e32 v3, v6, v10
	ds_bpermute_b32 v5, v11, v0
	ds_bpermute_b32 v6, v11, v1
	;; [unrolled: 1-line block ×4, first 2 shown]
	s_and_b32 exec_lo, exec_lo, vcc_lo
	s_cbranch_execz .LBB78_10
; %bb.38:
	s_load_b64 s[0:1], s[0:1], 0x50
	s_wait_dscnt 0x2
	v_dual_add_f32 v0, v0, v5 :: v_dual_add_f32 v1, v1, v6
	s_wait_dscnt 0x0
	v_dual_add_f32 v2, v2, v7 :: v_dual_add_f32 v3, v3, v8
	v_lshlrev_b32_e32 v4, 2, v4
	s_delay_alu instid0(VALU_DEP_3) | instskip(NEXT) | instid1(VALU_DEP_3)
	v_dual_mul_f32 v0, s14, v0 :: v_dual_mul_f32 v1, s14, v1
	v_dual_mul_f32 v2, s14, v2 :: v_dual_mul_f32 v3, s14, v3
	s_cmp_eq_f32 s12, 0
	s_cbranch_scc0 .LBB78_40
; %bb.39:
	v_ashrrev_i32_e32 v5, 31, v4
	s_mov_b32 s2, 0
	s_delay_alu instid0(VALU_DEP_1) | instskip(SKIP_1) | instid1(VALU_DEP_1)
	v_lshlrev_b64_e32 v[5:6], 2, v[4:5]
	s_wait_kmcnt 0x0
	v_add_co_u32 v5, vcc_lo, s0, v5
	s_wait_alu 0xfffd
	s_delay_alu instid0(VALU_DEP_2)
	v_add_co_ci_u32_e64 v6, null, s1, v6, vcc_lo
	global_store_b128 v[5:6], v[0:3], off
.LBB78_40:
	s_wait_alu 0xfffe
	s_and_not1_b32 vcc_lo, exec_lo, s2
	s_wait_alu 0xfffe
	s_cbranch_vccnz .LBB78_10
; %bb.41:
	v_ashrrev_i32_e32 v5, 31, v4
	s_delay_alu instid0(VALU_DEP_1) | instskip(SKIP_1) | instid1(VALU_DEP_1)
	v_lshlrev_b64_e32 v[4:5], 2, v[4:5]
	s_wait_kmcnt 0x0
	v_add_co_u32 v8, vcc_lo, s0, v4
	s_wait_alu 0xfffd
	s_delay_alu instid0(VALU_DEP_2)
	v_add_co_ci_u32_e64 v9, null, s1, v5, vcc_lo
	global_load_b128 v[4:7], v[8:9], off
	s_wait_loadcnt 0x0
	v_dual_fmac_f32 v0, s12, v4 :: v_dual_fmac_f32 v1, s12, v5
	v_dual_fmac_f32 v2, s12, v6 :: v_dual_fmac_f32 v3, s12, v7
	global_store_b128 v[8:9], v[0:3], off
	s_endpgm
	.section	.rodata,"a",@progbits
	.p2align	6, 0x0
	.amdhsa_kernel _ZN9rocsparseL18bsrxmvn_4x4_kernelILj128ELj32EfiiaafEEvT3_20rocsparse_direction_NS_24const_host_device_scalarIT1_EES1_PKS1_PKT2_SA_S7_PKT4_PKT5_S5_PT6_21rocsparse_index_base_b
		.amdhsa_group_segment_fixed_size 0
		.amdhsa_private_segment_fixed_size 0
		.amdhsa_kernarg_size 96
		.amdhsa_user_sgpr_count 2
		.amdhsa_user_sgpr_dispatch_ptr 0
		.amdhsa_user_sgpr_queue_ptr 0
		.amdhsa_user_sgpr_kernarg_segment_ptr 1
		.amdhsa_user_sgpr_dispatch_id 0
		.amdhsa_user_sgpr_private_segment_size 0
		.amdhsa_wavefront_size32 1
		.amdhsa_uses_dynamic_stack 0
		.amdhsa_enable_private_segment 0
		.amdhsa_system_sgpr_workgroup_id_x 1
		.amdhsa_system_sgpr_workgroup_id_y 0
		.amdhsa_system_sgpr_workgroup_id_z 0
		.amdhsa_system_sgpr_workgroup_info 0
		.amdhsa_system_vgpr_workitem_id 0
		.amdhsa_next_free_vgpr 94
		.amdhsa_next_free_sgpr 18
		.amdhsa_reserve_vcc 1
		.amdhsa_float_round_mode_32 0
		.amdhsa_float_round_mode_16_64 0
		.amdhsa_float_denorm_mode_32 3
		.amdhsa_float_denorm_mode_16_64 3
		.amdhsa_fp16_overflow 0
		.amdhsa_workgroup_processor_mode 1
		.amdhsa_memory_ordered 1
		.amdhsa_forward_progress 1
		.amdhsa_inst_pref_size 45
		.amdhsa_round_robin_scheduling 0
		.amdhsa_exception_fp_ieee_invalid_op 0
		.amdhsa_exception_fp_denorm_src 0
		.amdhsa_exception_fp_ieee_div_zero 0
		.amdhsa_exception_fp_ieee_overflow 0
		.amdhsa_exception_fp_ieee_underflow 0
		.amdhsa_exception_fp_ieee_inexact 0
		.amdhsa_exception_int_div_zero 0
	.end_amdhsa_kernel
	.section	.text._ZN9rocsparseL18bsrxmvn_4x4_kernelILj128ELj32EfiiaafEEvT3_20rocsparse_direction_NS_24const_host_device_scalarIT1_EES1_PKS1_PKT2_SA_S7_PKT4_PKT5_S5_PT6_21rocsparse_index_base_b,"axG",@progbits,_ZN9rocsparseL18bsrxmvn_4x4_kernelILj128ELj32EfiiaafEEvT3_20rocsparse_direction_NS_24const_host_device_scalarIT1_EES1_PKS1_PKT2_SA_S7_PKT4_PKT5_S5_PT6_21rocsparse_index_base_b,comdat
.Lfunc_end78:
	.size	_ZN9rocsparseL18bsrxmvn_4x4_kernelILj128ELj32EfiiaafEEvT3_20rocsparse_direction_NS_24const_host_device_scalarIT1_EES1_PKS1_PKT2_SA_S7_PKT4_PKT5_S5_PT6_21rocsparse_index_base_b, .Lfunc_end78-_ZN9rocsparseL18bsrxmvn_4x4_kernelILj128ELj32EfiiaafEEvT3_20rocsparse_direction_NS_24const_host_device_scalarIT1_EES1_PKS1_PKT2_SA_S7_PKT4_PKT5_S5_PT6_21rocsparse_index_base_b
                                        ; -- End function
	.set _ZN9rocsparseL18bsrxmvn_4x4_kernelILj128ELj32EfiiaafEEvT3_20rocsparse_direction_NS_24const_host_device_scalarIT1_EES1_PKS1_PKT2_SA_S7_PKT4_PKT5_S5_PT6_21rocsparse_index_base_b.num_vgpr, 94
	.set _ZN9rocsparseL18bsrxmvn_4x4_kernelILj128ELj32EfiiaafEEvT3_20rocsparse_direction_NS_24const_host_device_scalarIT1_EES1_PKS1_PKT2_SA_S7_PKT4_PKT5_S5_PT6_21rocsparse_index_base_b.num_agpr, 0
	.set _ZN9rocsparseL18bsrxmvn_4x4_kernelILj128ELj32EfiiaafEEvT3_20rocsparse_direction_NS_24const_host_device_scalarIT1_EES1_PKS1_PKT2_SA_S7_PKT4_PKT5_S5_PT6_21rocsparse_index_base_b.numbered_sgpr, 18
	.set _ZN9rocsparseL18bsrxmvn_4x4_kernelILj128ELj32EfiiaafEEvT3_20rocsparse_direction_NS_24const_host_device_scalarIT1_EES1_PKS1_PKT2_SA_S7_PKT4_PKT5_S5_PT6_21rocsparse_index_base_b.num_named_barrier, 0
	.set _ZN9rocsparseL18bsrxmvn_4x4_kernelILj128ELj32EfiiaafEEvT3_20rocsparse_direction_NS_24const_host_device_scalarIT1_EES1_PKS1_PKT2_SA_S7_PKT4_PKT5_S5_PT6_21rocsparse_index_base_b.private_seg_size, 0
	.set _ZN9rocsparseL18bsrxmvn_4x4_kernelILj128ELj32EfiiaafEEvT3_20rocsparse_direction_NS_24const_host_device_scalarIT1_EES1_PKS1_PKT2_SA_S7_PKT4_PKT5_S5_PT6_21rocsparse_index_base_b.uses_vcc, 1
	.set _ZN9rocsparseL18bsrxmvn_4x4_kernelILj128ELj32EfiiaafEEvT3_20rocsparse_direction_NS_24const_host_device_scalarIT1_EES1_PKS1_PKT2_SA_S7_PKT4_PKT5_S5_PT6_21rocsparse_index_base_b.uses_flat_scratch, 0
	.set _ZN9rocsparseL18bsrxmvn_4x4_kernelILj128ELj32EfiiaafEEvT3_20rocsparse_direction_NS_24const_host_device_scalarIT1_EES1_PKS1_PKT2_SA_S7_PKT4_PKT5_S5_PT6_21rocsparse_index_base_b.has_dyn_sized_stack, 0
	.set _ZN9rocsparseL18bsrxmvn_4x4_kernelILj128ELj32EfiiaafEEvT3_20rocsparse_direction_NS_24const_host_device_scalarIT1_EES1_PKS1_PKT2_SA_S7_PKT4_PKT5_S5_PT6_21rocsparse_index_base_b.has_recursion, 0
	.set _ZN9rocsparseL18bsrxmvn_4x4_kernelILj128ELj32EfiiaafEEvT3_20rocsparse_direction_NS_24const_host_device_scalarIT1_EES1_PKS1_PKT2_SA_S7_PKT4_PKT5_S5_PT6_21rocsparse_index_base_b.has_indirect_call, 0
	.section	.AMDGPU.csdata,"",@progbits
; Kernel info:
; codeLenInByte = 5752
; TotalNumSgprs: 20
; NumVgprs: 94
; ScratchSize: 0
; MemoryBound: 0
; FloatMode: 240
; IeeeMode: 1
; LDSByteSize: 0 bytes/workgroup (compile time only)
; SGPRBlocks: 0
; VGPRBlocks: 11
; NumSGPRsForWavesPerEU: 20
; NumVGPRsForWavesPerEU: 94
; Occupancy: 16
; WaveLimiterHint : 1
; COMPUTE_PGM_RSRC2:SCRATCH_EN: 0
; COMPUTE_PGM_RSRC2:USER_SGPR: 2
; COMPUTE_PGM_RSRC2:TRAP_HANDLER: 0
; COMPUTE_PGM_RSRC2:TGID_X_EN: 1
; COMPUTE_PGM_RSRC2:TGID_Y_EN: 0
; COMPUTE_PGM_RSRC2:TGID_Z_EN: 0
; COMPUTE_PGM_RSRC2:TIDIG_COMP_CNT: 0
	.section	.text._ZN9rocsparseL18bsrxmvn_4x4_kernelILj128ELj64EfiiaafEEvT3_20rocsparse_direction_NS_24const_host_device_scalarIT1_EES1_PKS1_PKT2_SA_S7_PKT4_PKT5_S5_PT6_21rocsparse_index_base_b,"axG",@progbits,_ZN9rocsparseL18bsrxmvn_4x4_kernelILj128ELj64EfiiaafEEvT3_20rocsparse_direction_NS_24const_host_device_scalarIT1_EES1_PKS1_PKT2_SA_S7_PKT4_PKT5_S5_PT6_21rocsparse_index_base_b,comdat
	.globl	_ZN9rocsparseL18bsrxmvn_4x4_kernelILj128ELj64EfiiaafEEvT3_20rocsparse_direction_NS_24const_host_device_scalarIT1_EES1_PKS1_PKT2_SA_S7_PKT4_PKT5_S5_PT6_21rocsparse_index_base_b ; -- Begin function _ZN9rocsparseL18bsrxmvn_4x4_kernelILj128ELj64EfiiaafEEvT3_20rocsparse_direction_NS_24const_host_device_scalarIT1_EES1_PKS1_PKT2_SA_S7_PKT4_PKT5_S5_PT6_21rocsparse_index_base_b
	.p2align	8
	.type	_ZN9rocsparseL18bsrxmvn_4x4_kernelILj128ELj64EfiiaafEEvT3_20rocsparse_direction_NS_24const_host_device_scalarIT1_EES1_PKS1_PKT2_SA_S7_PKT4_PKT5_S5_PT6_21rocsparse_index_base_b,@function
_ZN9rocsparseL18bsrxmvn_4x4_kernelILj128ELj64EfiiaafEEvT3_20rocsparse_direction_NS_24const_host_device_scalarIT1_EES1_PKS1_PKT2_SA_S7_PKT4_PKT5_S5_PT6_21rocsparse_index_base_b: ; @_ZN9rocsparseL18bsrxmvn_4x4_kernelILj128ELj64EfiiaafEEvT3_20rocsparse_direction_NS_24const_host_device_scalarIT1_EES1_PKS1_PKT2_SA_S7_PKT4_PKT5_S5_PT6_21rocsparse_index_base_b
; %bb.0:
	s_clause 0x2
	s_load_b64 s[16:17], s[0:1], 0x58
	s_load_b64 s[14:15], s[0:1], 0x8
	;; [unrolled: 1-line block ×3, first 2 shown]
	s_wait_kmcnt 0x0
	s_bitcmp1_b32 s17, 0
	s_cselect_b32 s2, -1, 0
	s_delay_alu instid0(SALU_CYCLE_1)
	s_and_b32 vcc_lo, exec_lo, s2
	s_xor_b32 s2, s2, -1
	s_cbranch_vccnz .LBB79_2
; %bb.1:
	s_load_b32 s14, s[14:15], 0x0
.LBB79_2:
	s_and_not1_b32 vcc_lo, exec_lo, s2
	s_cbranch_vccnz .LBB79_4
; %bb.3:
	s_load_b32 s12, s[12:13], 0x0
.LBB79_4:
	s_wait_kmcnt 0x0
	s_cmp_neq_f32 s14, 0
	s_mov_b32 s6, 0
	s_cselect_b32 s2, -1, 0
	s_cmp_neq_f32 s12, 1.0
	s_cselect_b32 s3, -1, 0
	s_delay_alu instid0(SALU_CYCLE_1) | instskip(NEXT) | instid1(SALU_CYCLE_1)
	s_or_b32 s2, s2, s3
	s_and_not1_b32 vcc_lo, exec_lo, s2
	s_cbranch_vccnz .LBB79_10
; %bb.5:
	s_clause 0x1
	s_load_b64 s[4:5], s[0:1], 0x18
	s_load_b64 s[2:3], s[0:1], 0x0
	v_lshrrev_b32_e32 v1, 6, v0
	s_delay_alu instid0(VALU_DEP_1)
	v_lshl_or_b32 v4, ttmp9, 1, v1
	s_wait_kmcnt 0x0
	s_cmp_lg_u64 s[4:5], 0
	s_cbranch_scc0 .LBB79_11
; %bb.6:
	s_load_b32 s6, s[0:1], 0x10
	s_mov_b32 s7, 0
                                        ; implicit-def: $vgpr1
	s_wait_kmcnt 0x0
	v_cmp_gt_i32_e32 vcc_lo, s6, v4
	s_mov_b32 s6, 0
	s_and_saveexec_b32 s8, vcc_lo
	s_delay_alu instid0(SALU_CYCLE_1)
	s_xor_b32 s8, exec_lo, s8
	s_cbranch_execz .LBB79_8
; %bb.7:
	v_ashrrev_i32_e32 v5, 31, v4
	s_mov_b32 s6, exec_lo
	s_delay_alu instid0(VALU_DEP_1) | instskip(NEXT) | instid1(VALU_DEP_1)
	v_lshlrev_b64_e32 v[1:2], 2, v[4:5]
	v_add_co_u32 v1, vcc_lo, s4, v1
	s_delay_alu instid0(VALU_DEP_1)
	v_add_co_ci_u32_e64 v2, null, s5, v2, vcc_lo
	global_load_b32 v1, v[1:2], off
	s_wait_loadcnt 0x0
	v_subrev_nc_u32_e32 v1, s16, v1
.LBB79_8:
	s_or_b32 exec_lo, exec_lo, s8
	s_delay_alu instid0(SALU_CYCLE_1)
	s_and_b32 vcc_lo, exec_lo, s7
	s_wait_alu 0xfffe
	s_cbranch_vccz .LBB79_12
.LBB79_9:
	v_cmp_gt_i32_e32 vcc_lo, s2, v4
	s_and_not1_b32 s2, s6, exec_lo
	s_and_b32 s4, vcc_lo, exec_lo
	s_wait_alu 0xfffe
	s_or_b32 s6, s2, s4
	s_wait_alu 0xfffe
	s_and_saveexec_b32 s2, s6
	s_cbranch_execnz .LBB79_13
.LBB79_10:
	s_endpgm
.LBB79_11:
                                        ; implicit-def: $vgpr1
	s_cbranch_execnz .LBB79_9
.LBB79_12:
	v_mov_b32_e32 v4, v1
	s_and_saveexec_b32 s2, s6
	s_cbranch_execz .LBB79_10
.LBB79_13:
	s_load_b256 s[4:11], s[0:1], 0x20
	s_delay_alu instid0(VALU_DEP_1) | instskip(SKIP_1) | instid1(VALU_DEP_2)
	v_ashrrev_i32_e32 v5, 31, v4
	v_and_b32_e32 v9, 63, v0
	v_lshlrev_b64_e32 v[1:2], 2, v[4:5]
	s_wait_kmcnt 0x0
	s_delay_alu instid0(VALU_DEP_1) | instskip(SKIP_1) | instid1(VALU_DEP_2)
	v_add_co_u32 v5, vcc_lo, s4, v1
	s_wait_alu 0xfffd
	v_add_co_ci_u32_e64 v6, null, s5, v2, vcc_lo
	v_add_co_u32 v1, vcc_lo, s6, v1
	s_wait_alu 0xfffd
	v_add_co_ci_u32_e64 v2, null, s7, v2, vcc_lo
	global_load_b32 v15, v[5:6], off
	v_add_co_u32 v3, vcc_lo, v5, 4
	s_wait_alu 0xfffd
	v_add_co_ci_u32_e64 v5, null, 0, v6, vcc_lo
	s_cmp_eq_u64 s[6:7], 0
	s_load_b64 s[6:7], s[0:1], 0x40
	s_cselect_b32 vcc_lo, -1, 0
	s_cmp_eq_u32 s3, 1
	s_wait_alu 0xfffe
	v_dual_cndmask_b32 v2, v2, v5 :: v_dual_cndmask_b32 v1, v1, v3
	global_load_b32 v5, v[1:2], off
	s_wait_loadcnt 0x1
	v_subrev_nc_u32_e32 v0, s16, v15
	s_delay_alu instid0(VALU_DEP_1) | instskip(NEXT) | instid1(VALU_DEP_1)
	v_add_nc_u32_e32 v0, v0, v9
	v_ashrrev_i32_e32 v1, 31, v0
	s_wait_loadcnt 0x0
	v_subrev_nc_u32_e32 v14, s16, v5
	s_delay_alu instid0(VALU_DEP_2) | instskip(NEXT) | instid1(VALU_DEP_2)
	v_lshlrev_b64_e32 v[2:3], 4, v[0:1]
	v_cmp_lt_i32_e64 s2, v0, v14
	s_delay_alu instid0(VALU_DEP_2) | instskip(SKIP_1) | instid1(VALU_DEP_3)
	v_add_co_u32 v2, vcc_lo, s10, v2
	s_wait_alu 0xfffd
	v_add_co_ci_u32_e64 v3, null, s11, v3, vcc_lo
	s_cbranch_scc1 .LBB79_25
; %bb.14:
	v_dual_mov_b32 v10, 0 :: v_dual_mov_b32 v13, 0
	v_dual_mov_b32 v12, 0 :: v_dual_mov_b32 v11, 0
	s_and_saveexec_b32 s10, s2
	s_cbranch_execz .LBB79_24
; %bb.15:
	v_dual_mov_b32 v12, 0 :: v_dual_add_nc_u32 v1, v15, v9
	v_not_b32_e32 v5, v15
	v_dual_mov_b32 v13, 0 :: v_dual_mov_b32 v8, v3
	s_delay_alu instid0(VALU_DEP_3) | instskip(SKIP_2) | instid1(VALU_DEP_2)
	v_subrev_nc_u32_e32 v1, s16, v1
	v_mov_b32_e32 v7, v2
	s_mov_b32 s3, exec_lo
	v_dual_mov_b32 v10, 0 :: v_dual_add_nc_u32 v1, 64, v1
	s_delay_alu instid0(VALU_DEP_1) | instskip(NEXT) | instid1(VALU_DEP_1)
	v_max_i32_e32 v1, v1, v14
	v_add3_u32 v1, s16, v1, v5
	v_mov_b32_e32 v5, v0
	s_delay_alu instid0(VALU_DEP_2) | instskip(NEXT) | instid1(VALU_DEP_1)
	v_sub_nc_u32_e32 v1, v1, v9
	v_dual_mov_b32 v11, 0 :: v_dual_and_b32 v6, 0xc0, v1
	s_delay_alu instid0(VALU_DEP_1)
	v_cmpx_ne_u32_e32 0xc0, v6
	s_cbranch_execz .LBB79_19
; %bb.16:
	v_lshrrev_b32_e32 v5, 6, v1
	v_mov_b32_e32 v8, v3
	v_dual_mov_b32 v12, 0 :: v_dual_mov_b32 v13, 0
	v_mov_b32_e32 v11, 0
	s_delay_alu instid0(VALU_DEP_4) | instskip(SKIP_1) | instid1(VALU_DEP_1)
	v_dual_mov_b32 v10, 0 :: v_dual_add_nc_u32 v5, 1, v5
	s_mov_b32 s4, 0
	v_dual_mov_b32 v7, v2 :: v_dual_and_b32 v6, 3, v5
	v_mov_b32_e32 v5, v0
	s_delay_alu instid0(VALU_DEP_2)
	v_sub_nc_u32_e32 v16, 0, v6
.LBB79_17:                              ; =>This Inner Loop Header: Depth=1
	s_delay_alu instid0(VALU_DEP_2) | instskip(NEXT) | instid1(VALU_DEP_2)
	v_ashrrev_i32_e32 v6, 31, v5
	v_add_co_u32 v16, s5, v16, 1
	s_wait_alu 0xfffe
	s_or_b32 s4, s5, s4
	s_delay_alu instid0(VALU_DEP_2) | instskip(NEXT) | instid1(VALU_DEP_1)
	v_lshlrev_b64_e32 v[17:18], 2, v[5:6]
	v_add_co_u32 v17, vcc_lo, s8, v17
	s_wait_alu 0xfffd
	s_delay_alu instid0(VALU_DEP_2) | instskip(SKIP_3) | instid1(VALU_DEP_1)
	v_add_co_ci_u32_e64 v18, null, s9, v18, vcc_lo
	global_load_b32 v6, v[17:18], off
	s_wait_loadcnt 0x0
	v_subrev_nc_u32_e32 v6, s16, v6
	v_lshlrev_b32_e32 v6, 2, v6
	s_delay_alu instid0(VALU_DEP_1) | instskip(SKIP_3) | instid1(VALU_DEP_2)
	v_ashrrev_i32_e32 v17, 31, v6
	s_wait_kmcnt 0x0
	v_add_co_u32 v21, vcc_lo, s6, v6
	s_wait_alu 0xfffd
	v_add_co_ci_u32_e64 v22, null, s7, v17, vcc_lo
	global_load_b128 v[17:20], v[7:8], off
	global_load_b32 v6, v[21:22], off
	v_add_co_u32 v7, vcc_lo, 0x400, v7
	s_wait_alu 0xfffd
	v_add_co_ci_u32_e64 v8, null, 0, v8, vcc_lo
	s_wait_loadcnt 0x1
	v_bfe_i32 v21, v17, 0, 8
	v_bfe_i32 v24, v18, 0, 8
	;; [unrolled: 1-line block ×4, first 2 shown]
	s_wait_loadcnt 0x0
	v_bfe_i32 v33, v6, 0, 8
	v_bfe_i32 v22, v17, 8, 8
	;; [unrolled: 1-line block ×5, first 2 shown]
	v_cvt_f32_i32_e32 v21, v21
	v_cvt_f32_i32_e32 v24, v24
	;; [unrolled: 1-line block ×4, first 2 shown]
	v_bfe_i32 v34, v6, 8, 8
	v_cvt_f32_i32_e32 v33, v33
	v_bfe_i32 v23, v17, 16, 8
	v_bfe_i32 v26, v18, 16, 8
	;; [unrolled: 1-line block ×4, first 2 shown]
	v_cvt_f32_i32_e32 v22, v22
	v_cvt_f32_i32_e32 v25, v25
	;; [unrolled: 1-line block ×4, first 2 shown]
	v_bfe_i32 v35, v6, 16, 8
	v_cvt_f32_i32_e32 v34, v34
	v_fmac_f32_e32 v11, v21, v33
	v_fmac_f32_e32 v12, v27, v33
	;; [unrolled: 1-line block ×4, first 2 shown]
	v_ashrrev_i32_e32 v17, 24, v17
	v_ashrrev_i32_e32 v18, 24, v18
	;; [unrolled: 1-line block ×4, first 2 shown]
	v_cvt_f32_i32_e32 v23, v23
	v_cvt_f32_i32_e32 v26, v26
	;; [unrolled: 1-line block ×4, first 2 shown]
	v_ashrrev_i32_e32 v6, 24, v6
	v_cvt_f32_i32_e32 v21, v35
	v_fmac_f32_e32 v11, v22, v34
	v_fmac_f32_e32 v12, v28, v34
	;; [unrolled: 1-line block ×4, first 2 shown]
	v_cvt_f32_i32_e32 v17, v17
	v_cvt_f32_i32_e32 v18, v18
	;; [unrolled: 1-line block ×5, first 2 shown]
	v_fmac_f32_e32 v11, v23, v21
	v_fmac_f32_e32 v12, v29, v21
	;; [unrolled: 1-line block ×3, first 2 shown]
	s_delay_alu instid0(VALU_DEP_3) | instskip(NEXT) | instid1(VALU_DEP_3)
	v_dual_fmac_f32 v10, v32, v21 :: v_dual_fmac_f32 v11, v17, v6
	v_dual_fmac_f32 v12, v19, v6 :: v_dual_add_nc_u32 v5, 64, v5
	s_delay_alu instid0(VALU_DEP_3) | instskip(NEXT) | instid1(VALU_DEP_3)
	v_fmac_f32_e32 v13, v18, v6
	v_fmac_f32_e32 v10, v20, v6
	s_wait_alu 0xfffe
	s_and_not1_b32 exec_lo, exec_lo, s4
	s_cbranch_execnz .LBB79_17
; %bb.18:
	s_or_b32 exec_lo, exec_lo, s4
.LBB79_19:
	s_wait_alu 0xfffe
	s_or_b32 exec_lo, exec_lo, s3
	s_delay_alu instid0(SALU_CYCLE_1)
	s_mov_b32 s11, exec_lo
	v_cmpx_lt_u32_e32 0xbf, v1
	s_cbranch_execz .LBB79_23
; %bb.20:
	s_mov_b32 s13, 0
.LBB79_21:                              ; =>This Inner Loop Header: Depth=1
	v_ashrrev_i32_e32 v6, 31, v5
	s_delay_alu instid0(VALU_DEP_1) | instskip(NEXT) | instid1(VALU_DEP_1)
	v_lshlrev_b64_e32 v[16:17], 2, v[5:6]
	v_add_co_u32 v16, vcc_lo, s8, v16
	s_wait_alu 0xfffd
	s_delay_alu instid0(VALU_DEP_2)
	v_add_co_ci_u32_e64 v17, null, s9, v17, vcc_lo
	s_clause 0x3
	global_load_b32 v1, v[16:17], off
	global_load_b32 v6, v[16:17], off offset:256
	global_load_b32 v32, v[16:17], off offset:512
	;; [unrolled: 1-line block ×3, first 2 shown]
	s_clause 0x3
	global_load_b128 v[16:19], v[7:8], off
	global_load_b128 v[20:23], v[7:8], off offset:1024
	global_load_b128 v[24:27], v[7:8], off offset:2048
	;; [unrolled: 1-line block ×3, first 2 shown]
	s_wait_loadcnt 0x7
	v_subrev_nc_u32_e32 v1, s16, v1
	s_wait_loadcnt 0x6
	v_subrev_nc_u32_e32 v6, s16, v6
	;; [unrolled: 2-line block ×4, first 2 shown]
	s_wait_loadcnt 0x3
	v_bfe_i32 v43, v19, 0, 8
	v_bfe_i32 v41, v18, 8, 8
	v_lshlrev_b32_e32 v6, 2, v6
	v_lshlrev_b32_e32 v34, 2, v32
	v_bfe_i32 v44, v19, 8, 8
	v_cvt_f32_i32_e32 v43, v43
	v_lshlrev_b32_e32 v33, 2, v33
	v_ashrrev_i32_e32 v37, 31, v6
	s_wait_kmcnt 0x0
	v_add_co_u32 v32, vcc_lo, s6, v6
	v_ashrrev_i32_e32 v6, 31, v34
	v_ashrrev_i32_e32 v40, 31, v33
	v_add_co_u32 v36, s4, s6, v33
	s_wait_alu 0xfffd
	v_add_co_ci_u32_e64 v33, null, s7, v37, vcc_lo
	s_wait_alu 0xf1ff
	v_add_co_ci_u32_e64 v37, null, s7, v40, s4
	v_bfe_i32 v40, v18, 0, 8
	v_add_co_u32 v34, s3, s6, v34
	v_bfe_i32 v42, v18, 16, 8
	v_cvt_f32_i32_e32 v41, v41
	s_delay_alu instid0(VALU_DEP_4)
	v_cvt_f32_i32_e32 v40, v40
	v_lshlrev_b32_e32 v1, 2, v1
	v_cvt_f32_i32_e32 v44, v44
	v_ashrrev_i32_e32 v18, 24, v18
	v_bfe_i32 v45, v19, 16, 8
	v_cvt_f32_i32_e32 v42, v42
	v_ashrrev_i32_e32 v35, 31, v1
	v_add_co_u32 v38, s5, s6, v1
	v_ashrrev_i32_e32 v19, 24, v19
	s_wait_loadcnt 0x2
	v_bfe_i32 v46, v20, 0, 8
	s_wait_alu 0xf1ff
	v_add_co_ci_u32_e64 v39, null, s7, v35, s5
	v_add_co_ci_u32_e64 v35, null, s7, v6, s3
	s_clause 0x3
	global_load_b32 v1, v[38:39], off
	global_load_b32 v6, v[32:33], off
	;; [unrolled: 1-line block ×4, first 2 shown]
	v_bfe_i32 v34, v16, 0, 8
	v_bfe_i32 v35, v16, 8, 8
	;; [unrolled: 1-line block ×5, first 2 shown]
	v_cvt_f32_i32_e32 v34, v34
	v_cvt_f32_i32_e32 v35, v35
	;; [unrolled: 1-line block ×3, first 2 shown]
	v_ashrrev_i32_e32 v16, 24, v16
	v_bfe_i32 v39, v17, 16, 8
	v_cvt_f32_i32_e32 v36, v36
	v_cvt_f32_i32_e32 v38, v38
	v_ashrrev_i32_e32 v17, 24, v17
	v_bfe_i32 v52, v22, 0, 8
	v_bfe_i32 v53, v22, 8, 8
	v_cvt_f32_i32_e32 v16, v16
	v_cvt_f32_i32_e32 v39, v39
	v_cvt_f32_i32_e32 v18, v18
	v_cvt_f32_i32_e32 v45, v45
	v_bfe_i32 v47, v20, 8, 8
	v_bfe_i32 v49, v21, 0, 8
	;; [unrolled: 1-line block ×3, first 2 shown]
	v_cvt_f32_i32_e32 v17, v17
	v_cvt_f32_i32_e32 v19, v19
	;; [unrolled: 1-line block ×5, first 2 shown]
	v_bfe_i32 v48, v20, 16, 8
	v_bfe_i32 v50, v21, 8, 8
	;; [unrolled: 1-line block ×4, first 2 shown]
	v_cvt_f32_i32_e32 v47, v47
	v_cvt_f32_i32_e32 v49, v49
	;; [unrolled: 1-line block ×3, first 2 shown]
	v_ashrrev_i32_e32 v20, 24, v20
	v_bfe_i32 v51, v21, 16, 8
	v_ashrrev_i32_e32 v22, 24, v22
	v_bfe_i32 v57, v23, 16, 8
	v_cvt_f32_i32_e32 v48, v48
	v_cvt_f32_i32_e32 v50, v50
	;; [unrolled: 1-line block ×4, first 2 shown]
	v_ashrrev_i32_e32 v21, 24, v21
	v_ashrrev_i32_e32 v23, 24, v23
	s_wait_loadcnt 0x5
	v_bfe_i32 v58, v24, 0, 8
	v_bfe_i32 v64, v26, 0, 8
	v_cvt_f32_i32_e32 v20, v20
	v_cvt_f32_i32_e32 v51, v51
	;; [unrolled: 1-line block ×4, first 2 shown]
	v_bfe_i32 v61, v25, 0, 8
	v_bfe_i32 v67, v27, 0, 8
	v_cvt_f32_i32_e32 v21, v21
	v_cvt_f32_i32_e32 v23, v23
	;; [unrolled: 1-line block ×4, first 2 shown]
	v_bfe_i32 v59, v24, 8, 8
	v_bfe_i32 v62, v25, 8, 8
	;; [unrolled: 1-line block ×4, first 2 shown]
	v_cvt_f32_i32_e32 v61, v61
	v_cvt_f32_i32_e32 v67, v67
	v_bfe_i32 v60, v24, 16, 8
	v_bfe_i32 v63, v25, 16, 8
	;; [unrolled: 1-line block ×4, first 2 shown]
	v_cvt_f32_i32_e32 v59, v59
	v_cvt_f32_i32_e32 v62, v62
	;; [unrolled: 1-line block ×4, first 2 shown]
	v_ashrrev_i32_e32 v24, 24, v24
	v_ashrrev_i32_e32 v25, 24, v25
	;; [unrolled: 1-line block ×4, first 2 shown]
	v_cvt_f32_i32_e32 v60, v60
	v_cvt_f32_i32_e32 v63, v63
	;; [unrolled: 1-line block ×4, first 2 shown]
	s_wait_loadcnt 0x4
	v_bfe_i32 v70, v28, 0, 8
	v_bfe_i32 v73, v29, 0, 8
	v_bfe_i32 v76, v30, 0, 8
	v_bfe_i32 v79, v31, 0, 8
	v_cvt_f32_i32_e32 v24, v24
	v_cvt_f32_i32_e32 v25, v25
	v_cvt_f32_i32_e32 v26, v26
	v_cvt_f32_i32_e32 v27, v27
	v_bfe_i32 v71, v28, 8, 8
	v_bfe_i32 v74, v29, 8, 8
	v_bfe_i32 v77, v30, 8, 8
	v_bfe_i32 v80, v31, 8, 8
	v_cvt_f32_i32_e32 v70, v70
	v_cvt_f32_i32_e32 v73, v73
	v_cvt_f32_i32_e32 v76, v76
	v_cvt_f32_i32_e32 v79, v79
	;; [unrolled: 8-line block ×3, first 2 shown]
	v_ashrrev_i32_e32 v28, 24, v28
	v_ashrrev_i32_e32 v29, 24, v29
	;; [unrolled: 1-line block ×4, first 2 shown]
	v_cvt_f32_i32_e32 v72, v72
	v_cvt_f32_i32_e32 v75, v75
	;; [unrolled: 1-line block ×8, first 2 shown]
	v_add_co_u32 v7, vcc_lo, 0x1000, v7
	s_wait_alu 0xfffd
	v_add_co_ci_u32_e64 v8, null, 0, v8, vcc_lo
	s_wait_loadcnt 0x3
	v_bfe_i32 v82, v1, 0, 8
	v_bfe_i32 v83, v1, 8, 8
	;; [unrolled: 1-line block ×3, first 2 shown]
	v_ashrrev_i32_e32 v1, 24, v1
	s_wait_loadcnt 0x2
	v_bfe_i32 v85, v6, 0, 8
	v_cvt_f32_i32_e32 v82, v82
	v_cvt_f32_i32_e32 v83, v83
	v_bfe_i32 v86, v6, 8, 8
	v_cvt_f32_i32_e32 v1, v1
	v_bfe_i32 v87, v6, 16, 8
	v_fmac_f32_e32 v12, v40, v82
	v_fmac_f32_e32 v10, v43, v82
	;; [unrolled: 1-line block ×3, first 2 shown]
	v_add_nc_u32_e32 v5, 0x100, v5
	v_fmac_f32_e32 v13, v37, v82
	v_cvt_f32_i32_e32 v34, v84
	v_fmac_f32_e32 v12, v41, v83
	v_fmac_f32_e32 v10, v44, v83
	;; [unrolled: 1-line block ×4, first 2 shown]
	v_ashrrev_i32_e32 v6, 24, v6
	v_fmac_f32_e32 v12, v42, v34
	v_fmac_f32_e32 v10, v45, v34
	;; [unrolled: 1-line block ×4, first 2 shown]
	v_cvt_f32_i32_e32 v34, v85
	v_fmac_f32_e32 v12, v18, v1
	s_wait_loadcnt 0x1
	v_bfe_i32 v88, v32, 0, 8
	v_fmac_f32_e32 v11, v16, v1
	v_fmac_f32_e32 v13, v17, v1
	;; [unrolled: 1-line block ×3, first 2 shown]
	v_cvt_f32_i32_e32 v1, v86
	v_fmac_f32_e32 v12, v52, v34
	v_fmac_f32_e32 v11, v46, v34
	v_cvt_f32_i32_e32 v16, v87
	v_fmac_f32_e32 v10, v55, v34
	v_fmac_f32_e32 v13, v49, v34
	;; [unrolled: 1-line block ×4, first 2 shown]
	v_bfe_i32 v89, v32, 8, 8
	v_fmac_f32_e32 v10, v56, v1
	v_fmac_f32_e32 v13, v50, v1
	v_cvt_f32_i32_e32 v1, v6
	v_fmac_f32_e32 v12, v54, v16
	v_fmac_f32_e32 v11, v48, v16
	v_cvt_f32_i32_e32 v6, v88
	v_bfe_i32 v90, v32, 16, 8
	v_ashrrev_i32_e32 v32, 24, v32
	v_dual_fmac_f32 v12, v22, v1 :: v_dual_fmac_f32 v13, v51, v16
	v_dual_fmac_f32 v10, v57, v16 :: v_dual_fmac_f32 v11, v20, v1
	s_wait_loadcnt 0x0
	v_bfe_i32 v91, v33, 0, 8
	s_delay_alu instid0(VALU_DEP_3)
	v_fmac_f32_e32 v12, v64, v6
	v_bfe_i32 v92, v33, 8, 8
	v_dual_fmac_f32 v10, v23, v1 :: v_dual_fmac_f32 v11, v58, v6
	v_fmac_f32_e32 v13, v21, v1
	v_cvt_f32_i32_e32 v1, v89
	v_bfe_i32 v93, v33, 16, 8
	s_delay_alu instid0(VALU_DEP_4)
	v_fmac_f32_e32 v10, v67, v6
	v_ashrrev_i32_e32 v33, 24, v33
	v_fmac_f32_e32 v13, v61, v6
	v_cvt_f32_i32_e32 v6, v90
	v_fmac_f32_e32 v12, v65, v1
	v_fmac_f32_e32 v11, v59, v1
	;; [unrolled: 1-line block ×4, first 2 shown]
	v_cvt_f32_i32_e32 v1, v32
	v_fmac_f32_e32 v12, v66, v6
	v_fmac_f32_e32 v11, v60, v6
	;; [unrolled: 1-line block ×4, first 2 shown]
	v_cvt_f32_i32_e32 v6, v91
	v_fmac_f32_e32 v12, v26, v1
	v_cmp_ge_i32_e32 vcc_lo, v5, v14
	v_fmac_f32_e32 v10, v27, v1
	v_fmac_f32_e32 v11, v24, v1
	s_delay_alu instid0(VALU_DEP_4) | instskip(SKIP_1) | instid1(VALU_DEP_4)
	v_dual_fmac_f32 v13, v25, v1 :: v_dual_fmac_f32 v12, v76, v6
	v_cvt_f32_i32_e32 v1, v92
	v_fmac_f32_e32 v10, v79, v6
	s_delay_alu instid0(VALU_DEP_4) | instskip(NEXT) | instid1(VALU_DEP_4)
	v_fmac_f32_e32 v11, v70, v6
	v_fmac_f32_e32 v13, v73, v6
	v_cvt_f32_i32_e32 v6, v93
	v_fmac_f32_e32 v12, v77, v1
	v_fmac_f32_e32 v10, v80, v1
	;; [unrolled: 1-line block ×4, first 2 shown]
	v_cvt_f32_i32_e32 v1, v33
	v_fmac_f32_e32 v12, v78, v6
	v_fmac_f32_e32 v10, v81, v6
	;; [unrolled: 1-line block ×4, first 2 shown]
	s_or_b32 s13, vcc_lo, s13
	v_fmac_f32_e32 v12, v30, v1
	v_fmac_f32_e32 v10, v31, v1
	;; [unrolled: 1-line block ×4, first 2 shown]
	s_and_not1_b32 exec_lo, exec_lo, s13
	s_cbranch_execnz .LBB79_21
; %bb.22:
	s_or_b32 exec_lo, exec_lo, s13
.LBB79_23:
	s_wait_alu 0xfffe
	s_or_b32 exec_lo, exec_lo, s11
.LBB79_24:
	s_wait_alu 0xfffe
	s_or_b32 exec_lo, exec_lo, s10
	s_cbranch_execz .LBB79_26
	s_branch .LBB79_37
.LBB79_25:
                                        ; implicit-def: $vgpr10
                                        ; implicit-def: $vgpr12
                                        ; implicit-def: $vgpr13
                                        ; implicit-def: $vgpr11
.LBB79_26:
	v_dual_mov_b32 v10, 0 :: v_dual_mov_b32 v13, 0
	v_dual_mov_b32 v12, 0 :: v_dual_mov_b32 v11, 0
	s_and_saveexec_b32 s5, s2
	s_cbranch_execz .LBB79_36
; %bb.27:
	v_dual_mov_b32 v12, 0 :: v_dual_add_nc_u32 v1, v15, v9
	v_not_b32_e32 v5, v15
	v_mov_b32_e32 v11, 0
	v_mov_b32_e32 v13, 0
	s_delay_alu instid0(VALU_DEP_4) | instskip(SKIP_1) | instid1(VALU_DEP_1)
	v_subrev_nc_u32_e32 v1, s16, v1
	s_mov_b32 s2, exec_lo
	v_dual_mov_b32 v10, 0 :: v_dual_add_nc_u32 v1, 64, v1
	s_delay_alu instid0(VALU_DEP_1) | instskip(NEXT) | instid1(VALU_DEP_1)
	v_max_i32_e32 v1, v1, v14
	v_add3_u32 v1, s16, v1, v5
	s_delay_alu instid0(VALU_DEP_1) | instskip(NEXT) | instid1(VALU_DEP_1)
	v_sub_nc_u32_e32 v5, v1, v9
	v_and_b32_e32 v1, 0xc0, v5
	s_delay_alu instid0(VALU_DEP_1)
	v_cmpx_ne_u32_e32 0xc0, v1
	s_cbranch_execz .LBB79_31
; %bb.28:
	v_lshrrev_b32_e32 v1, 6, v5
	v_mov_b32_e32 v13, 0
	v_mov_b32_e32 v11, 0
	s_mov_b32 s3, 0
	s_delay_alu instid0(VALU_DEP_3) | instskip(NEXT) | instid1(VALU_DEP_1)
	v_dual_mov_b32 v10, 0 :: v_dual_add_nc_u32 v1, 1, v1
	v_dual_mov_b32 v12, 0 :: v_dual_and_b32 v1, 3, v1
	s_delay_alu instid0(VALU_DEP_1)
	v_sub_nc_u32_e32 v6, 0, v1
.LBB79_29:                              ; =>This Inner Loop Header: Depth=1
	v_ashrrev_i32_e32 v1, 31, v0
	s_delay_alu instid0(VALU_DEP_2) | instskip(SKIP_2) | instid1(VALU_DEP_2)
	v_add_co_u32 v6, s4, v6, 1
	s_wait_alu 0xfffe
	s_or_b32 s3, s4, s3
	v_lshlrev_b64_e32 v[7:8], 2, v[0:1]
	v_add_nc_u32_e32 v0, 64, v0
	s_delay_alu instid0(VALU_DEP_2) | instskip(SKIP_1) | instid1(VALU_DEP_3)
	v_add_co_u32 v7, vcc_lo, s8, v7
	s_wait_alu 0xfffd
	v_add_co_ci_u32_e64 v8, null, s9, v8, vcc_lo
	global_load_b32 v1, v[7:8], off
	s_wait_loadcnt 0x0
	v_subrev_nc_u32_e32 v1, s16, v1
	s_delay_alu instid0(VALU_DEP_1) | instskip(NEXT) | instid1(VALU_DEP_1)
	v_lshlrev_b32_e32 v1, 2, v1
	v_ashrrev_i32_e32 v8, 31, v1
	s_wait_kmcnt 0x0
	v_add_co_u32 v7, vcc_lo, s6, v1
	s_wait_alu 0xfffd
	s_delay_alu instid0(VALU_DEP_2)
	v_add_co_ci_u32_e64 v8, null, s7, v8, vcc_lo
	global_load_b128 v[15:18], v[2:3], off
	global_load_b32 v1, v[7:8], off
	v_add_co_u32 v2, vcc_lo, 0x400, v2
	s_wait_alu 0xfffd
	v_add_co_ci_u32_e64 v3, null, 0, v3, vcc_lo
	s_wait_loadcnt 0x1
	v_bfe_i32 v7, v15, 0, 8
	v_bfe_i32 v8, v15, 8, 8
	;; [unrolled: 1-line block ×3, first 2 shown]
	v_ashrrev_i32_e32 v15, 24, v15
	s_wait_loadcnt 0x0
	v_bfe_i32 v29, v1, 0, 8
	v_bfe_i32 v20, v16, 0, 8
	;; [unrolled: 1-line block ×4, first 2 shown]
	v_ashrrev_i32_e32 v16, 24, v16
	v_cvt_f32_i32_e32 v15, v15
	v_bfe_i32 v30, v1, 8, 8
	v_cvt_f32_i32_e32 v29, v29
	v_cvt_f32_i32_e32 v7, v7
	v_cvt_f32_i32_e32 v19, v19
	v_cvt_f32_i32_e32 v21, v21
	v_cvt_f32_i32_e32 v16, v16
	v_cvt_f32_i32_e32 v30, v30
	v_fmac_f32_e32 v10, v15, v29
	v_bfe_i32 v23, v17, 0, 8
	v_bfe_i32 v25, v17, 16, 8
	v_cvt_f32_i32_e32 v8, v8
	v_cvt_f32_i32_e32 v20, v20
	;; [unrolled: 1-line block ×3, first 2 shown]
	v_bfe_i32 v31, v1, 16, 8
	v_dual_fmac_f32 v11, v7, v29 :: v_dual_fmac_f32 v10, v16, v30
	v_fmac_f32_e32 v12, v19, v29
	v_bfe_i32 v24, v17, 8, 8
	v_ashrrev_i32_e32 v17, 24, v17
	v_bfe_i32 v26, v18, 0, 8
	v_cvt_f32_i32_e32 v23, v23
	v_cvt_f32_i32_e32 v25, v25
	v_ashrrev_i32_e32 v1, 24, v1
	v_cvt_f32_i32_e32 v7, v31
	v_fmac_f32_e32 v11, v20, v30
	v_dual_fmac_f32 v12, v22, v30 :: v_dual_fmac_f32 v13, v8, v29
	v_bfe_i32 v27, v18, 8, 8
	v_bfe_i32 v28, v18, 16, 8
	v_ashrrev_i32_e32 v18, 24, v18
	v_cvt_f32_i32_e32 v24, v24
	v_cvt_f32_i32_e32 v17, v17
	;; [unrolled: 1-line block ×4, first 2 shown]
	v_fmac_f32_e32 v11, v23, v7
	v_fmac_f32_e32 v12, v25, v7
	;; [unrolled: 1-line block ×3, first 2 shown]
	v_cvt_f32_i32_e32 v27, v27
	v_cvt_f32_i32_e32 v28, v28
	;; [unrolled: 1-line block ×3, first 2 shown]
	v_dual_fmac_f32 v10, v17, v7 :: v_dual_fmac_f32 v11, v26, v1
	v_fmac_f32_e32 v13, v24, v7
	s_delay_alu instid0(VALU_DEP_4) | instskip(NEXT) | instid1(VALU_DEP_3)
	v_fmac_f32_e32 v12, v28, v1
	v_fmac_f32_e32 v10, v18, v1
	s_delay_alu instid0(VALU_DEP_3)
	v_fmac_f32_e32 v13, v27, v1
	s_wait_alu 0xfffe
	s_and_not1_b32 exec_lo, exec_lo, s3
	s_cbranch_execnz .LBB79_29
; %bb.30:
	s_or_b32 exec_lo, exec_lo, s3
.LBB79_31:
	s_wait_alu 0xfffe
	s_or_b32 exec_lo, exec_lo, s2
	s_delay_alu instid0(SALU_CYCLE_1)
	s_mov_b32 s10, exec_lo
	v_cmpx_lt_u32_e32 0xbf, v5
	s_cbranch_execz .LBB79_35
; %bb.32:
	s_mov_b32 s11, 0
.LBB79_33:                              ; =>This Inner Loop Header: Depth=1
	v_ashrrev_i32_e32 v1, 31, v0
	s_delay_alu instid0(VALU_DEP_1) | instskip(NEXT) | instid1(VALU_DEP_1)
	v_lshlrev_b64_e32 v[5:6], 2, v[0:1]
	v_add_co_u32 v5, vcc_lo, s8, v5
	s_wait_alu 0xfffd
	s_delay_alu instid0(VALU_DEP_2)
	v_add_co_ci_u32_e64 v6, null, s9, v6, vcc_lo
	s_clause 0x3
	global_load_b32 v1, v[5:6], off
	global_load_b32 v27, v[5:6], off offset:256
	global_load_b32 v28, v[5:6], off offset:512
	;; [unrolled: 1-line block ×3, first 2 shown]
	s_clause 0x3
	global_load_b128 v[5:8], v[2:3], off
	global_load_b128 v[15:18], v[2:3], off offset:1024
	global_load_b128 v[19:22], v[2:3], off offset:2048
	;; [unrolled: 1-line block ×3, first 2 shown]
	s_wait_loadcnt 0x7
	v_subrev_nc_u32_e32 v1, s16, v1
	s_wait_loadcnt 0x6
	v_subrev_nc_u32_e32 v27, s16, v27
	;; [unrolled: 2-line block ×4, first 2 shown]
	s_wait_loadcnt 0x3
	v_bfe_i32 v38, v7, 16, 8
	v_lshlrev_b32_e32 v1, 2, v1
	v_lshlrev_b32_e32 v27, 2, v27
	;; [unrolled: 1-line block ×4, first 2 shown]
	v_bfe_i32 v39, v8, 0, 8
	v_ashrrev_i32_e32 v32, 31, v1
	v_ashrrev_i32_e32 v35, 31, v27
	;; [unrolled: 1-line block ×4, first 2 shown]
	s_wait_kmcnt 0x0
	v_add_co_u32 v33, s4, s6, v1
	v_add_co_u32 v27, vcc_lo, s6, v27
	v_add_co_u32 v29, s2, s6, v28
	s_wait_alu 0xf1ff
	v_add_co_ci_u32_e64 v34, null, s7, v32, s4
	v_add_co_u32 v31, s3, s6, v30
	s_wait_alu 0xfffd
	v_add_co_ci_u32_e64 v28, null, s7, v35, vcc_lo
	v_add_co_ci_u32_e64 v30, null, s7, v36, s2
	s_wait_alu 0xf1ff
	v_add_co_ci_u32_e64 v32, null, s7, v37, s3
	s_clause 0x3
	global_load_b32 v1, v[33:34], off
	global_load_b32 v27, v[27:28], off
	;; [unrolled: 1-line block ×4, first 2 shown]
	v_bfe_i32 v30, v5, 0, 8
	v_bfe_i32 v31, v5, 8, 8
	;; [unrolled: 1-line block ×3, first 2 shown]
	v_ashrrev_i32_e32 v5, 24, v5
	v_bfe_i32 v33, v6, 0, 8
	v_bfe_i32 v34, v6, 8, 8
	;; [unrolled: 1-line block ×3, first 2 shown]
	v_ashrrev_i32_e32 v6, 24, v6
	v_cvt_f32_i32_e32 v30, v30
	v_cvt_f32_i32_e32 v31, v31
	;; [unrolled: 1-line block ×4, first 2 shown]
	v_bfe_i32 v36, v7, 0, 8
	v_bfe_i32 v37, v7, 8, 8
	v_ashrrev_i32_e32 v7, 24, v7
	v_cvt_f32_i32_e32 v33, v33
	v_cvt_f32_i32_e32 v34, v34
	;; [unrolled: 1-line block ×4, first 2 shown]
	v_bfe_i32 v40, v8, 8, 8
	v_bfe_i32 v41, v8, 16, 8
	v_ashrrev_i32_e32 v8, 24, v8
	v_cvt_f32_i32_e32 v36, v36
	v_cvt_f32_i32_e32 v37, v37
	v_cvt_f32_i32_e32 v38, v38
	v_cvt_f32_i32_e32 v7, v7
	s_wait_loadcnt 0x6
	v_bfe_i32 v42, v15, 0, 8
	v_bfe_i32 v43, v15, 8, 8
	v_bfe_i32 v44, v15, 16, 8
	v_ashrrev_i32_e32 v15, 24, v15
	v_cvt_f32_i32_e32 v39, v39
	v_cvt_f32_i32_e32 v40, v40
	v_cvt_f32_i32_e32 v41, v41
	v_cvt_f32_i32_e32 v8, v8
	v_bfe_i32 v45, v16, 0, 8
	v_bfe_i32 v46, v16, 8, 8
	v_bfe_i32 v47, v16, 16, 8
	v_ashrrev_i32_e32 v16, 24, v16
	v_cvt_f32_i32_e32 v42, v42
	v_cvt_f32_i32_e32 v43, v43
	v_cvt_f32_i32_e32 v44, v44
	v_cvt_f32_i32_e32 v15, v15
	v_bfe_i32 v48, v17, 0, 8
	v_bfe_i32 v49, v17, 8, 8
	v_bfe_i32 v50, v17, 16, 8
	v_ashrrev_i32_e32 v17, 24, v17
	v_cvt_f32_i32_e32 v45, v45
	v_cvt_f32_i32_e32 v46, v46
	v_cvt_f32_i32_e32 v47, v47
	v_cvt_f32_i32_e32 v16, v16
	v_bfe_i32 v51, v18, 0, 8
	v_bfe_i32 v52, v18, 8, 8
	v_bfe_i32 v53, v18, 16, 8
	v_ashrrev_i32_e32 v18, 24, v18
	v_cvt_f32_i32_e32 v48, v48
	v_cvt_f32_i32_e32 v49, v49
	v_cvt_f32_i32_e32 v50, v50
	v_cvt_f32_i32_e32 v17, v17
	s_wait_loadcnt 0x5
	v_bfe_i32 v54, v19, 0, 8
	v_bfe_i32 v55, v19, 8, 8
	v_bfe_i32 v56, v19, 16, 8
	v_ashrrev_i32_e32 v19, 24, v19
	v_cvt_f32_i32_e32 v51, v51
	v_cvt_f32_i32_e32 v52, v52
	v_cvt_f32_i32_e32 v53, v53
	v_cvt_f32_i32_e32 v18, v18
	v_bfe_i32 v57, v20, 0, 8
	v_bfe_i32 v58, v20, 8, 8
	v_bfe_i32 v59, v20, 16, 8
	v_ashrrev_i32_e32 v20, 24, v20
	v_cvt_f32_i32_e32 v54, v54
	v_cvt_f32_i32_e32 v55, v55
	v_cvt_f32_i32_e32 v56, v56
	v_cvt_f32_i32_e32 v19, v19
	v_bfe_i32 v60, v21, 0, 8
	v_bfe_i32 v61, v21, 8, 8
	v_bfe_i32 v62, v21, 16, 8
	v_ashrrev_i32_e32 v21, 24, v21
	v_cvt_f32_i32_e32 v57, v57
	v_cvt_f32_i32_e32 v58, v58
	v_cvt_f32_i32_e32 v59, v59
	v_cvt_f32_i32_e32 v20, v20
	v_bfe_i32 v63, v22, 0, 8
	;; [unrolled: 33-line block ×3, first 2 shown]
	v_bfe_i32 v76, v26, 8, 8
	v_bfe_i32 v77, v26, 16, 8
	v_ashrrev_i32_e32 v26, 24, v26
	v_cvt_f32_i32_e32 v72, v72
	v_cvt_f32_i32_e32 v73, v73
	;; [unrolled: 1-line block ×8, first 2 shown]
	v_add_co_u32 v2, vcc_lo, 0x1000, v2
	s_wait_alu 0xfffd
	v_add_co_ci_u32_e64 v3, null, 0, v3, vcc_lo
	s_wait_loadcnt 0x3
	v_bfe_i32 v78, v1, 0, 8
	v_bfe_i32 v79, v1, 8, 8
	;; [unrolled: 1-line block ×3, first 2 shown]
	v_ashrrev_i32_e32 v1, 24, v1
	s_wait_loadcnt 0x2
	v_bfe_i32 v81, v27, 0, 8
	v_cvt_f32_i32_e32 v78, v78
	v_cvt_f32_i32_e32 v79, v79
	v_bfe_i32 v82, v27, 8, 8
	v_cvt_f32_i32_e32 v1, v1
	v_bfe_i32 v83, v27, 16, 8
	v_fmac_f32_e32 v11, v30, v78
	v_fmac_f32_e32 v13, v31, v78
	;; [unrolled: 1-line block ×4, first 2 shown]
	s_delay_alu instid0(VALU_DEP_4) | instskip(SKIP_1) | instid1(VALU_DEP_4)
	v_dual_fmac_f32 v11, v33, v79 :: v_dual_add_nc_u32 v0, 0x100, v0
	v_cvt_f32_i32_e32 v5, v80
	v_fmac_f32_e32 v12, v35, v79
	s_delay_alu instid0(VALU_DEP_4)
	v_fmac_f32_e32 v10, v6, v79
	v_fmac_f32_e32 v13, v34, v79
	v_ashrrev_i32_e32 v27, 24, v27
	v_fmac_f32_e32 v11, v36, v5
	v_fmac_f32_e32 v12, v38, v5
	v_fmac_f32_e32 v10, v7, v5
	v_fmac_f32_e32 v13, v37, v5
	v_cvt_f32_i32_e32 v5, v81
	v_fmac_f32_e32 v11, v39, v1
	v_fmac_f32_e32 v12, v41, v1
	v_fmac_f32_e32 v10, v8, v1
	v_fmac_f32_e32 v13, v40, v1
	v_cvt_f32_i32_e32 v1, v82
	;; [unrolled: 5-line block ×3, first 2 shown]
	v_fmac_f32_e32 v11, v45, v1
	v_fmac_f32_e32 v12, v47, v1
	;; [unrolled: 1-line block ×4, first 2 shown]
	s_wait_loadcnt 0x1
	v_bfe_i32 v84, v28, 0, 8
	v_cvt_f32_i32_e32 v1, v27
	v_fmac_f32_e32 v11, v48, v5
	v_fmac_f32_e32 v12, v50, v5
	v_fmac_f32_e32 v13, v49, v5
	v_fmac_f32_e32 v10, v17, v5
	v_bfe_i32 v85, v28, 8, 8
	v_cvt_f32_i32_e32 v5, v84
	v_fmac_f32_e32 v11, v51, v1
	v_fmac_f32_e32 v13, v52, v1
	v_fmac_f32_e32 v12, v53, v1
	v_fmac_f32_e32 v10, v18, v1
	;; [unrolled: 6-line block ×3, first 2 shown]
	v_ashrrev_i32_e32 v28, 24, v28
	v_cvt_f32_i32_e32 v5, v86
	v_fmac_f32_e32 v11, v57, v1
	v_fmac_f32_e32 v13, v58, v1
	;; [unrolled: 1-line block ×4, first 2 shown]
	s_wait_loadcnt 0x0
	v_bfe_i32 v87, v29, 0, 8
	v_cvt_f32_i32_e32 v1, v28
	v_fmac_f32_e32 v11, v60, v5
	v_fmac_f32_e32 v13, v61, v5
	v_fmac_f32_e32 v12, v62, v5
	v_fmac_f32_e32 v10, v21, v5
	v_bfe_i32 v88, v29, 8, 8
	v_cvt_f32_i32_e32 v5, v87
	v_fmac_f32_e32 v11, v63, v1
	v_fmac_f32_e32 v13, v64, v1
	v_fmac_f32_e32 v12, v65, v1
	v_fmac_f32_e32 v10, v22, v1
	;; [unrolled: 6-line block ×3, first 2 shown]
	v_ashrrev_i32_e32 v29, 24, v29
	v_cvt_f32_i32_e32 v5, v89
	v_fmac_f32_e32 v11, v69, v1
	v_fmac_f32_e32 v13, v70, v1
	;; [unrolled: 1-line block ×4, first 2 shown]
	v_cvt_f32_i32_e32 v1, v29
	v_fmac_f32_e32 v11, v72, v5
	v_fmac_f32_e32 v13, v73, v5
	;; [unrolled: 1-line block ×4, first 2 shown]
	v_cmp_ge_i32_e32 vcc_lo, v0, v14
	v_fmac_f32_e32 v11, v75, v1
	v_fmac_f32_e32 v13, v76, v1
	;; [unrolled: 1-line block ×4, first 2 shown]
	s_wait_alu 0xfffe
	s_or_b32 s11, vcc_lo, s11
	s_wait_alu 0xfffe
	s_and_not1_b32 exec_lo, exec_lo, s11
	s_cbranch_execnz .LBB79_33
; %bb.34:
	s_or_b32 exec_lo, exec_lo, s11
.LBB79_35:
	s_wait_alu 0xfffe
	s_or_b32 exec_lo, exec_lo, s10
.LBB79_36:
	s_wait_alu 0xfffe
	s_or_b32 exec_lo, exec_lo, s5
.LBB79_37:
	v_mbcnt_lo_u32_b32 v0, -1, 0
	s_mov_b32 s2, -1
	s_delay_alu instid0(VALU_DEP_1) | instskip(SKIP_1) | instid1(VALU_DEP_2)
	v_or_b32_e32 v1, 32, v0
	v_xor_b32_e32 v6, 16, v0
	v_cmp_gt_i32_e32 vcc_lo, 32, v1
	s_wait_alu 0xfffd
	v_cndmask_b32_e32 v1, v0, v1, vcc_lo
	s_delay_alu instid0(VALU_DEP_3) | instskip(SKIP_2) | instid1(VALU_DEP_1)
	v_cmp_gt_i32_e32 vcc_lo, 32, v6
	s_wait_alu 0xfffd
	v_cndmask_b32_e32 v6, v0, v6, vcc_lo
	v_lshlrev_b32_e32 v6, 2, v6
	v_lshlrev_b32_e32 v1, 2, v1
	ds_bpermute_b32 v2, v1, v11
	s_wait_dscnt 0x0
	v_add_f32_e32 v2, v11, v2
	ds_bpermute_b32 v3, v1, v13
	ds_bpermute_b32 v5, v1, v12
	;; [unrolled: 1-line block ×3, first 2 shown]
	v_xor_b32_e32 v11, 8, v0
	ds_bpermute_b32 v7, v6, v2
	v_cmp_gt_i32_e32 vcc_lo, 32, v11
	s_wait_dscnt 0x3
	v_add_f32_e32 v3, v13, v3
	s_wait_dscnt 0x2
	v_add_f32_e32 v5, v12, v5
	;; [unrolled: 2-line block ×4, first 2 shown]
	ds_bpermute_b32 v8, v6, v3
	ds_bpermute_b32 v10, v6, v5
	;; [unrolled: 1-line block ×3, first 2 shown]
	s_wait_alu 0xfffd
	v_cndmask_b32_e32 v11, v0, v11, vcc_lo
	s_delay_alu instid0(VALU_DEP_1)
	v_lshlrev_b32_e32 v11, 2, v11
	s_wait_dscnt 0x1
	v_add_f32_e32 v5, v5, v10
	s_wait_dscnt 0x0
	v_add_f32_e32 v1, v1, v6
	ds_bpermute_b32 v6, v11, v2
	ds_bpermute_b32 v10, v11, v1
	s_wait_dscnt 0x1
	v_add_f32_e32 v2, v2, v6
	s_wait_dscnt 0x0
	v_add_f32_e32 v1, v1, v10
	v_add_f32_e32 v3, v3, v8
	ds_bpermute_b32 v8, v11, v5
	ds_bpermute_b32 v7, v11, v3
	v_xor_b32_e32 v11, 4, v0
	s_delay_alu instid0(VALU_DEP_1) | instskip(SKIP_2) | instid1(VALU_DEP_1)
	v_cmp_gt_i32_e32 vcc_lo, 32, v11
	s_wait_alu 0xfffd
	v_cndmask_b32_e32 v11, v0, v11, vcc_lo
	v_lshlrev_b32_e32 v11, 2, v11
	s_wait_dscnt 0x1
	v_add_f32_e32 v5, v5, v8
	ds_bpermute_b32 v6, v11, v2
	ds_bpermute_b32 v10, v11, v1
	;; [unrolled: 1-line block ×3, first 2 shown]
	s_wait_dscnt 0x2
	v_add_f32_e32 v2, v2, v6
	s_wait_dscnt 0x1
	v_dual_add_f32 v6, v1, v10 :: v_dual_add_f32 v3, v3, v7
	s_wait_dscnt 0x0
	v_add_f32_e32 v5, v5, v8
	ds_bpermute_b32 v7, v11, v3
	v_xor_b32_e32 v11, 2, v0
	s_delay_alu instid0(VALU_DEP_1) | instskip(SKIP_2) | instid1(VALU_DEP_1)
	v_cmp_gt_i32_e32 vcc_lo, 32, v11
	s_wait_alu 0xfffd
	v_cndmask_b32_e32 v11, v0, v11, vcc_lo
	v_lshlrev_b32_e32 v11, 2, v11
	s_wait_dscnt 0x0
	v_add_f32_e32 v3, v3, v7
	ds_bpermute_b32 v1, v11, v2
	ds_bpermute_b32 v8, v11, v5
	;; [unrolled: 1-line block ×4, first 2 shown]
	v_xor_b32_e32 v11, 1, v0
	s_delay_alu instid0(VALU_DEP_1) | instskip(SKIP_4) | instid1(VALU_DEP_2)
	v_cmp_gt_i32_e32 vcc_lo, 32, v11
	s_wait_alu 0xfffd
	v_cndmask_b32_e32 v0, v0, v11, vcc_lo
	v_cmp_eq_u32_e32 vcc_lo, 63, v9
	s_wait_dscnt 0x3
	v_dual_add_f32 v0, v2, v1 :: v_dual_lshlrev_b32 v11, 2, v0
	s_wait_dscnt 0x0
	v_dual_add_f32 v2, v5, v8 :: v_dual_add_f32 v1, v3, v7
	v_add_f32_e32 v3, v6, v10
	ds_bpermute_b32 v5, v11, v0
	ds_bpermute_b32 v7, v11, v2
	;; [unrolled: 1-line block ×4, first 2 shown]
	s_and_b32 exec_lo, exec_lo, vcc_lo
	s_cbranch_execz .LBB79_10
; %bb.38:
	s_load_b64 s[0:1], s[0:1], 0x50
	s_wait_dscnt 0x1
	v_dual_add_f32 v0, v0, v5 :: v_dual_add_f32 v1, v1, v6
	s_wait_dscnt 0x0
	v_dual_add_f32 v2, v2, v7 :: v_dual_add_f32 v3, v3, v8
	v_lshlrev_b32_e32 v4, 2, v4
	s_delay_alu instid0(VALU_DEP_3) | instskip(NEXT) | instid1(VALU_DEP_3)
	v_dual_mul_f32 v0, s14, v0 :: v_dual_mul_f32 v1, s14, v1
	v_dual_mul_f32 v2, s14, v2 :: v_dual_mul_f32 v3, s14, v3
	s_cmp_eq_f32 s12, 0
	s_cbranch_scc0 .LBB79_40
; %bb.39:
	v_ashrrev_i32_e32 v5, 31, v4
	s_mov_b32 s2, 0
	s_delay_alu instid0(VALU_DEP_1) | instskip(SKIP_1) | instid1(VALU_DEP_1)
	v_lshlrev_b64_e32 v[5:6], 2, v[4:5]
	s_wait_kmcnt 0x0
	v_add_co_u32 v5, vcc_lo, s0, v5
	s_wait_alu 0xfffd
	s_delay_alu instid0(VALU_DEP_2)
	v_add_co_ci_u32_e64 v6, null, s1, v6, vcc_lo
	global_store_b128 v[5:6], v[0:3], off
.LBB79_40:
	s_wait_alu 0xfffe
	s_and_not1_b32 vcc_lo, exec_lo, s2
	s_wait_alu 0xfffe
	s_cbranch_vccnz .LBB79_10
; %bb.41:
	v_ashrrev_i32_e32 v5, 31, v4
	s_delay_alu instid0(VALU_DEP_1) | instskip(SKIP_1) | instid1(VALU_DEP_1)
	v_lshlrev_b64_e32 v[4:5], 2, v[4:5]
	s_wait_kmcnt 0x0
	v_add_co_u32 v8, vcc_lo, s0, v4
	s_wait_alu 0xfffd
	s_delay_alu instid0(VALU_DEP_2)
	v_add_co_ci_u32_e64 v9, null, s1, v5, vcc_lo
	global_load_b128 v[4:7], v[8:9], off
	s_wait_loadcnt 0x0
	v_dual_fmac_f32 v0, s12, v4 :: v_dual_fmac_f32 v1, s12, v5
	v_dual_fmac_f32 v2, s12, v6 :: v_dual_fmac_f32 v3, s12, v7
	global_store_b128 v[8:9], v[0:3], off
	s_endpgm
	.section	.rodata,"a",@progbits
	.p2align	6, 0x0
	.amdhsa_kernel _ZN9rocsparseL18bsrxmvn_4x4_kernelILj128ELj64EfiiaafEEvT3_20rocsparse_direction_NS_24const_host_device_scalarIT1_EES1_PKS1_PKT2_SA_S7_PKT4_PKT5_S5_PT6_21rocsparse_index_base_b
		.amdhsa_group_segment_fixed_size 0
		.amdhsa_private_segment_fixed_size 0
		.amdhsa_kernarg_size 96
		.amdhsa_user_sgpr_count 2
		.amdhsa_user_sgpr_dispatch_ptr 0
		.amdhsa_user_sgpr_queue_ptr 0
		.amdhsa_user_sgpr_kernarg_segment_ptr 1
		.amdhsa_user_sgpr_dispatch_id 0
		.amdhsa_user_sgpr_private_segment_size 0
		.amdhsa_wavefront_size32 1
		.amdhsa_uses_dynamic_stack 0
		.amdhsa_enable_private_segment 0
		.amdhsa_system_sgpr_workgroup_id_x 1
		.amdhsa_system_sgpr_workgroup_id_y 0
		.amdhsa_system_sgpr_workgroup_id_z 0
		.amdhsa_system_sgpr_workgroup_info 0
		.amdhsa_system_vgpr_workitem_id 0
		.amdhsa_next_free_vgpr 94
		.amdhsa_next_free_sgpr 18
		.amdhsa_reserve_vcc 1
		.amdhsa_float_round_mode_32 0
		.amdhsa_float_round_mode_16_64 0
		.amdhsa_float_denorm_mode_32 3
		.amdhsa_float_denorm_mode_16_64 3
		.amdhsa_fp16_overflow 0
		.amdhsa_workgroup_processor_mode 1
		.amdhsa_memory_ordered 1
		.amdhsa_forward_progress 1
		.amdhsa_inst_pref_size 46
		.amdhsa_round_robin_scheduling 0
		.amdhsa_exception_fp_ieee_invalid_op 0
		.amdhsa_exception_fp_denorm_src 0
		.amdhsa_exception_fp_ieee_div_zero 0
		.amdhsa_exception_fp_ieee_overflow 0
		.amdhsa_exception_fp_ieee_underflow 0
		.amdhsa_exception_fp_ieee_inexact 0
		.amdhsa_exception_int_div_zero 0
	.end_amdhsa_kernel
	.section	.text._ZN9rocsparseL18bsrxmvn_4x4_kernelILj128ELj64EfiiaafEEvT3_20rocsparse_direction_NS_24const_host_device_scalarIT1_EES1_PKS1_PKT2_SA_S7_PKT4_PKT5_S5_PT6_21rocsparse_index_base_b,"axG",@progbits,_ZN9rocsparseL18bsrxmvn_4x4_kernelILj128ELj64EfiiaafEEvT3_20rocsparse_direction_NS_24const_host_device_scalarIT1_EES1_PKS1_PKT2_SA_S7_PKT4_PKT5_S5_PT6_21rocsparse_index_base_b,comdat
.Lfunc_end79:
	.size	_ZN9rocsparseL18bsrxmvn_4x4_kernelILj128ELj64EfiiaafEEvT3_20rocsparse_direction_NS_24const_host_device_scalarIT1_EES1_PKS1_PKT2_SA_S7_PKT4_PKT5_S5_PT6_21rocsparse_index_base_b, .Lfunc_end79-_ZN9rocsparseL18bsrxmvn_4x4_kernelILj128ELj64EfiiaafEEvT3_20rocsparse_direction_NS_24const_host_device_scalarIT1_EES1_PKS1_PKT2_SA_S7_PKT4_PKT5_S5_PT6_21rocsparse_index_base_b
                                        ; -- End function
	.set _ZN9rocsparseL18bsrxmvn_4x4_kernelILj128ELj64EfiiaafEEvT3_20rocsparse_direction_NS_24const_host_device_scalarIT1_EES1_PKS1_PKT2_SA_S7_PKT4_PKT5_S5_PT6_21rocsparse_index_base_b.num_vgpr, 94
	.set _ZN9rocsparseL18bsrxmvn_4x4_kernelILj128ELj64EfiiaafEEvT3_20rocsparse_direction_NS_24const_host_device_scalarIT1_EES1_PKS1_PKT2_SA_S7_PKT4_PKT5_S5_PT6_21rocsparse_index_base_b.num_agpr, 0
	.set _ZN9rocsparseL18bsrxmvn_4x4_kernelILj128ELj64EfiiaafEEvT3_20rocsparse_direction_NS_24const_host_device_scalarIT1_EES1_PKS1_PKT2_SA_S7_PKT4_PKT5_S5_PT6_21rocsparse_index_base_b.numbered_sgpr, 18
	.set _ZN9rocsparseL18bsrxmvn_4x4_kernelILj128ELj64EfiiaafEEvT3_20rocsparse_direction_NS_24const_host_device_scalarIT1_EES1_PKS1_PKT2_SA_S7_PKT4_PKT5_S5_PT6_21rocsparse_index_base_b.num_named_barrier, 0
	.set _ZN9rocsparseL18bsrxmvn_4x4_kernelILj128ELj64EfiiaafEEvT3_20rocsparse_direction_NS_24const_host_device_scalarIT1_EES1_PKS1_PKT2_SA_S7_PKT4_PKT5_S5_PT6_21rocsparse_index_base_b.private_seg_size, 0
	.set _ZN9rocsparseL18bsrxmvn_4x4_kernelILj128ELj64EfiiaafEEvT3_20rocsparse_direction_NS_24const_host_device_scalarIT1_EES1_PKS1_PKT2_SA_S7_PKT4_PKT5_S5_PT6_21rocsparse_index_base_b.uses_vcc, 1
	.set _ZN9rocsparseL18bsrxmvn_4x4_kernelILj128ELj64EfiiaafEEvT3_20rocsparse_direction_NS_24const_host_device_scalarIT1_EES1_PKS1_PKT2_SA_S7_PKT4_PKT5_S5_PT6_21rocsparse_index_base_b.uses_flat_scratch, 0
	.set _ZN9rocsparseL18bsrxmvn_4x4_kernelILj128ELj64EfiiaafEEvT3_20rocsparse_direction_NS_24const_host_device_scalarIT1_EES1_PKS1_PKT2_SA_S7_PKT4_PKT5_S5_PT6_21rocsparse_index_base_b.has_dyn_sized_stack, 0
	.set _ZN9rocsparseL18bsrxmvn_4x4_kernelILj128ELj64EfiiaafEEvT3_20rocsparse_direction_NS_24const_host_device_scalarIT1_EES1_PKS1_PKT2_SA_S7_PKT4_PKT5_S5_PT6_21rocsparse_index_base_b.has_recursion, 0
	.set _ZN9rocsparseL18bsrxmvn_4x4_kernelILj128ELj64EfiiaafEEvT3_20rocsparse_direction_NS_24const_host_device_scalarIT1_EES1_PKS1_PKT2_SA_S7_PKT4_PKT5_S5_PT6_21rocsparse_index_base_b.has_indirect_call, 0
	.section	.AMDGPU.csdata,"",@progbits
; Kernel info:
; codeLenInByte = 5832
; TotalNumSgprs: 20
; NumVgprs: 94
; ScratchSize: 0
; MemoryBound: 0
; FloatMode: 240
; IeeeMode: 1
; LDSByteSize: 0 bytes/workgroup (compile time only)
; SGPRBlocks: 0
; VGPRBlocks: 11
; NumSGPRsForWavesPerEU: 20
; NumVGPRsForWavesPerEU: 94
; Occupancy: 16
; WaveLimiterHint : 1
; COMPUTE_PGM_RSRC2:SCRATCH_EN: 0
; COMPUTE_PGM_RSRC2:USER_SGPR: 2
; COMPUTE_PGM_RSRC2:TRAP_HANDLER: 0
; COMPUTE_PGM_RSRC2:TGID_X_EN: 1
; COMPUTE_PGM_RSRC2:TGID_Y_EN: 0
; COMPUTE_PGM_RSRC2:TGID_Z_EN: 0
; COMPUTE_PGM_RSRC2:TIDIG_COMP_CNT: 0
	.section	.text._ZN9rocsparseL18bsrxmvn_4x4_kernelILj128ELj4EfliaafEEvT3_20rocsparse_direction_NS_24const_host_device_scalarIT1_EES1_PKS1_PKT2_SA_S7_PKT4_PKT5_S5_PT6_21rocsparse_index_base_b,"axG",@progbits,_ZN9rocsparseL18bsrxmvn_4x4_kernelILj128ELj4EfliaafEEvT3_20rocsparse_direction_NS_24const_host_device_scalarIT1_EES1_PKS1_PKT2_SA_S7_PKT4_PKT5_S5_PT6_21rocsparse_index_base_b,comdat
	.globl	_ZN9rocsparseL18bsrxmvn_4x4_kernelILj128ELj4EfliaafEEvT3_20rocsparse_direction_NS_24const_host_device_scalarIT1_EES1_PKS1_PKT2_SA_S7_PKT4_PKT5_S5_PT6_21rocsparse_index_base_b ; -- Begin function _ZN9rocsparseL18bsrxmvn_4x4_kernelILj128ELj4EfliaafEEvT3_20rocsparse_direction_NS_24const_host_device_scalarIT1_EES1_PKS1_PKT2_SA_S7_PKT4_PKT5_S5_PT6_21rocsparse_index_base_b
	.p2align	8
	.type	_ZN9rocsparseL18bsrxmvn_4x4_kernelILj128ELj4EfliaafEEvT3_20rocsparse_direction_NS_24const_host_device_scalarIT1_EES1_PKS1_PKT2_SA_S7_PKT4_PKT5_S5_PT6_21rocsparse_index_base_b,@function
_ZN9rocsparseL18bsrxmvn_4x4_kernelILj128ELj4EfliaafEEvT3_20rocsparse_direction_NS_24const_host_device_scalarIT1_EES1_PKS1_PKT2_SA_S7_PKT4_PKT5_S5_PT6_21rocsparse_index_base_b: ; @_ZN9rocsparseL18bsrxmvn_4x4_kernelILj128ELj4EfliaafEEvT3_20rocsparse_direction_NS_24const_host_device_scalarIT1_EES1_PKS1_PKT2_SA_S7_PKT4_PKT5_S5_PT6_21rocsparse_index_base_b
; %bb.0:
	s_clause 0x2
	s_load_b64 s[16:17], s[0:1], 0x58
	s_load_b64 s[14:15], s[0:1], 0x8
	;; [unrolled: 1-line block ×3, first 2 shown]
	s_wait_kmcnt 0x0
	s_bitcmp1_b32 s17, 0
	s_cselect_b32 s2, -1, 0
	s_delay_alu instid0(SALU_CYCLE_1)
	s_and_b32 vcc_lo, exec_lo, s2
	s_xor_b32 s2, s2, -1
	s_cbranch_vccnz .LBB80_2
; %bb.1:
	s_load_b32 s14, s[14:15], 0x0
.LBB80_2:
	s_and_not1_b32 vcc_lo, exec_lo, s2
	s_cbranch_vccnz .LBB80_4
; %bb.3:
	s_load_b32 s12, s[12:13], 0x0
.LBB80_4:
	s_wait_kmcnt 0x0
	s_cmp_neq_f32 s14, 0
	s_mov_b32 s6, 0
	s_cselect_b32 s2, -1, 0
	s_cmp_neq_f32 s12, 1.0
	s_cselect_b32 s3, -1, 0
	s_delay_alu instid0(SALU_CYCLE_1) | instskip(NEXT) | instid1(SALU_CYCLE_1)
	s_or_b32 s2, s2, s3
	s_and_not1_b32 vcc_lo, exec_lo, s2
	s_cbranch_vccnz .LBB80_10
; %bb.5:
	s_clause 0x1
	s_load_b64 s[4:5], s[0:1], 0x18
	s_load_b64 s[2:3], s[0:1], 0x0
	v_lshrrev_b32_e32 v1, 2, v0
	s_delay_alu instid0(VALU_DEP_1)
	v_lshl_or_b32 v4, ttmp9, 5, v1
	s_wait_kmcnt 0x0
	s_cmp_lg_u64 s[4:5], 0
	s_cbranch_scc0 .LBB80_11
; %bb.6:
	s_load_b32 s6, s[0:1], 0x10
	s_mov_b32 s7, 0
                                        ; implicit-def: $vgpr1
	s_wait_kmcnt 0x0
	v_cmp_gt_i32_e32 vcc_lo, s6, v4
	s_mov_b32 s6, 0
	s_and_saveexec_b32 s8, vcc_lo
	s_delay_alu instid0(SALU_CYCLE_1)
	s_xor_b32 s8, exec_lo, s8
	s_cbranch_execz .LBB80_8
; %bb.7:
	v_ashrrev_i32_e32 v5, 31, v4
	s_mov_b32 s6, exec_lo
	s_delay_alu instid0(VALU_DEP_1) | instskip(NEXT) | instid1(VALU_DEP_1)
	v_lshlrev_b64_e32 v[1:2], 2, v[4:5]
	v_add_co_u32 v1, vcc_lo, s4, v1
	s_delay_alu instid0(VALU_DEP_1)
	v_add_co_ci_u32_e64 v2, null, s5, v2, vcc_lo
	global_load_b32 v1, v[1:2], off
	s_wait_loadcnt 0x0
	v_subrev_nc_u32_e32 v1, s16, v1
.LBB80_8:
	s_or_b32 exec_lo, exec_lo, s8
	s_delay_alu instid0(SALU_CYCLE_1)
	s_and_b32 vcc_lo, exec_lo, s7
	s_wait_alu 0xfffe
	s_cbranch_vccz .LBB80_12
.LBB80_9:
	v_cmp_gt_i32_e32 vcc_lo, s2, v4
	s_and_not1_b32 s2, s6, exec_lo
	s_and_b32 s4, vcc_lo, exec_lo
	s_wait_alu 0xfffe
	s_or_b32 s6, s2, s4
	s_wait_alu 0xfffe
	s_and_saveexec_b32 s2, s6
	s_cbranch_execnz .LBB80_13
.LBB80_10:
	s_nop 0
	s_sendmsg sendmsg(MSG_DEALLOC_VGPRS)
	s_endpgm
.LBB80_11:
                                        ; implicit-def: $vgpr1
	s_cbranch_execnz .LBB80_9
.LBB80_12:
	v_mov_b32_e32 v4, v1
	s_and_saveexec_b32 s2, s6
	s_cbranch_execz .LBB80_10
.LBB80_13:
	s_load_b256 s[4:11], s[0:1], 0x20
	s_delay_alu instid0(VALU_DEP_1) | instskip(SKIP_1) | instid1(VALU_DEP_2)
	v_ashrrev_i32_e32 v5, 31, v4
	v_dual_mov_b32 v22, 0 :: v_dual_and_b32 v21, 3, v0
	v_lshlrev_b64_e32 v[1:2], 3, v[4:5]
	s_wait_kmcnt 0x0
	s_delay_alu instid0(VALU_DEP_1) | instskip(SKIP_1) | instid1(VALU_DEP_2)
	v_add_co_u32 v5, vcc_lo, s4, v1
	s_wait_alu 0xfffd
	v_add_co_ci_u32_e64 v6, null, s5, v2, vcc_lo
	v_add_co_u32 v1, vcc_lo, s6, v1
	s_wait_alu 0xfffd
	v_add_co_ci_u32_e64 v2, null, s7, v2, vcc_lo
	v_add_co_u32 v3, vcc_lo, v5, 8
	global_load_b64 v[9:10], v[5:6], off
	s_wait_alu 0xfffd
	v_add_co_ci_u32_e64 v7, null, 0, v6, vcc_lo
	s_cmp_eq_u64 s[6:7], 0
	s_load_b64 s[6:7], s[0:1], 0x40
	s_cselect_b32 vcc_lo, -1, 0
	s_cmp_eq_u32 s3, 1
	s_wait_alu 0xfffe
	v_cndmask_b32_e32 v2, v2, v7, vcc_lo
	v_cndmask_b32_e32 v1, v1, v3, vcc_lo
	global_load_b64 v[2:3], v[1:2], off
	s_wait_loadcnt 0x1
	v_sub_co_u32 v0, vcc_lo, v9, s16
	s_wait_alu 0xfffd
	v_subrev_co_ci_u32_e64 v1, null, 0, v10, vcc_lo
	s_delay_alu instid0(VALU_DEP_2) | instskip(SKIP_1) | instid1(VALU_DEP_2)
	v_add_co_u32 v0, vcc_lo, v0, v21
	s_wait_alu 0xfffd
	v_add_co_ci_u32_e64 v1, null, 0, v1, vcc_lo
	s_delay_alu instid0(VALU_DEP_1) | instskip(SKIP_4) | instid1(VALU_DEP_3)
	v_lshlrev_b64_e32 v[5:6], 4, v[0:1]
	s_wait_loadcnt 0x0
	v_sub_co_u32 v2, vcc_lo, v2, s16
	s_wait_alu 0xfffd
	v_subrev_co_ci_u32_e64 v3, null, 0, v3, vcc_lo
	v_add_co_u32 v5, vcc_lo, s10, v5
	s_delay_alu instid0(VALU_DEP_2)
	v_cmp_lt_i64_e64 s2, v[0:1], v[2:3]
	s_wait_alu 0xfffd
	v_add_co_ci_u32_e64 v6, null, s11, v6, vcc_lo
	s_cbranch_scc1 .LBB80_25
; %bb.14:
	v_dual_mov_b32 v23, 0 :: v_dual_mov_b32 v24, 0
	v_mov_b32_e32 v8, 0
	s_and_saveexec_b32 s10, s2
	s_cbranch_execz .LBB80_24
; %bb.15:
	v_or_b32_e32 v7, 4, v21
	v_not_b32_e32 v12, v9
	v_not_b32_e32 v11, v10
	s_delay_alu instid0(VALU_DEP_3) | instskip(SKIP_3) | instid1(VALU_DEP_3)
	v_sub_co_u32 v7, s3, v7, s16
	s_wait_alu 0xf1ff
	v_sub_co_ci_u32_e64 v8, null, 0, 0, s3
	v_sub_co_u32 v13, s3, s16, v21
	v_add_co_u32 v7, vcc_lo, v7, v9
	s_wait_alu 0xfffd
	s_delay_alu instid0(VALU_DEP_3)
	v_add_co_ci_u32_e64 v8, null, v8, v10, vcc_lo
	s_wait_alu 0xf1ff
	v_sub_co_ci_u32_e64 v14, null, 0, 0, s3
	s_mov_b32 s3, exec_lo
	v_cmp_gt_i64_e32 vcc_lo, v[7:8], v[2:3]
	s_wait_alu 0xfffd
	v_dual_cndmask_b32 v16, v3, v8 :: v_dual_cndmask_b32 v7, v2, v7
	v_add_co_u32 v8, vcc_lo, v13, v12
	s_wait_alu 0xfffd
	v_add_co_ci_u32_e64 v11, null, v14, v11, vcc_lo
	v_mov_b32_e32 v14, v6
	s_delay_alu instid0(VALU_DEP_3) | instskip(SKIP_4) | instid1(VALU_DEP_3)
	v_add_co_u32 v15, vcc_lo, v8, v7
	v_mov_b32_e32 v8, 0
	s_wait_alu 0xfffd
	v_add_co_ci_u32_e64 v16, null, v11, v16, vcc_lo
	v_dual_mov_b32 v12, v1 :: v_dual_mov_b32 v13, v5
	v_dual_mov_b32 v24, v8 :: v_dual_and_b32 v7, 12, v15
	v_dual_mov_b32 v23, v8 :: v_dual_mov_b32 v22, v8
	v_mov_b32_e32 v11, v0
	s_delay_alu instid0(VALU_DEP_3)
	v_cmpx_ne_u64_e32 12, v[7:8]
	s_cbranch_execz .LBB80_19
; %bb.16:
	v_lshrrev_b32_e32 v7, 2, v15
	v_mov_b32_e32 v22, 0
	v_dual_mov_b32 v14, v6 :: v_dual_mov_b32 v13, v5
	v_dual_mov_b32 v12, v1 :: v_dual_mov_b32 v11, v0
	s_delay_alu instid0(VALU_DEP_4) | instskip(SKIP_2) | instid1(VALU_DEP_3)
	v_add_nc_u32_e32 v17, 1, v7
	v_lshlrev_b64_e32 v[7:8], 2, v[0:1]
	v_dual_mov_b32 v23, 0 :: v_dual_mov_b32 v24, 0
	v_and_b32_e32 v19, 3, v17
	s_delay_alu instid0(VALU_DEP_3) | instskip(SKIP_1) | instid1(VALU_DEP_4)
	v_add_co_u32 v17, vcc_lo, s8, v7
	s_wait_alu 0xfffd
	v_add_co_ci_u32_e64 v18, null, s9, v8, vcc_lo
	v_mov_b32_e32 v8, 0
	v_sub_co_u32 v19, s4, 0, v19
	s_wait_alu 0xf1ff
	v_sub_co_ci_u32_e64 v20, null, 0, 0, s4
	s_mov_b32 s4, 0
.LBB80_17:                              ; =>This Inner Loop Header: Depth=1
	global_load_b32 v7, v[17:18], off
	s_wait_loadcnt 0x0
	v_subrev_nc_u32_e32 v7, s16, v7
	s_delay_alu instid0(VALU_DEP_1) | instskip(NEXT) | instid1(VALU_DEP_1)
	v_lshlrev_b32_e32 v7, 2, v7
	v_ashrrev_i32_e32 v25, 31, v7
	s_wait_kmcnt 0x0
	v_add_co_u32 v29, vcc_lo, s6, v7
	s_wait_alu 0xfffd
	s_delay_alu instid0(VALU_DEP_2)
	v_add_co_ci_u32_e64 v30, null, s7, v25, vcc_lo
	global_load_b128 v[25:28], v[13:14], off
	global_load_b32 v7, v[29:30], off
	v_add_co_u32 v13, vcc_lo, v13, 64
	s_wait_alu 0xfffd
	v_add_co_ci_u32_e64 v14, null, 0, v14, vcc_lo
	v_add_co_u32 v11, vcc_lo, v11, 4
	s_wait_alu 0xfffd
	v_add_co_ci_u32_e64 v12, null, 0, v12, vcc_lo
	;; [unrolled: 3-line block ×4, first 2 shown]
	s_delay_alu instid0(VALU_DEP_1)
	v_cmp_eq_u64_e32 vcc_lo, 0, v[19:20]
	s_wait_alu 0xfffe
	s_or_b32 s4, vcc_lo, s4
	s_wait_loadcnt 0x1
	v_bfe_i32 v29, v25, 0, 8
	v_bfe_i32 v35, v27, 0, 8
	s_wait_loadcnt 0x0
	v_bfe_i32 v41, v7, 0, 8
	v_bfe_i32 v30, v25, 8, 8
	;; [unrolled: 1-line block ×4, first 2 shown]
	v_cvt_f32_i32_e32 v29, v29
	v_cvt_f32_i32_e32 v35, v35
	v_bfe_i32 v42, v7, 8, 8
	v_cvt_f32_i32_e32 v41, v41
	v_bfe_i32 v32, v26, 0, 8
	v_bfe_i32 v37, v27, 16, 8
	;; [unrolled: 1-line block ×3, first 2 shown]
	v_cvt_f32_i32_e32 v30, v30
	v_cvt_f32_i32_e32 v36, v36
	;; [unrolled: 1-line block ×3, first 2 shown]
	v_bfe_i32 v43, v7, 16, 8
	v_cvt_f32_i32_e32 v42, v42
	v_fmac_f32_e32 v8, v29, v41
	v_fmac_f32_e32 v23, v35, v41
	v_bfe_i32 v33, v26, 8, 8
	v_ashrrev_i32_e32 v27, 24, v27
	v_cvt_f32_i32_e32 v32, v32
	v_cvt_f32_i32_e32 v37, v37
	;; [unrolled: 1-line block ×3, first 2 shown]
	v_ashrrev_i32_e32 v7, 24, v7
	v_cvt_f32_i32_e32 v29, v43
	v_fmac_f32_e32 v8, v30, v42
	v_dual_fmac_f32 v22, v38, v41 :: v_dual_fmac_f32 v23, v36, v42
	v_bfe_i32 v31, v25, 16, 8
	v_bfe_i32 v34, v26, 16, 8
	;; [unrolled: 1-line block ×3, first 2 shown]
	v_cvt_f32_i32_e32 v33, v33
	v_cvt_f32_i32_e32 v27, v27
	v_dual_fmac_f32 v22, v39, v42 :: v_dual_fmac_f32 v23, v37, v29
	v_cvt_f32_i32_e32 v7, v7
	v_fmac_f32_e32 v24, v32, v41
	v_ashrrev_i32_e32 v25, 24, v25
	v_ashrrev_i32_e32 v26, 24, v26
	;; [unrolled: 1-line block ×3, first 2 shown]
	v_cvt_f32_i32_e32 v31, v31
	v_cvt_f32_i32_e32 v34, v34
	;; [unrolled: 1-line block ×3, first 2 shown]
	v_dual_fmac_f32 v23, v27, v7 :: v_dual_fmac_f32 v24, v33, v42
	v_cvt_f32_i32_e32 v25, v25
	v_cvt_f32_i32_e32 v26, v26
	v_cvt_f32_i32_e32 v28, v28
	v_fmac_f32_e32 v8, v31, v29
	v_fmac_f32_e32 v24, v34, v29
	;; [unrolled: 1-line block ×3, first 2 shown]
	s_delay_alu instid0(VALU_DEP_3) | instskip(NEXT) | instid1(VALU_DEP_3)
	v_fmac_f32_e32 v8, v25, v7
	v_fmac_f32_e32 v24, v26, v7
	s_delay_alu instid0(VALU_DEP_3)
	v_fmac_f32_e32 v22, v28, v7
	s_wait_alu 0xfffe
	s_and_not1_b32 exec_lo, exec_lo, s4
	s_cbranch_execnz .LBB80_17
; %bb.18:
	s_or_b32 exec_lo, exec_lo, s4
.LBB80_19:
	s_wait_alu 0xfffe
	s_or_b32 exec_lo, exec_lo, s3
	s_delay_alu instid0(SALU_CYCLE_1)
	s_mov_b32 s11, exec_lo
	v_cmpx_lt_u64_e32 11, v[15:16]
	s_cbranch_execz .LBB80_23
; %bb.20:
	v_lshlrev_b64_e32 v[15:16], 2, v[11:12]
	s_mov_b32 s13, 0
	s_delay_alu instid0(VALU_DEP_1) | instskip(SKIP_1) | instid1(VALU_DEP_2)
	v_add_co_u32 v7, vcc_lo, s8, v15
	s_wait_alu 0xfffd
	v_add_co_ci_u32_e64 v16, null, s9, v16, vcc_lo
	s_delay_alu instid0(VALU_DEP_2) | instskip(SKIP_1) | instid1(VALU_DEP_2)
	v_add_co_u32 v15, vcc_lo, v7, 32
	s_wait_alu 0xfffd
	v_add_co_ci_u32_e64 v16, null, 0, v16, vcc_lo
.LBB80_21:                              ; =>This Inner Loop Header: Depth=1
	s_clause 0x3
	global_load_b32 v7, v[15:16], off offset:-32
	global_load_b32 v37, v[15:16], off offset:-16
	global_load_b32 v38, v[15:16], off
	global_load_b32 v39, v[15:16], off offset:16
	s_clause 0x3
	global_load_b128 v[17:20], v[13:14], off
	global_load_b128 v[25:28], v[13:14], off offset:64
	global_load_b128 v[29:32], v[13:14], off offset:128
	;; [unrolled: 1-line block ×3, first 2 shown]
	s_wait_loadcnt 0x7
	v_subrev_nc_u32_e32 v7, s16, v7
	s_wait_loadcnt 0x6
	v_subrev_nc_u32_e32 v37, s16, v37
	;; [unrolled: 2-line block ×4, first 2 shown]
	s_wait_loadcnt 0x3
	v_bfe_i32 v48, v19, 16, 8
	v_lshlrev_b32_e32 v7, 2, v7
	v_lshlrev_b32_e32 v37, 2, v37
	;; [unrolled: 1-line block ×4, first 2 shown]
	v_bfe_i32 v49, v20, 0, 8
	v_ashrrev_i32_e32 v42, 31, v7
	v_ashrrev_i32_e32 v45, 31, v37
	;; [unrolled: 1-line block ×4, first 2 shown]
	s_wait_kmcnt 0x0
	v_add_co_u32 v43, s5, s6, v7
	v_add_co_u32 v37, vcc_lo, s6, v37
	v_add_co_u32 v39, s3, s6, v38
	s_wait_alu 0xf1ff
	v_add_co_ci_u32_e64 v44, null, s7, v42, s5
	v_add_co_u32 v41, s4, s6, v40
	s_wait_alu 0xfffd
	v_add_co_ci_u32_e64 v38, null, s7, v45, vcc_lo
	v_add_co_ci_u32_e64 v40, null, s7, v46, s3
	s_wait_alu 0xf1ff
	v_add_co_ci_u32_e64 v42, null, s7, v47, s4
	s_clause 0x3
	global_load_b32 v7, v[43:44], off
	global_load_b32 v37, v[37:38], off
	;; [unrolled: 1-line block ×4, first 2 shown]
	v_bfe_i32 v46, v19, 0, 8
	v_bfe_i32 v43, v18, 0, 8
	;; [unrolled: 1-line block ×5, first 2 shown]
	v_cvt_f32_i32_e32 v46, v46
	v_cvt_f32_i32_e32 v43, v43
	;; [unrolled: 1-line block ×3, first 2 shown]
	v_ashrrev_i32_e32 v19, 24, v19
	v_bfe_i32 v50, v20, 8, 8
	v_cvt_f32_i32_e32 v40, v40
	v_cvt_f32_i32_e32 v48, v48
	;; [unrolled: 1-line block ×3, first 2 shown]
	v_bfe_i32 v44, v18, 8, 8
	v_bfe_i32 v51, v20, 16, 8
	s_wait_loadcnt 0x6
	v_bfe_i32 v58, v27, 0, 8
	v_bfe_i32 v59, v27, 8, 8
	;; [unrolled: 1-line block ×3, first 2 shown]
	v_ashrrev_i32_e32 v27, 24, v27
	v_cvt_f32_i32_e32 v41, v41
	v_cvt_f32_i32_e32 v19, v19
	;; [unrolled: 1-line block ×3, first 2 shown]
	v_bfe_i32 v42, v17, 16, 8
	v_bfe_i32 v45, v18, 16, 8
	v_cvt_f32_i32_e32 v44, v44
	v_cvt_f32_i32_e32 v51, v51
	;; [unrolled: 1-line block ×4, first 2 shown]
	v_ashrrev_i32_e32 v17, 24, v17
	v_ashrrev_i32_e32 v18, 24, v18
	;; [unrolled: 1-line block ×3, first 2 shown]
	s_wait_loadcnt 0x5
	v_bfe_i32 v70, v31, 0, 8
	v_cvt_f32_i32_e32 v42, v42
	v_cvt_f32_i32_e32 v45, v45
	;; [unrolled: 1-line block ×3, first 2 shown]
	v_bfe_i32 v52, v25, 0, 8
	v_bfe_i32 v55, v26, 0, 8
	;; [unrolled: 1-line block ×4, first 2 shown]
	s_wait_loadcnt 0x4
	v_bfe_i32 v82, v35, 0, 8
	v_bfe_i32 v84, v35, 16, 8
	v_cvt_f32_i32_e32 v17, v17
	v_cvt_f32_i32_e32 v18, v18
	;; [unrolled: 1-line block ×5, first 2 shown]
	v_bfe_i32 v53, v25, 8, 8
	v_bfe_i32 v56, v26, 8, 8
	;; [unrolled: 1-line block ×4, first 2 shown]
	v_ashrrev_i32_e32 v31, 24, v31
	v_cvt_f32_i32_e32 v52, v52
	v_cvt_f32_i32_e32 v55, v55
	;; [unrolled: 1-line block ×6, first 2 shown]
	v_bfe_i32 v54, v25, 16, 8
	v_bfe_i32 v57, v26, 16, 8
	v_bfe_i32 v63, v28, 16, 8
	v_cvt_f32_i32_e32 v53, v53
	v_cvt_f32_i32_e32 v56, v56
	v_cvt_f32_i32_e32 v62, v62
	v_cvt_f32_i32_e32 v71, v71
	v_cvt_f32_i32_e32 v31, v31
	v_ashrrev_i32_e32 v25, 24, v25
	v_ashrrev_i32_e32 v26, 24, v26
	;; [unrolled: 1-line block ×3, first 2 shown]
	v_bfe_i32 v83, v35, 8, 8
	v_ashrrev_i32_e32 v35, 24, v35
	v_cvt_f32_i32_e32 v54, v54
	v_cvt_f32_i32_e32 v57, v57
	;; [unrolled: 1-line block ×3, first 2 shown]
	v_bfe_i32 v64, v29, 0, 8
	v_bfe_i32 v67, v30, 0, 8
	;; [unrolled: 1-line block ×3, first 2 shown]
	v_cvt_f32_i32_e32 v25, v25
	v_cvt_f32_i32_e32 v26, v26
	;; [unrolled: 1-line block ×5, first 2 shown]
	v_bfe_i32 v65, v29, 8, 8
	v_bfe_i32 v68, v30, 8, 8
	;; [unrolled: 1-line block ×3, first 2 shown]
	v_cvt_f32_i32_e32 v64, v64
	v_cvt_f32_i32_e32 v67, v67
	;; [unrolled: 1-line block ×3, first 2 shown]
	v_bfe_i32 v66, v29, 16, 8
	v_bfe_i32 v69, v30, 16, 8
	;; [unrolled: 1-line block ×3, first 2 shown]
	v_cvt_f32_i32_e32 v65, v65
	v_cvt_f32_i32_e32 v68, v68
	;; [unrolled: 1-line block ×3, first 2 shown]
	v_ashrrev_i32_e32 v29, 24, v29
	v_ashrrev_i32_e32 v30, 24, v30
	;; [unrolled: 1-line block ×3, first 2 shown]
	v_cvt_f32_i32_e32 v66, v66
	v_cvt_f32_i32_e32 v69, v69
	v_cvt_f32_i32_e32 v75, v75
	v_bfe_i32 v76, v33, 0, 8
	v_bfe_i32 v79, v34, 0, 8
	v_bfe_i32 v85, v36, 0, 8
	v_cvt_f32_i32_e32 v29, v29
	v_cvt_f32_i32_e32 v30, v30
	v_cvt_f32_i32_e32 v32, v32
	v_bfe_i32 v77, v33, 8, 8
	v_bfe_i32 v80, v34, 8, 8
	v_bfe_i32 v86, v36, 8, 8
	;; [unrolled: 6-line block ×3, first 2 shown]
	v_cvt_f32_i32_e32 v77, v77
	v_cvt_f32_i32_e32 v80, v80
	;; [unrolled: 1-line block ×3, first 2 shown]
	v_add_co_u32 v13, vcc_lo, 0x100, v13
	s_wait_alu 0xfffd
	v_add_co_ci_u32_e64 v14, null, 0, v14, vcc_lo
	v_add_co_u32 v11, vcc_lo, v11, 16
	v_ashrrev_i32_e32 v33, 24, v33
	v_ashrrev_i32_e32 v34, 24, v34
	;; [unrolled: 1-line block ×3, first 2 shown]
	v_cvt_f32_i32_e32 v78, v78
	v_cvt_f32_i32_e32 v81, v81
	;; [unrolled: 1-line block ×3, first 2 shown]
	s_wait_alu 0xfffd
	v_add_co_ci_u32_e64 v12, null, 0, v12, vcc_lo
	v_add_co_u32 v15, vcc_lo, v15, 64
	v_cvt_f32_i32_e32 v33, v33
	v_cvt_f32_i32_e32 v34, v34
	;; [unrolled: 1-line block ×3, first 2 shown]
	s_wait_alu 0xfffd
	v_add_co_ci_u32_e64 v16, null, 0, v16, vcc_lo
	v_cmp_ge_i64_e32 vcc_lo, v[11:12], v[2:3]
	s_or_b32 s13, vcc_lo, s13
	s_wait_loadcnt 0x3
	v_bfe_i32 v88, v7, 0, 8
	v_bfe_i32 v89, v7, 8, 8
	;; [unrolled: 1-line block ×3, first 2 shown]
	v_ashrrev_i32_e32 v7, 24, v7
	s_wait_loadcnt 0x2
	v_bfe_i32 v91, v37, 0, 8
	v_cvt_f32_i32_e32 v88, v88
	v_cvt_f32_i32_e32 v89, v89
	v_bfe_i32 v92, v37, 8, 8
	v_cvt_f32_i32_e32 v7, v7
	v_bfe_i32 v93, v37, 16, 8
	v_fmac_f32_e32 v23, v46, v88
	v_fmac_f32_e32 v24, v43, v88
	v_cvt_f32_i32_e32 v43, v90
	v_fmac_f32_e32 v8, v40, v88
	v_ashrrev_i32_e32 v37, 24, v37
	v_dual_fmac_f32 v23, v47, v89 :: v_dual_fmac_f32 v22, v49, v88
	s_wait_loadcnt 0x1
	v_bfe_i32 v94, v38, 0, 8
	v_bfe_i32 v95, v38, 8, 8
	;; [unrolled: 1-line block ×3, first 2 shown]
	v_dual_fmac_f32 v23, v48, v43 :: v_dual_fmac_f32 v8, v41, v89
	v_fmac_f32_e32 v22, v50, v89
	v_cvt_f32_i32_e32 v41, v91
	v_ashrrev_i32_e32 v38, 24, v38
	s_delay_alu instid0(VALU_DEP_4)
	v_fmac_f32_e32 v23, v19, v7
	v_fmac_f32_e32 v8, v42, v43
	;; [unrolled: 1-line block ×3, first 2 shown]
	s_wait_loadcnt 0x0
	v_bfe_i32 v97, v39, 0, 8
	v_bfe_i32 v98, v39, 8, 8
	v_fmac_f32_e32 v23, v58, v41
	v_fmac_f32_e32 v24, v44, v89
	;; [unrolled: 1-line block ×4, first 2 shown]
	v_cvt_f32_i32_e32 v17, v93
	v_bfe_i32 v40, v39, 16, 8
	v_fmac_f32_e32 v24, v45, v43
	v_fmac_f32_e32 v8, v52, v41
	v_fmac_f32_e32 v22, v61, v41
	v_ashrrev_i32_e32 v39, 24, v39
	s_delay_alu instid0(VALU_DEP_4) | instskip(SKIP_1) | instid1(VALU_DEP_2)
	v_fmac_f32_e32 v24, v18, v7
	v_cvt_f32_i32_e32 v7, v92
	v_fmac_f32_e32 v24, v55, v41
	s_delay_alu instid0(VALU_DEP_2) | instskip(SKIP_2) | instid1(VALU_DEP_4)
	v_fmac_f32_e32 v8, v53, v7
	v_fmac_f32_e32 v23, v59, v7
	v_fmac_f32_e32 v22, v62, v7
	v_fmac_f32_e32 v24, v56, v7
	v_cvt_f32_i32_e32 v7, v37
	v_fmac_f32_e32 v8, v54, v17
	v_fmac_f32_e32 v23, v60, v17
	v_fmac_f32_e32 v22, v63, v17
	v_fmac_f32_e32 v24, v57, v17
	v_cvt_f32_i32_e32 v17, v94
	;; [unrolled: 5-line block ×9, first 2 shown]
	v_fmac_f32_e32 v8, v78, v17
	v_fmac_f32_e32 v23, v84, v17
	;; [unrolled: 1-line block ×4, first 2 shown]
	s_delay_alu instid0(VALU_DEP_4) | instskip(NEXT) | instid1(VALU_DEP_4)
	v_fmac_f32_e32 v8, v33, v7
	v_fmac_f32_e32 v23, v35, v7
	s_delay_alu instid0(VALU_DEP_4) | instskip(NEXT) | instid1(VALU_DEP_4)
	v_fmac_f32_e32 v22, v36, v7
	v_fmac_f32_e32 v24, v34, v7
	s_and_not1_b32 exec_lo, exec_lo, s13
	s_cbranch_execnz .LBB80_21
; %bb.22:
	s_or_b32 exec_lo, exec_lo, s13
.LBB80_23:
	s_wait_alu 0xfffe
	s_or_b32 exec_lo, exec_lo, s11
.LBB80_24:
	s_wait_alu 0xfffe
	s_or_b32 exec_lo, exec_lo, s10
	s_cbranch_execz .LBB80_26
	s_branch .LBB80_37
.LBB80_25:
                                        ; implicit-def: $vgpr22
                                        ; implicit-def: $vgpr23
                                        ; implicit-def: $vgpr24
                                        ; implicit-def: $vgpr8
.LBB80_26:
	v_dual_mov_b32 v22, 0 :: v_dual_mov_b32 v23, 0
	v_mov_b32_e32 v24, 0
	v_mov_b32_e32 v8, 0
	s_and_saveexec_b32 s5, s2
	s_cbranch_execz .LBB80_36
; %bb.27:
	v_or_b32_e32 v7, 4, v21
	s_delay_alu instid0(VALU_DEP_1) | instskip(SKIP_3) | instid1(VALU_DEP_3)
	v_sub_co_u32 v7, s2, v7, s16
	s_wait_alu 0xf1ff
	v_sub_co_ci_u32_e64 v8, null, 0, 0, s2
	v_sub_co_u32 v11, s2, s16, v21
	v_add_co_u32 v7, vcc_lo, v7, v9
	s_wait_alu 0xfffd
	s_delay_alu instid0(VALU_DEP_3)
	v_add_co_ci_u32_e64 v8, null, v8, v10, vcc_lo
	v_not_b32_e32 v9, v9
	v_not_b32_e32 v10, v10
	s_wait_alu 0xf1ff
	v_sub_co_ci_u32_e64 v12, null, 0, 0, s2
	v_cmp_gt_i64_e32 vcc_lo, v[7:8], v[2:3]
	s_mov_b32 s2, exec_lo
	s_wait_alu 0xfffd
	v_cndmask_b32_e32 v13, v3, v8, vcc_lo
	v_cndmask_b32_e32 v7, v2, v7, vcc_lo
	v_add_co_u32 v8, vcc_lo, v11, v9
	s_wait_alu 0xfffd
	v_add_co_ci_u32_e64 v10, null, v12, v10, vcc_lo
	s_delay_alu instid0(VALU_DEP_2) | instskip(SKIP_2) | instid1(VALU_DEP_3)
	v_add_co_u32 v9, vcc_lo, v8, v7
	v_mov_b32_e32 v8, 0
	s_wait_alu 0xfffd
	v_add_co_ci_u32_e64 v10, null, v10, v13, vcc_lo
	s_delay_alu instid0(VALU_DEP_2) | instskip(SKIP_1) | instid1(VALU_DEP_2)
	v_dual_mov_b32 v22, v8 :: v_dual_and_b32 v7, 12, v9
	v_dual_mov_b32 v24, v8 :: v_dual_mov_b32 v23, v8
	v_cmpx_ne_u64_e32 12, v[7:8]
	s_cbranch_execz .LBB80_31
; %bb.28:
	v_lshrrev_b32_e32 v7, 2, v9
	v_dual_mov_b32 v23, 0 :: v_dual_mov_b32 v24, 0
	s_delay_alu instid0(VALU_DEP_2) | instskip(SKIP_1) | instid1(VALU_DEP_2)
	v_dual_mov_b32 v22, 0 :: v_dual_add_nc_u32 v11, 1, v7
	v_lshlrev_b64_e32 v[7:8], 2, v[0:1]
	v_and_b32_e32 v13, 3, v11
	s_delay_alu instid0(VALU_DEP_2) | instskip(SKIP_1) | instid1(VALU_DEP_3)
	v_add_co_u32 v11, vcc_lo, s8, v7
	s_wait_alu 0xfffd
	v_add_co_ci_u32_e64 v12, null, s9, v8, vcc_lo
	v_mov_b32_e32 v8, 0
	v_sub_co_u32 v13, s3, 0, v13
	s_wait_alu 0xf1ff
	v_sub_co_ci_u32_e64 v14, null, 0, 0, s3
	s_mov_b32 s3, 0
.LBB80_29:                              ; =>This Inner Loop Header: Depth=1
	global_load_b32 v7, v[11:12], off
	s_wait_loadcnt 0x0
	v_subrev_nc_u32_e32 v7, s16, v7
	s_delay_alu instid0(VALU_DEP_1) | instskip(NEXT) | instid1(VALU_DEP_1)
	v_lshlrev_b32_e32 v7, 2, v7
	v_ashrrev_i32_e32 v15, 31, v7
	s_wait_kmcnt 0x0
	v_add_co_u32 v19, vcc_lo, s6, v7
	s_wait_alu 0xfffd
	s_delay_alu instid0(VALU_DEP_2)
	v_add_co_ci_u32_e64 v20, null, s7, v15, vcc_lo
	global_load_b128 v[15:18], v[5:6], off
	global_load_b32 v7, v[19:20], off
	v_add_co_u32 v5, vcc_lo, v5, 64
	s_wait_alu 0xfffd
	v_add_co_ci_u32_e64 v6, null, 0, v6, vcc_lo
	v_add_co_u32 v0, vcc_lo, v0, 4
	s_wait_alu 0xfffd
	v_add_co_ci_u32_e64 v1, null, 0, v1, vcc_lo
	;; [unrolled: 3-line block ×4, first 2 shown]
	s_delay_alu instid0(VALU_DEP_1)
	v_cmp_eq_u64_e32 vcc_lo, 0, v[13:14]
	s_wait_alu 0xfffe
	s_or_b32 s3, vcc_lo, s3
	s_wait_loadcnt 0x1
	v_bfe_i32 v20, v15, 8, 8
	s_wait_loadcnt 0x0
	v_bfe_i32 v35, v7, 0, 8
	v_bfe_i32 v19, v15, 0, 8
	;; [unrolled: 1-line block ×3, first 2 shown]
	v_ashrrev_i32_e32 v15, 24, v15
	v_bfe_i32 v27, v16, 8, 8
	v_cvt_f32_i32_e32 v20, v20
	v_bfe_i32 v36, v7, 8, 8
	v_cvt_f32_i32_e32 v35, v35
	v_bfe_i32 v26, v16, 0, 8
	v_bfe_i32 v28, v16, 16, 8
	v_ashrrev_i32_e32 v16, 24, v16
	v_cvt_f32_i32_e32 v19, v19
	v_cvt_f32_i32_e32 v25, v25
	v_cvt_f32_i32_e32 v15, v15
	v_cvt_f32_i32_e32 v27, v27
	v_cvt_f32_i32_e32 v36, v36
	v_fmac_f32_e32 v24, v20, v35
	v_bfe_i32 v29, v17, 0, 8
	v_bfe_i32 v30, v17, 8, 8
	;; [unrolled: 1-line block ×3, first 2 shown]
	v_ashrrev_i32_e32 v17, 24, v17
	v_cvt_f32_i32_e32 v26, v26
	v_cvt_f32_i32_e32 v28, v28
	v_cvt_f32_i32_e32 v16, v16
	v_bfe_i32 v37, v7, 16, 8
	v_dual_fmac_f32 v23, v25, v35 :: v_dual_fmac_f32 v24, v27, v36
	v_fmac_f32_e32 v8, v19, v35
	v_fmac_f32_e32 v22, v15, v35
	v_bfe_i32 v32, v18, 0, 8
	v_bfe_i32 v33, v18, 8, 8
	;; [unrolled: 1-line block ×3, first 2 shown]
	v_ashrrev_i32_e32 v18, 24, v18
	v_cvt_f32_i32_e32 v29, v29
	v_cvt_f32_i32_e32 v30, v30
	;; [unrolled: 1-line block ×4, first 2 shown]
	v_ashrrev_i32_e32 v7, 24, v7
	v_cvt_f32_i32_e32 v15, v37
	v_fmac_f32_e32 v23, v28, v36
	v_fmac_f32_e32 v8, v26, v36
	;; [unrolled: 1-line block ×3, first 2 shown]
	v_cvt_f32_i32_e32 v32, v32
	v_cvt_f32_i32_e32 v33, v33
	;; [unrolled: 1-line block ×5, first 2 shown]
	v_fmac_f32_e32 v8, v29, v15
	v_fmac_f32_e32 v24, v30, v15
	;; [unrolled: 1-line block ×4, first 2 shown]
	s_delay_alu instid0(VALU_DEP_4) | instskip(NEXT) | instid1(VALU_DEP_4)
	v_fmac_f32_e32 v8, v32, v7
	v_fmac_f32_e32 v24, v33, v7
	s_delay_alu instid0(VALU_DEP_4) | instskip(NEXT) | instid1(VALU_DEP_4)
	v_fmac_f32_e32 v23, v34, v7
	v_fmac_f32_e32 v22, v18, v7
	s_wait_alu 0xfffe
	s_and_not1_b32 exec_lo, exec_lo, s3
	s_cbranch_execnz .LBB80_29
; %bb.30:
	s_or_b32 exec_lo, exec_lo, s3
.LBB80_31:
	s_wait_alu 0xfffe
	s_or_b32 exec_lo, exec_lo, s2
	s_delay_alu instid0(SALU_CYCLE_1)
	s_mov_b32 s10, exec_lo
	v_cmpx_lt_u64_e32 11, v[9:10]
	s_cbranch_execz .LBB80_35
; %bb.32:
	v_lshlrev_b64_e32 v[9:10], 2, v[0:1]
	s_delay_alu instid0(VALU_DEP_1) | instskip(SKIP_1) | instid1(VALU_DEP_2)
	v_add_co_u32 v7, vcc_lo, s8, v9
	s_wait_alu 0xfffd
	v_add_co_ci_u32_e64 v10, null, s9, v10, vcc_lo
	s_mov_b32 s8, 0
	v_add_co_u32 v9, vcc_lo, v7, 32
	s_wait_alu 0xfffd
	v_add_co_ci_u32_e64 v10, null, 0, v10, vcc_lo
.LBB80_33:                              ; =>This Inner Loop Header: Depth=1
	s_clause 0x3
	global_load_b32 v7, v[9:10], off offset:-32
	global_load_b32 v19, v[9:10], off offset:-16
	global_load_b32 v20, v[9:10], off
	global_load_b32 v33, v[9:10], off offset:16
	s_clause 0x3
	global_load_b128 v[11:14], v[5:6], off
	global_load_b128 v[15:18], v[5:6], off offset:64
	global_load_b128 v[25:28], v[5:6], off offset:128
	;; [unrolled: 1-line block ×3, first 2 shown]
	s_wait_loadcnt 0x7
	v_subrev_nc_u32_e32 v7, s16, v7
	s_wait_loadcnt 0x6
	v_subrev_nc_u32_e32 v19, s16, v19
	;; [unrolled: 2-line block ×4, first 2 shown]
	s_wait_loadcnt 0x3
	v_bfe_i32 v42, v13, 16, 8
	v_lshlrev_b32_e32 v7, 2, v7
	v_lshlrev_b32_e32 v19, 2, v19
	;; [unrolled: 1-line block ×4, first 2 shown]
	v_cvt_f32_i32_e32 v42, v42
	v_ashrrev_i32_e32 v36, 31, v7
	v_ashrrev_i32_e32 v39, 31, v19
	;; [unrolled: 1-line block ×4, first 2 shown]
	s_wait_kmcnt 0x0
	v_add_co_u32 v37, s4, s6, v7
	v_add_co_u32 v19, vcc_lo, s6, v19
	v_add_co_u32 v33, s2, s6, v20
	s_wait_alu 0xf1ff
	v_add_co_ci_u32_e64 v38, null, s7, v36, s4
	v_add_co_u32 v35, s3, s6, v34
	s_wait_alu 0xfffd
	v_add_co_ci_u32_e64 v20, null, s7, v39, vcc_lo
	v_add_co_ci_u32_e64 v34, null, s7, v40, s2
	s_wait_alu 0xf1ff
	v_add_co_ci_u32_e64 v36, null, s7, v41, s3
	s_clause 0x3
	global_load_b32 v7, v[37:38], off
	global_load_b32 v19, v[19:20], off
	;; [unrolled: 1-line block ×4, first 2 shown]
	v_bfe_i32 v36, v11, 16, 8
	v_bfe_i32 v34, v11, 0, 8
	;; [unrolled: 1-line block ×3, first 2 shown]
	v_ashrrev_i32_e32 v11, 24, v11
	v_bfe_i32 v39, v12, 16, 8
	v_cvt_f32_i32_e32 v36, v36
	v_bfe_i32 v37, v12, 0, 8
	v_bfe_i32 v38, v12, 8, 8
	v_ashrrev_i32_e32 v12, 24, v12
	v_cvt_f32_i32_e32 v34, v34
	v_cvt_f32_i32_e32 v35, v35
	;; [unrolled: 1-line block ×4, first 2 shown]
	v_bfe_i32 v40, v13, 0, 8
	v_bfe_i32 v41, v13, 8, 8
	v_ashrrev_i32_e32 v13, 24, v13
	v_cvt_f32_i32_e32 v37, v37
	v_cvt_f32_i32_e32 v38, v38
	;; [unrolled: 1-line block ×3, first 2 shown]
	v_bfe_i32 v43, v14, 0, 8
	v_bfe_i32 v44, v14, 8, 8
	v_bfe_i32 v45, v14, 16, 8
	v_ashrrev_i32_e32 v14, 24, v14
	v_cvt_f32_i32_e32 v40, v40
	v_cvt_f32_i32_e32 v41, v41
	v_cvt_f32_i32_e32 v13, v13
	s_wait_loadcnt 0x6
	v_bfe_i32 v46, v15, 0, 8
	v_bfe_i32 v47, v15, 8, 8
	v_bfe_i32 v48, v15, 16, 8
	v_ashrrev_i32_e32 v15, 24, v15
	v_cvt_f32_i32_e32 v43, v43
	v_cvt_f32_i32_e32 v44, v44
	v_cvt_f32_i32_e32 v45, v45
	v_cvt_f32_i32_e32 v14, v14
	v_bfe_i32 v49, v16, 0, 8
	v_bfe_i32 v50, v16, 8, 8
	v_bfe_i32 v51, v16, 16, 8
	v_ashrrev_i32_e32 v16, 24, v16
	v_cvt_f32_i32_e32 v46, v46
	v_cvt_f32_i32_e32 v47, v47
	v_cvt_f32_i32_e32 v48, v48
	v_cvt_f32_i32_e32 v15, v15
	;; [unrolled: 8-line block ×4, first 2 shown]
	s_wait_loadcnt 0x5
	v_bfe_i32 v58, v25, 0, 8
	v_bfe_i32 v59, v25, 8, 8
	v_bfe_i32 v60, v25, 16, 8
	v_ashrrev_i32_e32 v25, 24, v25
	v_cvt_f32_i32_e32 v55, v55
	v_cvt_f32_i32_e32 v56, v56
	v_cvt_f32_i32_e32 v57, v57
	v_cvt_f32_i32_e32 v18, v18
	v_bfe_i32 v61, v26, 0, 8
	v_bfe_i32 v62, v26, 8, 8
	v_bfe_i32 v63, v26, 16, 8
	v_ashrrev_i32_e32 v26, 24, v26
	v_cvt_f32_i32_e32 v58, v58
	v_cvt_f32_i32_e32 v59, v59
	v_cvt_f32_i32_e32 v60, v60
	v_cvt_f32_i32_e32 v25, v25
	;; [unrolled: 8-line block ×4, first 2 shown]
	s_wait_loadcnt 0x4
	v_bfe_i32 v70, v29, 0, 8
	v_bfe_i32 v71, v29, 8, 8
	v_bfe_i32 v72, v29, 16, 8
	v_ashrrev_i32_e32 v29, 24, v29
	v_cvt_f32_i32_e32 v67, v67
	v_cvt_f32_i32_e32 v68, v68
	v_cvt_f32_i32_e32 v69, v69
	v_cvt_f32_i32_e32 v28, v28
	v_bfe_i32 v73, v30, 0, 8
	v_bfe_i32 v74, v30, 8, 8
	v_bfe_i32 v75, v30, 16, 8
	v_ashrrev_i32_e32 v30, 24, v30
	v_cvt_f32_i32_e32 v70, v70
	v_cvt_f32_i32_e32 v71, v71
	v_cvt_f32_i32_e32 v72, v72
	v_cvt_f32_i32_e32 v29, v29
	;; [unrolled: 8-line block ×3, first 2 shown]
	v_add_co_u32 v5, vcc_lo, 0x100, v5
	s_wait_alu 0xfffd
	v_add_co_ci_u32_e64 v6, null, 0, v6, vcc_lo
	v_add_co_u32 v0, vcc_lo, v0, 16
	v_bfe_i32 v79, v32, 0, 8
	v_bfe_i32 v80, v32, 8, 8
	;; [unrolled: 1-line block ×3, first 2 shown]
	v_ashrrev_i32_e32 v32, 24, v32
	v_cvt_f32_i32_e32 v76, v76
	v_cvt_f32_i32_e32 v77, v77
	;; [unrolled: 1-line block ×4, first 2 shown]
	s_wait_alu 0xfffd
	v_add_co_ci_u32_e64 v1, null, 0, v1, vcc_lo
	v_add_co_u32 v9, vcc_lo, v9, 64
	v_cvt_f32_i32_e32 v79, v79
	v_cvt_f32_i32_e32 v80, v80
	;; [unrolled: 1-line block ×4, first 2 shown]
	s_wait_alu 0xfffd
	v_add_co_ci_u32_e64 v10, null, 0, v10, vcc_lo
	v_cmp_ge_i64_e32 vcc_lo, v[0:1], v[2:3]
	s_wait_alu 0xfffe
	s_or_b32 s8, vcc_lo, s8
	s_wait_loadcnt 0x3
	v_bfe_i32 v82, v7, 0, 8
	v_bfe_i32 v83, v7, 8, 8
	;; [unrolled: 1-line block ×3, first 2 shown]
	v_ashrrev_i32_e32 v7, 24, v7
	s_wait_loadcnt 0x2
	v_bfe_i32 v85, v19, 0, 8
	v_cvt_f32_i32_e32 v82, v82
	v_cvt_f32_i32_e32 v83, v83
	v_bfe_i32 v86, v19, 8, 8
	v_cvt_f32_i32_e32 v7, v7
	v_bfe_i32 v87, v19, 16, 8
	v_fmac_f32_e32 v23, v36, v82
	v_fmac_f32_e32 v8, v34, v82
	v_fmac_f32_e32 v24, v35, v82
	v_ashrrev_i32_e32 v19, 24, v19
	s_wait_loadcnt 0x1
	v_bfe_i32 v88, v20, 0, 8
	v_fmac_f32_e32 v23, v39, v83
	v_fmac_f32_e32 v22, v11, v82
	v_cvt_f32_i32_e32 v11, v84
	v_fmac_f32_e32 v8, v37, v83
	v_fmac_f32_e32 v24, v38, v83
	v_bfe_i32 v89, v20, 8, 8
	v_bfe_i32 v90, v20, 16, 8
	v_fmac_f32_e32 v23, v42, v11
	v_fmac_f32_e32 v22, v12, v83
	;; [unrolled: 1-line block ×4, first 2 shown]
	v_ashrrev_i32_e32 v20, 24, v20
	v_fmac_f32_e32 v23, v45, v7
	v_fmac_f32_e32 v22, v13, v11
	v_cvt_f32_i32_e32 v11, v85
	v_fmac_f32_e32 v8, v43, v7
	v_fmac_f32_e32 v24, v44, v7
	s_wait_loadcnt 0x0
	v_bfe_i32 v91, v33, 0, 8
	v_fmac_f32_e32 v22, v14, v7
	v_cvt_f32_i32_e32 v7, v86
	v_fmac_f32_e32 v8, v46, v11
	v_fmac_f32_e32 v24, v47, v11
	v_fmac_f32_e32 v23, v48, v11
	v_fmac_f32_e32 v22, v15, v11
	v_cvt_f32_i32_e32 v11, v87
	v_fmac_f32_e32 v8, v49, v7
	v_fmac_f32_e32 v24, v50, v7
	v_fmac_f32_e32 v23, v51, v7
	;; [unrolled: 5-line block ×7, first 2 shown]
	v_fmac_f32_e32 v22, v27, v11
	v_bfe_i32 v92, v33, 8, 8
	v_cvt_f32_i32_e32 v11, v91
	v_fmac_f32_e32 v8, v67, v7
	v_fmac_f32_e32 v24, v68, v7
	;; [unrolled: 1-line block ×4, first 2 shown]
	v_bfe_i32 v34, v33, 16, 8
	v_cvt_f32_i32_e32 v7, v92
	v_fmac_f32_e32 v8, v70, v11
	v_fmac_f32_e32 v24, v71, v11
	;; [unrolled: 1-line block ×4, first 2 shown]
	v_ashrrev_i32_e32 v33, 24, v33
	v_cvt_f32_i32_e32 v11, v34
	v_fmac_f32_e32 v8, v73, v7
	v_fmac_f32_e32 v24, v74, v7
	v_fmac_f32_e32 v23, v75, v7
	v_fmac_f32_e32 v22, v30, v7
	v_cvt_f32_i32_e32 v7, v33
	v_fmac_f32_e32 v8, v76, v11
	v_fmac_f32_e32 v24, v77, v11
	;; [unrolled: 1-line block ×4, first 2 shown]
	s_delay_alu instid0(VALU_DEP_4) | instskip(NEXT) | instid1(VALU_DEP_4)
	v_fmac_f32_e32 v8, v79, v7
	v_fmac_f32_e32 v24, v80, v7
	s_delay_alu instid0(VALU_DEP_4) | instskip(NEXT) | instid1(VALU_DEP_4)
	v_fmac_f32_e32 v23, v81, v7
	v_fmac_f32_e32 v22, v32, v7
	s_wait_alu 0xfffe
	s_and_not1_b32 exec_lo, exec_lo, s8
	s_cbranch_execnz .LBB80_33
; %bb.34:
	s_or_b32 exec_lo, exec_lo, s8
.LBB80_35:
	s_wait_alu 0xfffe
	s_or_b32 exec_lo, exec_lo, s10
.LBB80_36:
	s_wait_alu 0xfffe
	s_or_b32 exec_lo, exec_lo, s5
.LBB80_37:
	v_mbcnt_lo_u32_b32 v0, -1, 0
	s_mov_b32 s2, -1
	s_delay_alu instid0(VALU_DEP_1) | instskip(NEXT) | instid1(VALU_DEP_1)
	v_xor_b32_e32 v1, 2, v0
	v_cmp_gt_i32_e32 vcc_lo, 32, v1
	s_wait_alu 0xfffd
	v_cndmask_b32_e32 v1, v0, v1, vcc_lo
	s_delay_alu instid0(VALU_DEP_1)
	v_lshlrev_b32_e32 v1, 2, v1
	ds_bpermute_b32 v2, v1, v8
	ds_bpermute_b32 v3, v1, v24
	ds_bpermute_b32 v5, v1, v23
	ds_bpermute_b32 v6, v1, v22
	v_xor_b32_e32 v1, 1, v0
	s_delay_alu instid0(VALU_DEP_1)
	v_cmp_gt_i32_e32 vcc_lo, 32, v1
	s_wait_alu 0xfffd
	v_cndmask_b32_e32 v0, v0, v1, vcc_lo
	v_cmp_eq_u32_e32 vcc_lo, 3, v21
	s_wait_dscnt 0x2
	v_add_f32_e32 v1, v24, v3
	s_wait_dscnt 0x0
	v_add_f32_e32 v3, v22, v6
	v_dual_add_f32 v0, v8, v2 :: v_dual_lshlrev_b32 v9, 2, v0
	v_add_f32_e32 v2, v23, v5
	ds_bpermute_b32 v6, v9, v1
	ds_bpermute_b32 v5, v9, v0
	;; [unrolled: 1-line block ×4, first 2 shown]
	s_and_b32 exec_lo, exec_lo, vcc_lo
	s_cbranch_execz .LBB80_10
; %bb.38:
	s_load_b64 s[0:1], s[0:1], 0x50
	s_wait_dscnt 0x2
	v_dual_add_f32 v0, v0, v5 :: v_dual_add_f32 v1, v1, v6
	s_wait_dscnt 0x0
	v_dual_add_f32 v2, v2, v7 :: v_dual_add_f32 v3, v3, v8
	v_lshlrev_b32_e32 v4, 2, v4
	s_delay_alu instid0(VALU_DEP_3) | instskip(NEXT) | instid1(VALU_DEP_3)
	v_dual_mul_f32 v0, s14, v0 :: v_dual_mul_f32 v1, s14, v1
	v_dual_mul_f32 v2, s14, v2 :: v_dual_mul_f32 v3, s14, v3
	s_cmp_eq_f32 s12, 0
	s_cbranch_scc0 .LBB80_40
; %bb.39:
	v_ashrrev_i32_e32 v5, 31, v4
	s_mov_b32 s2, 0
	s_delay_alu instid0(VALU_DEP_1) | instskip(SKIP_1) | instid1(VALU_DEP_1)
	v_lshlrev_b64_e32 v[5:6], 2, v[4:5]
	s_wait_kmcnt 0x0
	v_add_co_u32 v5, vcc_lo, s0, v5
	s_wait_alu 0xfffd
	s_delay_alu instid0(VALU_DEP_2)
	v_add_co_ci_u32_e64 v6, null, s1, v6, vcc_lo
	global_store_b128 v[5:6], v[0:3], off
.LBB80_40:
	s_wait_alu 0xfffe
	s_and_not1_b32 vcc_lo, exec_lo, s2
	s_wait_alu 0xfffe
	s_cbranch_vccnz .LBB80_10
; %bb.41:
	v_ashrrev_i32_e32 v5, 31, v4
	s_delay_alu instid0(VALU_DEP_1) | instskip(SKIP_1) | instid1(VALU_DEP_1)
	v_lshlrev_b64_e32 v[4:5], 2, v[4:5]
	s_wait_kmcnt 0x0
	v_add_co_u32 v8, vcc_lo, s0, v4
	s_wait_alu 0xfffd
	s_delay_alu instid0(VALU_DEP_2)
	v_add_co_ci_u32_e64 v9, null, s1, v5, vcc_lo
	global_load_b128 v[4:7], v[8:9], off
	s_wait_loadcnt 0x0
	v_dual_fmac_f32 v0, s12, v4 :: v_dual_fmac_f32 v1, s12, v5
	v_dual_fmac_f32 v2, s12, v6 :: v_dual_fmac_f32 v3, s12, v7
	global_store_b128 v[8:9], v[0:3], off
	s_nop 0
	s_sendmsg sendmsg(MSG_DEALLOC_VGPRS)
	s_endpgm
	.section	.rodata,"a",@progbits
	.p2align	6, 0x0
	.amdhsa_kernel _ZN9rocsparseL18bsrxmvn_4x4_kernelILj128ELj4EfliaafEEvT3_20rocsparse_direction_NS_24const_host_device_scalarIT1_EES1_PKS1_PKT2_SA_S7_PKT4_PKT5_S5_PT6_21rocsparse_index_base_b
		.amdhsa_group_segment_fixed_size 0
		.amdhsa_private_segment_fixed_size 0
		.amdhsa_kernarg_size 96
		.amdhsa_user_sgpr_count 2
		.amdhsa_user_sgpr_dispatch_ptr 0
		.amdhsa_user_sgpr_queue_ptr 0
		.amdhsa_user_sgpr_kernarg_segment_ptr 1
		.amdhsa_user_sgpr_dispatch_id 0
		.amdhsa_user_sgpr_private_segment_size 0
		.amdhsa_wavefront_size32 1
		.amdhsa_uses_dynamic_stack 0
		.amdhsa_enable_private_segment 0
		.amdhsa_system_sgpr_workgroup_id_x 1
		.amdhsa_system_sgpr_workgroup_id_y 0
		.amdhsa_system_sgpr_workgroup_id_z 0
		.amdhsa_system_sgpr_workgroup_info 0
		.amdhsa_system_vgpr_workitem_id 0
		.amdhsa_next_free_vgpr 99
		.amdhsa_next_free_sgpr 18
		.amdhsa_reserve_vcc 1
		.amdhsa_float_round_mode_32 0
		.amdhsa_float_round_mode_16_64 0
		.amdhsa_float_denorm_mode_32 3
		.amdhsa_float_denorm_mode_16_64 3
		.amdhsa_fp16_overflow 0
		.amdhsa_workgroup_processor_mode 1
		.amdhsa_memory_ordered 1
		.amdhsa_forward_progress 1
		.amdhsa_inst_pref_size 47
		.amdhsa_round_robin_scheduling 0
		.amdhsa_exception_fp_ieee_invalid_op 0
		.amdhsa_exception_fp_denorm_src 0
		.amdhsa_exception_fp_ieee_div_zero 0
		.amdhsa_exception_fp_ieee_overflow 0
		.amdhsa_exception_fp_ieee_underflow 0
		.amdhsa_exception_fp_ieee_inexact 0
		.amdhsa_exception_int_div_zero 0
	.end_amdhsa_kernel
	.section	.text._ZN9rocsparseL18bsrxmvn_4x4_kernelILj128ELj4EfliaafEEvT3_20rocsparse_direction_NS_24const_host_device_scalarIT1_EES1_PKS1_PKT2_SA_S7_PKT4_PKT5_S5_PT6_21rocsparse_index_base_b,"axG",@progbits,_ZN9rocsparseL18bsrxmvn_4x4_kernelILj128ELj4EfliaafEEvT3_20rocsparse_direction_NS_24const_host_device_scalarIT1_EES1_PKS1_PKT2_SA_S7_PKT4_PKT5_S5_PT6_21rocsparse_index_base_b,comdat
.Lfunc_end80:
	.size	_ZN9rocsparseL18bsrxmvn_4x4_kernelILj128ELj4EfliaafEEvT3_20rocsparse_direction_NS_24const_host_device_scalarIT1_EES1_PKS1_PKT2_SA_S7_PKT4_PKT5_S5_PT6_21rocsparse_index_base_b, .Lfunc_end80-_ZN9rocsparseL18bsrxmvn_4x4_kernelILj128ELj4EfliaafEEvT3_20rocsparse_direction_NS_24const_host_device_scalarIT1_EES1_PKS1_PKT2_SA_S7_PKT4_PKT5_S5_PT6_21rocsparse_index_base_b
                                        ; -- End function
	.set _ZN9rocsparseL18bsrxmvn_4x4_kernelILj128ELj4EfliaafEEvT3_20rocsparse_direction_NS_24const_host_device_scalarIT1_EES1_PKS1_PKT2_SA_S7_PKT4_PKT5_S5_PT6_21rocsparse_index_base_b.num_vgpr, 99
	.set _ZN9rocsparseL18bsrxmvn_4x4_kernelILj128ELj4EfliaafEEvT3_20rocsparse_direction_NS_24const_host_device_scalarIT1_EES1_PKS1_PKT2_SA_S7_PKT4_PKT5_S5_PT6_21rocsparse_index_base_b.num_agpr, 0
	.set _ZN9rocsparseL18bsrxmvn_4x4_kernelILj128ELj4EfliaafEEvT3_20rocsparse_direction_NS_24const_host_device_scalarIT1_EES1_PKS1_PKT2_SA_S7_PKT4_PKT5_S5_PT6_21rocsparse_index_base_b.numbered_sgpr, 18
	.set _ZN9rocsparseL18bsrxmvn_4x4_kernelILj128ELj4EfliaafEEvT3_20rocsparse_direction_NS_24const_host_device_scalarIT1_EES1_PKS1_PKT2_SA_S7_PKT4_PKT5_S5_PT6_21rocsparse_index_base_b.num_named_barrier, 0
	.set _ZN9rocsparseL18bsrxmvn_4x4_kernelILj128ELj4EfliaafEEvT3_20rocsparse_direction_NS_24const_host_device_scalarIT1_EES1_PKS1_PKT2_SA_S7_PKT4_PKT5_S5_PT6_21rocsparse_index_base_b.private_seg_size, 0
	.set _ZN9rocsparseL18bsrxmvn_4x4_kernelILj128ELj4EfliaafEEvT3_20rocsparse_direction_NS_24const_host_device_scalarIT1_EES1_PKS1_PKT2_SA_S7_PKT4_PKT5_S5_PT6_21rocsparse_index_base_b.uses_vcc, 1
	.set _ZN9rocsparseL18bsrxmvn_4x4_kernelILj128ELj4EfliaafEEvT3_20rocsparse_direction_NS_24const_host_device_scalarIT1_EES1_PKS1_PKT2_SA_S7_PKT4_PKT5_S5_PT6_21rocsparse_index_base_b.uses_flat_scratch, 0
	.set _ZN9rocsparseL18bsrxmvn_4x4_kernelILj128ELj4EfliaafEEvT3_20rocsparse_direction_NS_24const_host_device_scalarIT1_EES1_PKS1_PKT2_SA_S7_PKT4_PKT5_S5_PT6_21rocsparse_index_base_b.has_dyn_sized_stack, 0
	.set _ZN9rocsparseL18bsrxmvn_4x4_kernelILj128ELj4EfliaafEEvT3_20rocsparse_direction_NS_24const_host_device_scalarIT1_EES1_PKS1_PKT2_SA_S7_PKT4_PKT5_S5_PT6_21rocsparse_index_base_b.has_recursion, 0
	.set _ZN9rocsparseL18bsrxmvn_4x4_kernelILj128ELj4EfliaafEEvT3_20rocsparse_direction_NS_24const_host_device_scalarIT1_EES1_PKS1_PKT2_SA_S7_PKT4_PKT5_S5_PT6_21rocsparse_index_base_b.has_indirect_call, 0
	.section	.AMDGPU.csdata,"",@progbits
; Kernel info:
; codeLenInByte = 5932
; TotalNumSgprs: 20
; NumVgprs: 99
; ScratchSize: 0
; MemoryBound: 0
; FloatMode: 240
; IeeeMode: 1
; LDSByteSize: 0 bytes/workgroup (compile time only)
; SGPRBlocks: 0
; VGPRBlocks: 12
; NumSGPRsForWavesPerEU: 20
; NumVGPRsForWavesPerEU: 99
; Occupancy: 12
; WaveLimiterHint : 1
; COMPUTE_PGM_RSRC2:SCRATCH_EN: 0
; COMPUTE_PGM_RSRC2:USER_SGPR: 2
; COMPUTE_PGM_RSRC2:TRAP_HANDLER: 0
; COMPUTE_PGM_RSRC2:TGID_X_EN: 1
; COMPUTE_PGM_RSRC2:TGID_Y_EN: 0
; COMPUTE_PGM_RSRC2:TGID_Z_EN: 0
; COMPUTE_PGM_RSRC2:TIDIG_COMP_CNT: 0
	.section	.text._ZN9rocsparseL18bsrxmvn_4x4_kernelILj128ELj8EfliaafEEvT3_20rocsparse_direction_NS_24const_host_device_scalarIT1_EES1_PKS1_PKT2_SA_S7_PKT4_PKT5_S5_PT6_21rocsparse_index_base_b,"axG",@progbits,_ZN9rocsparseL18bsrxmvn_4x4_kernelILj128ELj8EfliaafEEvT3_20rocsparse_direction_NS_24const_host_device_scalarIT1_EES1_PKS1_PKT2_SA_S7_PKT4_PKT5_S5_PT6_21rocsparse_index_base_b,comdat
	.globl	_ZN9rocsparseL18bsrxmvn_4x4_kernelILj128ELj8EfliaafEEvT3_20rocsparse_direction_NS_24const_host_device_scalarIT1_EES1_PKS1_PKT2_SA_S7_PKT4_PKT5_S5_PT6_21rocsparse_index_base_b ; -- Begin function _ZN9rocsparseL18bsrxmvn_4x4_kernelILj128ELj8EfliaafEEvT3_20rocsparse_direction_NS_24const_host_device_scalarIT1_EES1_PKS1_PKT2_SA_S7_PKT4_PKT5_S5_PT6_21rocsparse_index_base_b
	.p2align	8
	.type	_ZN9rocsparseL18bsrxmvn_4x4_kernelILj128ELj8EfliaafEEvT3_20rocsparse_direction_NS_24const_host_device_scalarIT1_EES1_PKS1_PKT2_SA_S7_PKT4_PKT5_S5_PT6_21rocsparse_index_base_b,@function
_ZN9rocsparseL18bsrxmvn_4x4_kernelILj128ELj8EfliaafEEvT3_20rocsparse_direction_NS_24const_host_device_scalarIT1_EES1_PKS1_PKT2_SA_S7_PKT4_PKT5_S5_PT6_21rocsparse_index_base_b: ; @_ZN9rocsparseL18bsrxmvn_4x4_kernelILj128ELj8EfliaafEEvT3_20rocsparse_direction_NS_24const_host_device_scalarIT1_EES1_PKS1_PKT2_SA_S7_PKT4_PKT5_S5_PT6_21rocsparse_index_base_b
; %bb.0:
	s_clause 0x2
	s_load_b64 s[16:17], s[0:1], 0x58
	s_load_b64 s[14:15], s[0:1], 0x8
	;; [unrolled: 1-line block ×3, first 2 shown]
	s_wait_kmcnt 0x0
	s_bitcmp1_b32 s17, 0
	s_cselect_b32 s2, -1, 0
	s_delay_alu instid0(SALU_CYCLE_1)
	s_and_b32 vcc_lo, exec_lo, s2
	s_xor_b32 s2, s2, -1
	s_cbranch_vccnz .LBB81_2
; %bb.1:
	s_load_b32 s14, s[14:15], 0x0
.LBB81_2:
	s_and_not1_b32 vcc_lo, exec_lo, s2
	s_cbranch_vccnz .LBB81_4
; %bb.3:
	s_load_b32 s12, s[12:13], 0x0
.LBB81_4:
	s_wait_kmcnt 0x0
	s_cmp_neq_f32 s14, 0
	s_mov_b32 s6, 0
	s_cselect_b32 s2, -1, 0
	s_cmp_neq_f32 s12, 1.0
	s_cselect_b32 s3, -1, 0
	s_delay_alu instid0(SALU_CYCLE_1) | instskip(NEXT) | instid1(SALU_CYCLE_1)
	s_or_b32 s2, s2, s3
	s_and_not1_b32 vcc_lo, exec_lo, s2
	s_cbranch_vccnz .LBB81_10
; %bb.5:
	s_clause 0x1
	s_load_b64 s[4:5], s[0:1], 0x18
	s_load_b64 s[2:3], s[0:1], 0x0
	v_lshrrev_b32_e32 v1, 3, v0
	s_delay_alu instid0(VALU_DEP_1)
	v_lshl_or_b32 v4, ttmp9, 4, v1
	s_wait_kmcnt 0x0
	s_cmp_lg_u64 s[4:5], 0
	s_cbranch_scc0 .LBB81_11
; %bb.6:
	s_load_b32 s6, s[0:1], 0x10
	s_mov_b32 s7, 0
                                        ; implicit-def: $vgpr1
	s_wait_kmcnt 0x0
	v_cmp_gt_i32_e32 vcc_lo, s6, v4
	s_mov_b32 s6, 0
	s_and_saveexec_b32 s8, vcc_lo
	s_delay_alu instid0(SALU_CYCLE_1)
	s_xor_b32 s8, exec_lo, s8
	s_cbranch_execz .LBB81_8
; %bb.7:
	v_ashrrev_i32_e32 v5, 31, v4
	s_mov_b32 s6, exec_lo
	s_delay_alu instid0(VALU_DEP_1) | instskip(NEXT) | instid1(VALU_DEP_1)
	v_lshlrev_b64_e32 v[1:2], 2, v[4:5]
	v_add_co_u32 v1, vcc_lo, s4, v1
	s_delay_alu instid0(VALU_DEP_1)
	v_add_co_ci_u32_e64 v2, null, s5, v2, vcc_lo
	global_load_b32 v1, v[1:2], off
	s_wait_loadcnt 0x0
	v_subrev_nc_u32_e32 v1, s16, v1
.LBB81_8:
	s_or_b32 exec_lo, exec_lo, s8
	s_delay_alu instid0(SALU_CYCLE_1)
	s_and_b32 vcc_lo, exec_lo, s7
	s_wait_alu 0xfffe
	s_cbranch_vccz .LBB81_12
.LBB81_9:
	v_cmp_gt_i32_e32 vcc_lo, s2, v4
	s_and_not1_b32 s2, s6, exec_lo
	s_and_b32 s4, vcc_lo, exec_lo
	s_wait_alu 0xfffe
	s_or_b32 s6, s2, s4
	s_wait_alu 0xfffe
	s_and_saveexec_b32 s2, s6
	s_cbranch_execnz .LBB81_13
.LBB81_10:
	s_nop 0
	s_sendmsg sendmsg(MSG_DEALLOC_VGPRS)
	s_endpgm
.LBB81_11:
                                        ; implicit-def: $vgpr1
	s_cbranch_execnz .LBB81_9
.LBB81_12:
	v_mov_b32_e32 v4, v1
	s_and_saveexec_b32 s2, s6
	s_cbranch_execz .LBB81_10
.LBB81_13:
	s_load_b256 s[4:11], s[0:1], 0x20
	s_delay_alu instid0(VALU_DEP_1) | instskip(SKIP_1) | instid1(VALU_DEP_2)
	v_ashrrev_i32_e32 v5, 31, v4
	v_dual_mov_b32 v22, 0 :: v_dual_and_b32 v21, 7, v0
	v_lshlrev_b64_e32 v[1:2], 3, v[4:5]
	s_wait_kmcnt 0x0
	s_delay_alu instid0(VALU_DEP_1) | instskip(SKIP_1) | instid1(VALU_DEP_2)
	v_add_co_u32 v5, vcc_lo, s4, v1
	s_wait_alu 0xfffd
	v_add_co_ci_u32_e64 v6, null, s5, v2, vcc_lo
	v_add_co_u32 v1, vcc_lo, s6, v1
	s_wait_alu 0xfffd
	v_add_co_ci_u32_e64 v2, null, s7, v2, vcc_lo
	v_add_co_u32 v3, vcc_lo, v5, 8
	global_load_b64 v[9:10], v[5:6], off
	s_wait_alu 0xfffd
	v_add_co_ci_u32_e64 v7, null, 0, v6, vcc_lo
	s_cmp_eq_u64 s[6:7], 0
	s_load_b64 s[6:7], s[0:1], 0x40
	s_cselect_b32 vcc_lo, -1, 0
	s_cmp_eq_u32 s3, 1
	s_wait_alu 0xfffe
	v_cndmask_b32_e32 v2, v2, v7, vcc_lo
	v_cndmask_b32_e32 v1, v1, v3, vcc_lo
	global_load_b64 v[2:3], v[1:2], off
	s_wait_loadcnt 0x1
	v_sub_co_u32 v0, vcc_lo, v9, s16
	s_wait_alu 0xfffd
	v_subrev_co_ci_u32_e64 v1, null, 0, v10, vcc_lo
	s_delay_alu instid0(VALU_DEP_2) | instskip(SKIP_1) | instid1(VALU_DEP_2)
	v_add_co_u32 v0, vcc_lo, v0, v21
	s_wait_alu 0xfffd
	v_add_co_ci_u32_e64 v1, null, 0, v1, vcc_lo
	s_delay_alu instid0(VALU_DEP_1) | instskip(SKIP_4) | instid1(VALU_DEP_3)
	v_lshlrev_b64_e32 v[5:6], 4, v[0:1]
	s_wait_loadcnt 0x0
	v_sub_co_u32 v2, vcc_lo, v2, s16
	s_wait_alu 0xfffd
	v_subrev_co_ci_u32_e64 v3, null, 0, v3, vcc_lo
	v_add_co_u32 v5, vcc_lo, s10, v5
	s_delay_alu instid0(VALU_DEP_2)
	v_cmp_lt_i64_e64 s2, v[0:1], v[2:3]
	s_wait_alu 0xfffd
	v_add_co_ci_u32_e64 v6, null, s11, v6, vcc_lo
	s_cbranch_scc1 .LBB81_25
; %bb.14:
	v_dual_mov_b32 v23, 0 :: v_dual_mov_b32 v24, 0
	v_mov_b32_e32 v8, 0
	s_and_saveexec_b32 s10, s2
	s_cbranch_execz .LBB81_24
; %bb.15:
	v_or_b32_e32 v7, 8, v21
	v_not_b32_e32 v12, v9
	v_not_b32_e32 v11, v10
	s_delay_alu instid0(VALU_DEP_3) | instskip(SKIP_3) | instid1(VALU_DEP_3)
	v_sub_co_u32 v7, s3, v7, s16
	s_wait_alu 0xf1ff
	v_sub_co_ci_u32_e64 v8, null, 0, 0, s3
	v_sub_co_u32 v13, s3, s16, v21
	v_add_co_u32 v7, vcc_lo, v7, v9
	s_wait_alu 0xfffd
	s_delay_alu instid0(VALU_DEP_3)
	v_add_co_ci_u32_e64 v8, null, v8, v10, vcc_lo
	s_wait_alu 0xf1ff
	v_sub_co_ci_u32_e64 v14, null, 0, 0, s3
	s_mov_b32 s3, exec_lo
	v_cmp_gt_i64_e32 vcc_lo, v[7:8], v[2:3]
	s_wait_alu 0xfffd
	v_dual_cndmask_b32 v16, v3, v8 :: v_dual_cndmask_b32 v7, v2, v7
	v_add_co_u32 v8, vcc_lo, v13, v12
	s_wait_alu 0xfffd
	v_add_co_ci_u32_e64 v11, null, v14, v11, vcc_lo
	v_mov_b32_e32 v14, v6
	s_delay_alu instid0(VALU_DEP_3) | instskip(SKIP_4) | instid1(VALU_DEP_3)
	v_add_co_u32 v15, vcc_lo, v8, v7
	v_mov_b32_e32 v8, 0
	s_wait_alu 0xfffd
	v_add_co_ci_u32_e64 v16, null, v11, v16, vcc_lo
	v_dual_mov_b32 v12, v1 :: v_dual_mov_b32 v13, v5
	v_dual_mov_b32 v24, v8 :: v_dual_and_b32 v7, 24, v15
	v_dual_mov_b32 v23, v8 :: v_dual_mov_b32 v22, v8
	v_mov_b32_e32 v11, v0
	s_delay_alu instid0(VALU_DEP_3)
	v_cmpx_ne_u64_e32 24, v[7:8]
	s_cbranch_execz .LBB81_19
; %bb.16:
	v_lshrrev_b32_e32 v7, 3, v15
	v_mov_b32_e32 v22, 0
	v_dual_mov_b32 v14, v6 :: v_dual_mov_b32 v13, v5
	v_dual_mov_b32 v12, v1 :: v_dual_mov_b32 v11, v0
	s_delay_alu instid0(VALU_DEP_4) | instskip(SKIP_2) | instid1(VALU_DEP_3)
	v_add_nc_u32_e32 v17, 1, v7
	v_lshlrev_b64_e32 v[7:8], 2, v[0:1]
	v_dual_mov_b32 v23, 0 :: v_dual_mov_b32 v24, 0
	v_and_b32_e32 v19, 3, v17
	s_delay_alu instid0(VALU_DEP_3) | instskip(SKIP_1) | instid1(VALU_DEP_4)
	v_add_co_u32 v17, vcc_lo, s8, v7
	s_wait_alu 0xfffd
	v_add_co_ci_u32_e64 v18, null, s9, v8, vcc_lo
	v_mov_b32_e32 v8, 0
	v_sub_co_u32 v19, s4, 0, v19
	s_wait_alu 0xf1ff
	v_sub_co_ci_u32_e64 v20, null, 0, 0, s4
	s_mov_b32 s4, 0
.LBB81_17:                              ; =>This Inner Loop Header: Depth=1
	global_load_b32 v7, v[17:18], off
	s_wait_loadcnt 0x0
	v_subrev_nc_u32_e32 v7, s16, v7
	s_delay_alu instid0(VALU_DEP_1) | instskip(NEXT) | instid1(VALU_DEP_1)
	v_lshlrev_b32_e32 v7, 2, v7
	v_ashrrev_i32_e32 v25, 31, v7
	s_wait_kmcnt 0x0
	v_add_co_u32 v29, vcc_lo, s6, v7
	s_wait_alu 0xfffd
	s_delay_alu instid0(VALU_DEP_2)
	v_add_co_ci_u32_e64 v30, null, s7, v25, vcc_lo
	global_load_b128 v[25:28], v[13:14], off
	global_load_b32 v7, v[29:30], off
	v_add_co_u32 v13, vcc_lo, 0x80, v13
	s_wait_alu 0xfffd
	v_add_co_ci_u32_e64 v14, null, 0, v14, vcc_lo
	v_add_co_u32 v11, vcc_lo, v11, 8
	s_wait_alu 0xfffd
	v_add_co_ci_u32_e64 v12, null, 0, v12, vcc_lo
	;; [unrolled: 3-line block ×4, first 2 shown]
	s_delay_alu instid0(VALU_DEP_1)
	v_cmp_eq_u64_e32 vcc_lo, 0, v[19:20]
	s_wait_alu 0xfffe
	s_or_b32 s4, vcc_lo, s4
	s_wait_loadcnt 0x1
	v_bfe_i32 v29, v25, 0, 8
	v_bfe_i32 v35, v27, 0, 8
	s_wait_loadcnt 0x0
	v_bfe_i32 v41, v7, 0, 8
	v_bfe_i32 v30, v25, 8, 8
	;; [unrolled: 1-line block ×4, first 2 shown]
	v_cvt_f32_i32_e32 v29, v29
	v_cvt_f32_i32_e32 v35, v35
	v_bfe_i32 v42, v7, 8, 8
	v_cvt_f32_i32_e32 v41, v41
	v_bfe_i32 v32, v26, 0, 8
	v_bfe_i32 v37, v27, 16, 8
	v_bfe_i32 v39, v28, 8, 8
	v_cvt_f32_i32_e32 v30, v30
	v_cvt_f32_i32_e32 v36, v36
	;; [unrolled: 1-line block ×3, first 2 shown]
	v_bfe_i32 v43, v7, 16, 8
	v_cvt_f32_i32_e32 v42, v42
	v_fmac_f32_e32 v8, v29, v41
	v_fmac_f32_e32 v23, v35, v41
	v_bfe_i32 v33, v26, 8, 8
	v_ashrrev_i32_e32 v27, 24, v27
	v_cvt_f32_i32_e32 v32, v32
	v_cvt_f32_i32_e32 v37, v37
	;; [unrolled: 1-line block ×3, first 2 shown]
	v_ashrrev_i32_e32 v7, 24, v7
	v_cvt_f32_i32_e32 v29, v43
	v_fmac_f32_e32 v8, v30, v42
	v_dual_fmac_f32 v22, v38, v41 :: v_dual_fmac_f32 v23, v36, v42
	v_bfe_i32 v31, v25, 16, 8
	v_bfe_i32 v34, v26, 16, 8
	;; [unrolled: 1-line block ×3, first 2 shown]
	v_cvt_f32_i32_e32 v33, v33
	v_cvt_f32_i32_e32 v27, v27
	v_dual_fmac_f32 v22, v39, v42 :: v_dual_fmac_f32 v23, v37, v29
	v_cvt_f32_i32_e32 v7, v7
	v_fmac_f32_e32 v24, v32, v41
	v_ashrrev_i32_e32 v25, 24, v25
	v_ashrrev_i32_e32 v26, 24, v26
	;; [unrolled: 1-line block ×3, first 2 shown]
	v_cvt_f32_i32_e32 v31, v31
	v_cvt_f32_i32_e32 v34, v34
	;; [unrolled: 1-line block ×3, first 2 shown]
	v_dual_fmac_f32 v23, v27, v7 :: v_dual_fmac_f32 v24, v33, v42
	v_cvt_f32_i32_e32 v25, v25
	v_cvt_f32_i32_e32 v26, v26
	;; [unrolled: 1-line block ×3, first 2 shown]
	v_fmac_f32_e32 v8, v31, v29
	v_fmac_f32_e32 v24, v34, v29
	;; [unrolled: 1-line block ×3, first 2 shown]
	s_delay_alu instid0(VALU_DEP_3) | instskip(NEXT) | instid1(VALU_DEP_3)
	v_fmac_f32_e32 v8, v25, v7
	v_fmac_f32_e32 v24, v26, v7
	s_delay_alu instid0(VALU_DEP_3)
	v_fmac_f32_e32 v22, v28, v7
	s_wait_alu 0xfffe
	s_and_not1_b32 exec_lo, exec_lo, s4
	s_cbranch_execnz .LBB81_17
; %bb.18:
	s_or_b32 exec_lo, exec_lo, s4
.LBB81_19:
	s_wait_alu 0xfffe
	s_or_b32 exec_lo, exec_lo, s3
	s_delay_alu instid0(SALU_CYCLE_1)
	s_mov_b32 s11, exec_lo
	v_cmpx_lt_u64_e32 23, v[15:16]
	s_cbranch_execz .LBB81_23
; %bb.20:
	v_lshlrev_b64_e32 v[15:16], 2, v[11:12]
	s_mov_b32 s13, 0
	s_delay_alu instid0(VALU_DEP_1) | instskip(SKIP_1) | instid1(VALU_DEP_2)
	v_add_co_u32 v7, vcc_lo, s8, v15
	s_wait_alu 0xfffd
	v_add_co_ci_u32_e64 v16, null, s9, v16, vcc_lo
	s_delay_alu instid0(VALU_DEP_2) | instskip(SKIP_1) | instid1(VALU_DEP_2)
	v_add_co_u32 v15, vcc_lo, v7, 64
	s_wait_alu 0xfffd
	v_add_co_ci_u32_e64 v16, null, 0, v16, vcc_lo
.LBB81_21:                              ; =>This Inner Loop Header: Depth=1
	s_clause 0x3
	global_load_b32 v7, v[15:16], off offset:-64
	global_load_b32 v37, v[15:16], off offset:-32
	global_load_b32 v38, v[15:16], off
	global_load_b32 v39, v[15:16], off offset:32
	s_clause 0x3
	global_load_b128 v[17:20], v[13:14], off
	global_load_b128 v[25:28], v[13:14], off offset:128
	global_load_b128 v[29:32], v[13:14], off offset:256
	;; [unrolled: 1-line block ×3, first 2 shown]
	s_wait_loadcnt 0x7
	v_subrev_nc_u32_e32 v7, s16, v7
	s_wait_loadcnt 0x6
	v_subrev_nc_u32_e32 v37, s16, v37
	;; [unrolled: 2-line block ×4, first 2 shown]
	s_wait_loadcnt 0x3
	v_bfe_i32 v48, v19, 16, 8
	v_lshlrev_b32_e32 v7, 2, v7
	v_lshlrev_b32_e32 v37, 2, v37
	v_lshlrev_b32_e32 v38, 2, v38
	v_lshlrev_b32_e32 v40, 2, v39
	v_bfe_i32 v49, v20, 0, 8
	v_ashrrev_i32_e32 v42, 31, v7
	v_ashrrev_i32_e32 v45, 31, v37
	;; [unrolled: 1-line block ×4, first 2 shown]
	s_wait_kmcnt 0x0
	v_add_co_u32 v43, s5, s6, v7
	v_add_co_u32 v37, vcc_lo, s6, v37
	v_add_co_u32 v39, s3, s6, v38
	s_wait_alu 0xf1ff
	v_add_co_ci_u32_e64 v44, null, s7, v42, s5
	v_add_co_u32 v41, s4, s6, v40
	s_wait_alu 0xfffd
	v_add_co_ci_u32_e64 v38, null, s7, v45, vcc_lo
	v_add_co_ci_u32_e64 v40, null, s7, v46, s3
	s_wait_alu 0xf1ff
	v_add_co_ci_u32_e64 v42, null, s7, v47, s4
	s_clause 0x3
	global_load_b32 v7, v[43:44], off
	global_load_b32 v37, v[37:38], off
	;; [unrolled: 1-line block ×4, first 2 shown]
	v_bfe_i32 v46, v19, 0, 8
	v_bfe_i32 v43, v18, 0, 8
	;; [unrolled: 1-line block ×5, first 2 shown]
	v_cvt_f32_i32_e32 v46, v46
	v_cvt_f32_i32_e32 v43, v43
	v_cvt_f32_i32_e32 v47, v47
	v_ashrrev_i32_e32 v19, 24, v19
	v_bfe_i32 v50, v20, 8, 8
	v_cvt_f32_i32_e32 v40, v40
	v_cvt_f32_i32_e32 v48, v48
	;; [unrolled: 1-line block ×3, first 2 shown]
	v_bfe_i32 v44, v18, 8, 8
	v_bfe_i32 v51, v20, 16, 8
	s_wait_loadcnt 0x6
	v_bfe_i32 v58, v27, 0, 8
	v_bfe_i32 v59, v27, 8, 8
	v_bfe_i32 v60, v27, 16, 8
	v_ashrrev_i32_e32 v27, 24, v27
	v_cvt_f32_i32_e32 v41, v41
	v_cvt_f32_i32_e32 v19, v19
	;; [unrolled: 1-line block ×3, first 2 shown]
	v_bfe_i32 v42, v17, 16, 8
	v_bfe_i32 v45, v18, 16, 8
	v_cvt_f32_i32_e32 v44, v44
	v_cvt_f32_i32_e32 v51, v51
	;; [unrolled: 1-line block ×4, first 2 shown]
	v_ashrrev_i32_e32 v17, 24, v17
	v_ashrrev_i32_e32 v18, 24, v18
	;; [unrolled: 1-line block ×3, first 2 shown]
	s_wait_loadcnt 0x5
	v_bfe_i32 v70, v31, 0, 8
	v_cvt_f32_i32_e32 v42, v42
	v_cvt_f32_i32_e32 v45, v45
	;; [unrolled: 1-line block ×3, first 2 shown]
	v_bfe_i32 v52, v25, 0, 8
	v_bfe_i32 v55, v26, 0, 8
	;; [unrolled: 1-line block ×4, first 2 shown]
	s_wait_loadcnt 0x4
	v_bfe_i32 v82, v35, 0, 8
	v_bfe_i32 v84, v35, 16, 8
	v_cvt_f32_i32_e32 v17, v17
	v_cvt_f32_i32_e32 v18, v18
	;; [unrolled: 1-line block ×5, first 2 shown]
	v_bfe_i32 v53, v25, 8, 8
	v_bfe_i32 v56, v26, 8, 8
	;; [unrolled: 1-line block ×4, first 2 shown]
	v_ashrrev_i32_e32 v31, 24, v31
	v_cvt_f32_i32_e32 v52, v52
	v_cvt_f32_i32_e32 v55, v55
	;; [unrolled: 1-line block ×6, first 2 shown]
	v_bfe_i32 v54, v25, 16, 8
	v_bfe_i32 v57, v26, 16, 8
	;; [unrolled: 1-line block ×3, first 2 shown]
	v_cvt_f32_i32_e32 v53, v53
	v_cvt_f32_i32_e32 v56, v56
	;; [unrolled: 1-line block ×5, first 2 shown]
	v_ashrrev_i32_e32 v25, 24, v25
	v_ashrrev_i32_e32 v26, 24, v26
	v_ashrrev_i32_e32 v28, 24, v28
	v_bfe_i32 v83, v35, 8, 8
	v_ashrrev_i32_e32 v35, 24, v35
	v_cvt_f32_i32_e32 v54, v54
	v_cvt_f32_i32_e32 v57, v57
	;; [unrolled: 1-line block ×3, first 2 shown]
	v_bfe_i32 v64, v29, 0, 8
	v_bfe_i32 v67, v30, 0, 8
	;; [unrolled: 1-line block ×3, first 2 shown]
	v_cvt_f32_i32_e32 v25, v25
	v_cvt_f32_i32_e32 v26, v26
	;; [unrolled: 1-line block ×5, first 2 shown]
	v_bfe_i32 v65, v29, 8, 8
	v_bfe_i32 v68, v30, 8, 8
	;; [unrolled: 1-line block ×3, first 2 shown]
	v_cvt_f32_i32_e32 v64, v64
	v_cvt_f32_i32_e32 v67, v67
	;; [unrolled: 1-line block ×3, first 2 shown]
	v_bfe_i32 v66, v29, 16, 8
	v_bfe_i32 v69, v30, 16, 8
	;; [unrolled: 1-line block ×3, first 2 shown]
	v_cvt_f32_i32_e32 v65, v65
	v_cvt_f32_i32_e32 v68, v68
	;; [unrolled: 1-line block ×3, first 2 shown]
	v_ashrrev_i32_e32 v29, 24, v29
	v_ashrrev_i32_e32 v30, 24, v30
	;; [unrolled: 1-line block ×3, first 2 shown]
	v_cvt_f32_i32_e32 v66, v66
	v_cvt_f32_i32_e32 v69, v69
	v_cvt_f32_i32_e32 v75, v75
	v_bfe_i32 v76, v33, 0, 8
	v_bfe_i32 v79, v34, 0, 8
	v_bfe_i32 v85, v36, 0, 8
	v_cvt_f32_i32_e32 v29, v29
	v_cvt_f32_i32_e32 v30, v30
	v_cvt_f32_i32_e32 v32, v32
	v_bfe_i32 v77, v33, 8, 8
	v_bfe_i32 v80, v34, 8, 8
	v_bfe_i32 v86, v36, 8, 8
	;; [unrolled: 6-line block ×3, first 2 shown]
	v_cvt_f32_i32_e32 v77, v77
	v_cvt_f32_i32_e32 v80, v80
	;; [unrolled: 1-line block ×3, first 2 shown]
	v_add_co_u32 v13, vcc_lo, 0x200, v13
	s_wait_alu 0xfffd
	v_add_co_ci_u32_e64 v14, null, 0, v14, vcc_lo
	v_add_co_u32 v11, vcc_lo, v11, 32
	v_ashrrev_i32_e32 v33, 24, v33
	v_ashrrev_i32_e32 v34, 24, v34
	;; [unrolled: 1-line block ×3, first 2 shown]
	v_cvt_f32_i32_e32 v78, v78
	v_cvt_f32_i32_e32 v81, v81
	;; [unrolled: 1-line block ×3, first 2 shown]
	s_wait_alu 0xfffd
	v_add_co_ci_u32_e64 v12, null, 0, v12, vcc_lo
	v_add_co_u32 v15, vcc_lo, 0x80, v15
	v_cvt_f32_i32_e32 v33, v33
	v_cvt_f32_i32_e32 v34, v34
	;; [unrolled: 1-line block ×3, first 2 shown]
	s_wait_alu 0xfffd
	v_add_co_ci_u32_e64 v16, null, 0, v16, vcc_lo
	v_cmp_ge_i64_e32 vcc_lo, v[11:12], v[2:3]
	s_or_b32 s13, vcc_lo, s13
	s_wait_loadcnt 0x3
	v_bfe_i32 v88, v7, 0, 8
	v_bfe_i32 v89, v7, 8, 8
	;; [unrolled: 1-line block ×3, first 2 shown]
	v_ashrrev_i32_e32 v7, 24, v7
	s_wait_loadcnt 0x2
	v_bfe_i32 v91, v37, 0, 8
	v_cvt_f32_i32_e32 v88, v88
	v_cvt_f32_i32_e32 v89, v89
	v_bfe_i32 v92, v37, 8, 8
	v_cvt_f32_i32_e32 v7, v7
	v_bfe_i32 v93, v37, 16, 8
	v_fmac_f32_e32 v23, v46, v88
	v_fmac_f32_e32 v24, v43, v88
	v_cvt_f32_i32_e32 v43, v90
	v_fmac_f32_e32 v8, v40, v88
	v_ashrrev_i32_e32 v37, 24, v37
	v_dual_fmac_f32 v23, v47, v89 :: v_dual_fmac_f32 v22, v49, v88
	s_wait_loadcnt 0x1
	v_bfe_i32 v94, v38, 0, 8
	v_bfe_i32 v95, v38, 8, 8
	;; [unrolled: 1-line block ×3, first 2 shown]
	v_dual_fmac_f32 v23, v48, v43 :: v_dual_fmac_f32 v8, v41, v89
	v_fmac_f32_e32 v22, v50, v89
	v_cvt_f32_i32_e32 v41, v91
	v_ashrrev_i32_e32 v38, 24, v38
	s_delay_alu instid0(VALU_DEP_4)
	v_fmac_f32_e32 v23, v19, v7
	v_fmac_f32_e32 v8, v42, v43
	;; [unrolled: 1-line block ×3, first 2 shown]
	s_wait_loadcnt 0x0
	v_bfe_i32 v97, v39, 0, 8
	v_bfe_i32 v98, v39, 8, 8
	v_fmac_f32_e32 v23, v58, v41
	v_fmac_f32_e32 v24, v44, v89
	;; [unrolled: 1-line block ×4, first 2 shown]
	v_cvt_f32_i32_e32 v17, v93
	v_bfe_i32 v40, v39, 16, 8
	v_fmac_f32_e32 v24, v45, v43
	v_fmac_f32_e32 v8, v52, v41
	v_fmac_f32_e32 v22, v61, v41
	v_ashrrev_i32_e32 v39, 24, v39
	s_delay_alu instid0(VALU_DEP_4) | instskip(SKIP_1) | instid1(VALU_DEP_2)
	v_fmac_f32_e32 v24, v18, v7
	v_cvt_f32_i32_e32 v7, v92
	v_fmac_f32_e32 v24, v55, v41
	s_delay_alu instid0(VALU_DEP_2) | instskip(SKIP_2) | instid1(VALU_DEP_4)
	v_fmac_f32_e32 v8, v53, v7
	v_fmac_f32_e32 v23, v59, v7
	v_fmac_f32_e32 v22, v62, v7
	v_fmac_f32_e32 v24, v56, v7
	v_cvt_f32_i32_e32 v7, v37
	v_fmac_f32_e32 v8, v54, v17
	v_fmac_f32_e32 v23, v60, v17
	v_fmac_f32_e32 v22, v63, v17
	v_fmac_f32_e32 v24, v57, v17
	v_cvt_f32_i32_e32 v17, v94
	;; [unrolled: 5-line block ×9, first 2 shown]
	v_fmac_f32_e32 v8, v78, v17
	v_fmac_f32_e32 v23, v84, v17
	;; [unrolled: 1-line block ×4, first 2 shown]
	s_delay_alu instid0(VALU_DEP_4) | instskip(NEXT) | instid1(VALU_DEP_4)
	v_fmac_f32_e32 v8, v33, v7
	v_fmac_f32_e32 v23, v35, v7
	s_delay_alu instid0(VALU_DEP_4) | instskip(NEXT) | instid1(VALU_DEP_4)
	v_fmac_f32_e32 v22, v36, v7
	v_fmac_f32_e32 v24, v34, v7
	s_and_not1_b32 exec_lo, exec_lo, s13
	s_cbranch_execnz .LBB81_21
; %bb.22:
	s_or_b32 exec_lo, exec_lo, s13
.LBB81_23:
	s_wait_alu 0xfffe
	s_or_b32 exec_lo, exec_lo, s11
.LBB81_24:
	s_wait_alu 0xfffe
	s_or_b32 exec_lo, exec_lo, s10
	s_cbranch_execz .LBB81_26
	s_branch .LBB81_37
.LBB81_25:
                                        ; implicit-def: $vgpr22
                                        ; implicit-def: $vgpr23
                                        ; implicit-def: $vgpr24
                                        ; implicit-def: $vgpr8
.LBB81_26:
	v_dual_mov_b32 v22, 0 :: v_dual_mov_b32 v23, 0
	v_mov_b32_e32 v24, 0
	v_mov_b32_e32 v8, 0
	s_and_saveexec_b32 s5, s2
	s_cbranch_execz .LBB81_36
; %bb.27:
	v_or_b32_e32 v7, 8, v21
	s_delay_alu instid0(VALU_DEP_1) | instskip(SKIP_3) | instid1(VALU_DEP_3)
	v_sub_co_u32 v7, s2, v7, s16
	s_wait_alu 0xf1ff
	v_sub_co_ci_u32_e64 v8, null, 0, 0, s2
	v_sub_co_u32 v11, s2, s16, v21
	v_add_co_u32 v7, vcc_lo, v7, v9
	s_wait_alu 0xfffd
	s_delay_alu instid0(VALU_DEP_3)
	v_add_co_ci_u32_e64 v8, null, v8, v10, vcc_lo
	v_not_b32_e32 v9, v9
	v_not_b32_e32 v10, v10
	s_wait_alu 0xf1ff
	v_sub_co_ci_u32_e64 v12, null, 0, 0, s2
	v_cmp_gt_i64_e32 vcc_lo, v[7:8], v[2:3]
	s_mov_b32 s2, exec_lo
	s_wait_alu 0xfffd
	v_cndmask_b32_e32 v13, v3, v8, vcc_lo
	v_cndmask_b32_e32 v7, v2, v7, vcc_lo
	v_add_co_u32 v8, vcc_lo, v11, v9
	s_wait_alu 0xfffd
	v_add_co_ci_u32_e64 v10, null, v12, v10, vcc_lo
	s_delay_alu instid0(VALU_DEP_2) | instskip(SKIP_2) | instid1(VALU_DEP_3)
	v_add_co_u32 v9, vcc_lo, v8, v7
	v_mov_b32_e32 v8, 0
	s_wait_alu 0xfffd
	v_add_co_ci_u32_e64 v10, null, v10, v13, vcc_lo
	s_delay_alu instid0(VALU_DEP_2) | instskip(SKIP_1) | instid1(VALU_DEP_2)
	v_dual_mov_b32 v22, v8 :: v_dual_and_b32 v7, 24, v9
	v_dual_mov_b32 v24, v8 :: v_dual_mov_b32 v23, v8
	v_cmpx_ne_u64_e32 24, v[7:8]
	s_cbranch_execz .LBB81_31
; %bb.28:
	v_lshrrev_b32_e32 v7, 3, v9
	v_dual_mov_b32 v23, 0 :: v_dual_mov_b32 v24, 0
	s_delay_alu instid0(VALU_DEP_2) | instskip(SKIP_1) | instid1(VALU_DEP_2)
	v_dual_mov_b32 v22, 0 :: v_dual_add_nc_u32 v11, 1, v7
	v_lshlrev_b64_e32 v[7:8], 2, v[0:1]
	v_and_b32_e32 v13, 3, v11
	s_delay_alu instid0(VALU_DEP_2) | instskip(SKIP_1) | instid1(VALU_DEP_3)
	v_add_co_u32 v11, vcc_lo, s8, v7
	s_wait_alu 0xfffd
	v_add_co_ci_u32_e64 v12, null, s9, v8, vcc_lo
	v_mov_b32_e32 v8, 0
	v_sub_co_u32 v13, s3, 0, v13
	s_wait_alu 0xf1ff
	v_sub_co_ci_u32_e64 v14, null, 0, 0, s3
	s_mov_b32 s3, 0
.LBB81_29:                              ; =>This Inner Loop Header: Depth=1
	global_load_b32 v7, v[11:12], off
	s_wait_loadcnt 0x0
	v_subrev_nc_u32_e32 v7, s16, v7
	s_delay_alu instid0(VALU_DEP_1) | instskip(NEXT) | instid1(VALU_DEP_1)
	v_lshlrev_b32_e32 v7, 2, v7
	v_ashrrev_i32_e32 v15, 31, v7
	s_wait_kmcnt 0x0
	v_add_co_u32 v19, vcc_lo, s6, v7
	s_wait_alu 0xfffd
	s_delay_alu instid0(VALU_DEP_2)
	v_add_co_ci_u32_e64 v20, null, s7, v15, vcc_lo
	global_load_b128 v[15:18], v[5:6], off
	global_load_b32 v7, v[19:20], off
	v_add_co_u32 v5, vcc_lo, 0x80, v5
	s_wait_alu 0xfffd
	v_add_co_ci_u32_e64 v6, null, 0, v6, vcc_lo
	v_add_co_u32 v0, vcc_lo, v0, 8
	s_wait_alu 0xfffd
	v_add_co_ci_u32_e64 v1, null, 0, v1, vcc_lo
	;; [unrolled: 3-line block ×4, first 2 shown]
	s_delay_alu instid0(VALU_DEP_1)
	v_cmp_eq_u64_e32 vcc_lo, 0, v[13:14]
	s_wait_alu 0xfffe
	s_or_b32 s3, vcc_lo, s3
	s_wait_loadcnt 0x1
	v_bfe_i32 v20, v15, 8, 8
	s_wait_loadcnt 0x0
	v_bfe_i32 v35, v7, 0, 8
	v_bfe_i32 v19, v15, 0, 8
	v_bfe_i32 v25, v15, 16, 8
	v_ashrrev_i32_e32 v15, 24, v15
	v_bfe_i32 v27, v16, 8, 8
	v_cvt_f32_i32_e32 v20, v20
	v_bfe_i32 v36, v7, 8, 8
	v_cvt_f32_i32_e32 v35, v35
	v_bfe_i32 v26, v16, 0, 8
	v_bfe_i32 v28, v16, 16, 8
	v_ashrrev_i32_e32 v16, 24, v16
	v_cvt_f32_i32_e32 v19, v19
	v_cvt_f32_i32_e32 v25, v25
	;; [unrolled: 1-line block ×5, first 2 shown]
	v_fmac_f32_e32 v24, v20, v35
	v_bfe_i32 v29, v17, 0, 8
	v_bfe_i32 v30, v17, 8, 8
	;; [unrolled: 1-line block ×3, first 2 shown]
	v_ashrrev_i32_e32 v17, 24, v17
	v_cvt_f32_i32_e32 v26, v26
	v_cvt_f32_i32_e32 v28, v28
	;; [unrolled: 1-line block ×3, first 2 shown]
	v_bfe_i32 v37, v7, 16, 8
	v_dual_fmac_f32 v23, v25, v35 :: v_dual_fmac_f32 v24, v27, v36
	v_fmac_f32_e32 v8, v19, v35
	v_fmac_f32_e32 v22, v15, v35
	v_bfe_i32 v32, v18, 0, 8
	v_bfe_i32 v33, v18, 8, 8
	;; [unrolled: 1-line block ×3, first 2 shown]
	v_ashrrev_i32_e32 v18, 24, v18
	v_cvt_f32_i32_e32 v29, v29
	v_cvt_f32_i32_e32 v30, v30
	;; [unrolled: 1-line block ×4, first 2 shown]
	v_ashrrev_i32_e32 v7, 24, v7
	v_cvt_f32_i32_e32 v15, v37
	v_fmac_f32_e32 v23, v28, v36
	v_fmac_f32_e32 v8, v26, v36
	;; [unrolled: 1-line block ×3, first 2 shown]
	v_cvt_f32_i32_e32 v32, v32
	v_cvt_f32_i32_e32 v33, v33
	;; [unrolled: 1-line block ×5, first 2 shown]
	v_fmac_f32_e32 v8, v29, v15
	v_fmac_f32_e32 v24, v30, v15
	;; [unrolled: 1-line block ×4, first 2 shown]
	s_delay_alu instid0(VALU_DEP_4) | instskip(NEXT) | instid1(VALU_DEP_4)
	v_fmac_f32_e32 v8, v32, v7
	v_fmac_f32_e32 v24, v33, v7
	s_delay_alu instid0(VALU_DEP_4) | instskip(NEXT) | instid1(VALU_DEP_4)
	v_fmac_f32_e32 v23, v34, v7
	v_fmac_f32_e32 v22, v18, v7
	s_wait_alu 0xfffe
	s_and_not1_b32 exec_lo, exec_lo, s3
	s_cbranch_execnz .LBB81_29
; %bb.30:
	s_or_b32 exec_lo, exec_lo, s3
.LBB81_31:
	s_wait_alu 0xfffe
	s_or_b32 exec_lo, exec_lo, s2
	s_delay_alu instid0(SALU_CYCLE_1)
	s_mov_b32 s10, exec_lo
	v_cmpx_lt_u64_e32 23, v[9:10]
	s_cbranch_execz .LBB81_35
; %bb.32:
	v_lshlrev_b64_e32 v[9:10], 2, v[0:1]
	s_delay_alu instid0(VALU_DEP_1) | instskip(SKIP_1) | instid1(VALU_DEP_2)
	v_add_co_u32 v7, vcc_lo, s8, v9
	s_wait_alu 0xfffd
	v_add_co_ci_u32_e64 v10, null, s9, v10, vcc_lo
	s_mov_b32 s8, 0
	v_add_co_u32 v9, vcc_lo, v7, 64
	s_wait_alu 0xfffd
	v_add_co_ci_u32_e64 v10, null, 0, v10, vcc_lo
.LBB81_33:                              ; =>This Inner Loop Header: Depth=1
	s_clause 0x3
	global_load_b32 v7, v[9:10], off offset:-64
	global_load_b32 v19, v[9:10], off offset:-32
	global_load_b32 v20, v[9:10], off
	global_load_b32 v33, v[9:10], off offset:32
	s_clause 0x3
	global_load_b128 v[11:14], v[5:6], off
	global_load_b128 v[15:18], v[5:6], off offset:128
	global_load_b128 v[25:28], v[5:6], off offset:256
	;; [unrolled: 1-line block ×3, first 2 shown]
	s_wait_loadcnt 0x7
	v_subrev_nc_u32_e32 v7, s16, v7
	s_wait_loadcnt 0x6
	v_subrev_nc_u32_e32 v19, s16, v19
	;; [unrolled: 2-line block ×4, first 2 shown]
	s_wait_loadcnt 0x3
	v_bfe_i32 v42, v13, 16, 8
	v_lshlrev_b32_e32 v7, 2, v7
	v_lshlrev_b32_e32 v19, 2, v19
	;; [unrolled: 1-line block ×4, first 2 shown]
	v_cvt_f32_i32_e32 v42, v42
	v_ashrrev_i32_e32 v36, 31, v7
	v_ashrrev_i32_e32 v39, 31, v19
	;; [unrolled: 1-line block ×4, first 2 shown]
	s_wait_kmcnt 0x0
	v_add_co_u32 v37, s4, s6, v7
	v_add_co_u32 v19, vcc_lo, s6, v19
	v_add_co_u32 v33, s2, s6, v20
	s_wait_alu 0xf1ff
	v_add_co_ci_u32_e64 v38, null, s7, v36, s4
	v_add_co_u32 v35, s3, s6, v34
	s_wait_alu 0xfffd
	v_add_co_ci_u32_e64 v20, null, s7, v39, vcc_lo
	v_add_co_ci_u32_e64 v34, null, s7, v40, s2
	s_wait_alu 0xf1ff
	v_add_co_ci_u32_e64 v36, null, s7, v41, s3
	s_clause 0x3
	global_load_b32 v7, v[37:38], off
	global_load_b32 v19, v[19:20], off
	;; [unrolled: 1-line block ×4, first 2 shown]
	v_bfe_i32 v36, v11, 16, 8
	v_bfe_i32 v34, v11, 0, 8
	v_bfe_i32 v35, v11, 8, 8
	v_ashrrev_i32_e32 v11, 24, v11
	v_bfe_i32 v39, v12, 16, 8
	v_cvt_f32_i32_e32 v36, v36
	v_bfe_i32 v37, v12, 0, 8
	v_bfe_i32 v38, v12, 8, 8
	v_ashrrev_i32_e32 v12, 24, v12
	v_cvt_f32_i32_e32 v34, v34
	v_cvt_f32_i32_e32 v35, v35
	;; [unrolled: 1-line block ×4, first 2 shown]
	v_bfe_i32 v40, v13, 0, 8
	v_bfe_i32 v41, v13, 8, 8
	v_ashrrev_i32_e32 v13, 24, v13
	v_cvt_f32_i32_e32 v37, v37
	v_cvt_f32_i32_e32 v38, v38
	;; [unrolled: 1-line block ×3, first 2 shown]
	v_bfe_i32 v43, v14, 0, 8
	v_bfe_i32 v44, v14, 8, 8
	;; [unrolled: 1-line block ×3, first 2 shown]
	v_ashrrev_i32_e32 v14, 24, v14
	v_cvt_f32_i32_e32 v40, v40
	v_cvt_f32_i32_e32 v41, v41
	;; [unrolled: 1-line block ×3, first 2 shown]
	s_wait_loadcnt 0x6
	v_bfe_i32 v46, v15, 0, 8
	v_bfe_i32 v47, v15, 8, 8
	v_bfe_i32 v48, v15, 16, 8
	v_ashrrev_i32_e32 v15, 24, v15
	v_cvt_f32_i32_e32 v43, v43
	v_cvt_f32_i32_e32 v44, v44
	v_cvt_f32_i32_e32 v45, v45
	v_cvt_f32_i32_e32 v14, v14
	v_bfe_i32 v49, v16, 0, 8
	v_bfe_i32 v50, v16, 8, 8
	v_bfe_i32 v51, v16, 16, 8
	v_ashrrev_i32_e32 v16, 24, v16
	v_cvt_f32_i32_e32 v46, v46
	v_cvt_f32_i32_e32 v47, v47
	v_cvt_f32_i32_e32 v48, v48
	v_cvt_f32_i32_e32 v15, v15
	;; [unrolled: 8-line block ×4, first 2 shown]
	s_wait_loadcnt 0x5
	v_bfe_i32 v58, v25, 0, 8
	v_bfe_i32 v59, v25, 8, 8
	v_bfe_i32 v60, v25, 16, 8
	v_ashrrev_i32_e32 v25, 24, v25
	v_cvt_f32_i32_e32 v55, v55
	v_cvt_f32_i32_e32 v56, v56
	v_cvt_f32_i32_e32 v57, v57
	v_cvt_f32_i32_e32 v18, v18
	v_bfe_i32 v61, v26, 0, 8
	v_bfe_i32 v62, v26, 8, 8
	v_bfe_i32 v63, v26, 16, 8
	v_ashrrev_i32_e32 v26, 24, v26
	v_cvt_f32_i32_e32 v58, v58
	v_cvt_f32_i32_e32 v59, v59
	v_cvt_f32_i32_e32 v60, v60
	v_cvt_f32_i32_e32 v25, v25
	;; [unrolled: 8-line block ×4, first 2 shown]
	s_wait_loadcnt 0x4
	v_bfe_i32 v70, v29, 0, 8
	v_bfe_i32 v71, v29, 8, 8
	v_bfe_i32 v72, v29, 16, 8
	v_ashrrev_i32_e32 v29, 24, v29
	v_cvt_f32_i32_e32 v67, v67
	v_cvt_f32_i32_e32 v68, v68
	v_cvt_f32_i32_e32 v69, v69
	v_cvt_f32_i32_e32 v28, v28
	v_bfe_i32 v73, v30, 0, 8
	v_bfe_i32 v74, v30, 8, 8
	v_bfe_i32 v75, v30, 16, 8
	v_ashrrev_i32_e32 v30, 24, v30
	v_cvt_f32_i32_e32 v70, v70
	v_cvt_f32_i32_e32 v71, v71
	v_cvt_f32_i32_e32 v72, v72
	v_cvt_f32_i32_e32 v29, v29
	;; [unrolled: 8-line block ×3, first 2 shown]
	v_add_co_u32 v5, vcc_lo, 0x200, v5
	s_wait_alu 0xfffd
	v_add_co_ci_u32_e64 v6, null, 0, v6, vcc_lo
	v_add_co_u32 v0, vcc_lo, v0, 32
	v_bfe_i32 v79, v32, 0, 8
	v_bfe_i32 v80, v32, 8, 8
	;; [unrolled: 1-line block ×3, first 2 shown]
	v_ashrrev_i32_e32 v32, 24, v32
	v_cvt_f32_i32_e32 v76, v76
	v_cvt_f32_i32_e32 v77, v77
	;; [unrolled: 1-line block ×4, first 2 shown]
	s_wait_alu 0xfffd
	v_add_co_ci_u32_e64 v1, null, 0, v1, vcc_lo
	v_add_co_u32 v9, vcc_lo, 0x80, v9
	v_cvt_f32_i32_e32 v79, v79
	v_cvt_f32_i32_e32 v80, v80
	;; [unrolled: 1-line block ×4, first 2 shown]
	s_wait_alu 0xfffd
	v_add_co_ci_u32_e64 v10, null, 0, v10, vcc_lo
	v_cmp_ge_i64_e32 vcc_lo, v[0:1], v[2:3]
	s_wait_alu 0xfffe
	s_or_b32 s8, vcc_lo, s8
	s_wait_loadcnt 0x3
	v_bfe_i32 v82, v7, 0, 8
	v_bfe_i32 v83, v7, 8, 8
	;; [unrolled: 1-line block ×3, first 2 shown]
	v_ashrrev_i32_e32 v7, 24, v7
	s_wait_loadcnt 0x2
	v_bfe_i32 v85, v19, 0, 8
	v_cvt_f32_i32_e32 v82, v82
	v_cvt_f32_i32_e32 v83, v83
	v_bfe_i32 v86, v19, 8, 8
	v_cvt_f32_i32_e32 v7, v7
	v_bfe_i32 v87, v19, 16, 8
	v_fmac_f32_e32 v23, v36, v82
	v_fmac_f32_e32 v8, v34, v82
	;; [unrolled: 1-line block ×3, first 2 shown]
	v_ashrrev_i32_e32 v19, 24, v19
	s_wait_loadcnt 0x1
	v_bfe_i32 v88, v20, 0, 8
	v_fmac_f32_e32 v23, v39, v83
	v_fmac_f32_e32 v22, v11, v82
	v_cvt_f32_i32_e32 v11, v84
	v_fmac_f32_e32 v8, v37, v83
	v_fmac_f32_e32 v24, v38, v83
	v_bfe_i32 v89, v20, 8, 8
	v_bfe_i32 v90, v20, 16, 8
	v_fmac_f32_e32 v23, v42, v11
	v_fmac_f32_e32 v22, v12, v83
	;; [unrolled: 1-line block ×4, first 2 shown]
	v_ashrrev_i32_e32 v20, 24, v20
	v_fmac_f32_e32 v23, v45, v7
	v_fmac_f32_e32 v22, v13, v11
	v_cvt_f32_i32_e32 v11, v85
	v_fmac_f32_e32 v8, v43, v7
	v_fmac_f32_e32 v24, v44, v7
	s_wait_loadcnt 0x0
	v_bfe_i32 v91, v33, 0, 8
	v_fmac_f32_e32 v22, v14, v7
	v_cvt_f32_i32_e32 v7, v86
	v_fmac_f32_e32 v8, v46, v11
	v_fmac_f32_e32 v24, v47, v11
	v_fmac_f32_e32 v23, v48, v11
	v_fmac_f32_e32 v22, v15, v11
	v_cvt_f32_i32_e32 v11, v87
	v_fmac_f32_e32 v8, v49, v7
	v_fmac_f32_e32 v24, v50, v7
	v_fmac_f32_e32 v23, v51, v7
	;; [unrolled: 5-line block ×7, first 2 shown]
	v_fmac_f32_e32 v22, v27, v11
	v_bfe_i32 v92, v33, 8, 8
	v_cvt_f32_i32_e32 v11, v91
	v_fmac_f32_e32 v8, v67, v7
	v_fmac_f32_e32 v24, v68, v7
	;; [unrolled: 1-line block ×4, first 2 shown]
	v_bfe_i32 v34, v33, 16, 8
	v_cvt_f32_i32_e32 v7, v92
	v_fmac_f32_e32 v8, v70, v11
	v_fmac_f32_e32 v24, v71, v11
	;; [unrolled: 1-line block ×4, first 2 shown]
	v_ashrrev_i32_e32 v33, 24, v33
	v_cvt_f32_i32_e32 v11, v34
	v_fmac_f32_e32 v8, v73, v7
	v_fmac_f32_e32 v24, v74, v7
	;; [unrolled: 1-line block ×4, first 2 shown]
	v_cvt_f32_i32_e32 v7, v33
	v_fmac_f32_e32 v8, v76, v11
	v_fmac_f32_e32 v24, v77, v11
	;; [unrolled: 1-line block ×4, first 2 shown]
	s_delay_alu instid0(VALU_DEP_4) | instskip(NEXT) | instid1(VALU_DEP_4)
	v_fmac_f32_e32 v8, v79, v7
	v_fmac_f32_e32 v24, v80, v7
	s_delay_alu instid0(VALU_DEP_4) | instskip(NEXT) | instid1(VALU_DEP_4)
	v_fmac_f32_e32 v23, v81, v7
	v_fmac_f32_e32 v22, v32, v7
	s_wait_alu 0xfffe
	s_and_not1_b32 exec_lo, exec_lo, s8
	s_cbranch_execnz .LBB81_33
; %bb.34:
	s_or_b32 exec_lo, exec_lo, s8
.LBB81_35:
	s_wait_alu 0xfffe
	s_or_b32 exec_lo, exec_lo, s10
.LBB81_36:
	s_wait_alu 0xfffe
	s_or_b32 exec_lo, exec_lo, s5
.LBB81_37:
	v_mbcnt_lo_u32_b32 v0, -1, 0
	s_mov_b32 s2, -1
	s_delay_alu instid0(VALU_DEP_1) | instskip(SKIP_2) | instid1(VALU_DEP_3)
	v_xor_b32_e32 v1, 4, v0
	v_xor_b32_e32 v6, 2, v0
	;; [unrolled: 1-line block ×3, first 2 shown]
	v_cmp_gt_i32_e32 vcc_lo, 32, v1
	s_wait_alu 0xfffd
	v_cndmask_b32_e32 v1, v0, v1, vcc_lo
	v_cmp_gt_i32_e32 vcc_lo, 32, v6
	s_wait_alu 0xfffd
	v_cndmask_b32_e32 v6, v0, v6, vcc_lo
	v_cmp_gt_i32_e32 vcc_lo, 32, v10
	s_delay_alu instid0(VALU_DEP_2)
	v_lshlrev_b32_e32 v6, 2, v6
	s_wait_alu 0xfffd
	v_dual_cndmask_b32 v0, v0, v10 :: v_dual_lshlrev_b32 v1, 2, v1
	v_cmp_eq_u32_e32 vcc_lo, 7, v21
	ds_bpermute_b32 v2, v1, v8
	v_lshlrev_b32_e32 v10, 2, v0
	s_wait_dscnt 0x0
	v_add_f32_e32 v2, v8, v2
	ds_bpermute_b32 v3, v1, v24
	ds_bpermute_b32 v5, v1, v23
	;; [unrolled: 1-line block ×3, first 2 shown]
	s_wait_dscnt 0x2
	v_add_f32_e32 v3, v24, v3
	s_wait_dscnt 0x1
	v_add_f32_e32 v5, v23, v5
	;; [unrolled: 2-line block ×3, first 2 shown]
	ds_bpermute_b32 v1, v6, v2
	ds_bpermute_b32 v8, v6, v3
	;; [unrolled: 1-line block ×4, first 2 shown]
	s_wait_dscnt 0x2
	v_dual_add_f32 v0, v2, v1 :: v_dual_add_f32 v1, v3, v8
	s_wait_dscnt 0x0
	v_dual_add_f32 v2, v5, v9 :: v_dual_add_f32 v3, v7, v6
	ds_bpermute_b32 v5, v10, v0
	ds_bpermute_b32 v6, v10, v1
	ds_bpermute_b32 v7, v10, v2
	ds_bpermute_b32 v8, v10, v3
	s_and_b32 exec_lo, exec_lo, vcc_lo
	s_cbranch_execz .LBB81_10
; %bb.38:
	s_load_b64 s[0:1], s[0:1], 0x50
	s_wait_dscnt 0x2
	v_dual_add_f32 v0, v0, v5 :: v_dual_add_f32 v1, v1, v6
	s_wait_dscnt 0x0
	v_dual_add_f32 v2, v2, v7 :: v_dual_add_f32 v3, v3, v8
	v_lshlrev_b32_e32 v4, 2, v4
	s_delay_alu instid0(VALU_DEP_3) | instskip(NEXT) | instid1(VALU_DEP_3)
	v_dual_mul_f32 v0, s14, v0 :: v_dual_mul_f32 v1, s14, v1
	v_dual_mul_f32 v2, s14, v2 :: v_dual_mul_f32 v3, s14, v3
	s_cmp_eq_f32 s12, 0
	s_cbranch_scc0 .LBB81_40
; %bb.39:
	v_ashrrev_i32_e32 v5, 31, v4
	s_mov_b32 s2, 0
	s_delay_alu instid0(VALU_DEP_1) | instskip(SKIP_1) | instid1(VALU_DEP_1)
	v_lshlrev_b64_e32 v[5:6], 2, v[4:5]
	s_wait_kmcnt 0x0
	v_add_co_u32 v5, vcc_lo, s0, v5
	s_wait_alu 0xfffd
	s_delay_alu instid0(VALU_DEP_2)
	v_add_co_ci_u32_e64 v6, null, s1, v6, vcc_lo
	global_store_b128 v[5:6], v[0:3], off
.LBB81_40:
	s_wait_alu 0xfffe
	s_and_not1_b32 vcc_lo, exec_lo, s2
	s_wait_alu 0xfffe
	s_cbranch_vccnz .LBB81_10
; %bb.41:
	v_ashrrev_i32_e32 v5, 31, v4
	s_delay_alu instid0(VALU_DEP_1) | instskip(SKIP_1) | instid1(VALU_DEP_1)
	v_lshlrev_b64_e32 v[4:5], 2, v[4:5]
	s_wait_kmcnt 0x0
	v_add_co_u32 v8, vcc_lo, s0, v4
	s_wait_alu 0xfffd
	s_delay_alu instid0(VALU_DEP_2)
	v_add_co_ci_u32_e64 v9, null, s1, v5, vcc_lo
	global_load_b128 v[4:7], v[8:9], off
	s_wait_loadcnt 0x0
	v_dual_fmac_f32 v0, s12, v4 :: v_dual_fmac_f32 v1, s12, v5
	v_dual_fmac_f32 v2, s12, v6 :: v_dual_fmac_f32 v3, s12, v7
	global_store_b128 v[8:9], v[0:3], off
	s_nop 0
	s_sendmsg sendmsg(MSG_DEALLOC_VGPRS)
	s_endpgm
	.section	.rodata,"a",@progbits
	.p2align	6, 0x0
	.amdhsa_kernel _ZN9rocsparseL18bsrxmvn_4x4_kernelILj128ELj8EfliaafEEvT3_20rocsparse_direction_NS_24const_host_device_scalarIT1_EES1_PKS1_PKT2_SA_S7_PKT4_PKT5_S5_PT6_21rocsparse_index_base_b
		.amdhsa_group_segment_fixed_size 0
		.amdhsa_private_segment_fixed_size 0
		.amdhsa_kernarg_size 96
		.amdhsa_user_sgpr_count 2
		.amdhsa_user_sgpr_dispatch_ptr 0
		.amdhsa_user_sgpr_queue_ptr 0
		.amdhsa_user_sgpr_kernarg_segment_ptr 1
		.amdhsa_user_sgpr_dispatch_id 0
		.amdhsa_user_sgpr_private_segment_size 0
		.amdhsa_wavefront_size32 1
		.amdhsa_uses_dynamic_stack 0
		.amdhsa_enable_private_segment 0
		.amdhsa_system_sgpr_workgroup_id_x 1
		.amdhsa_system_sgpr_workgroup_id_y 0
		.amdhsa_system_sgpr_workgroup_id_z 0
		.amdhsa_system_sgpr_workgroup_info 0
		.amdhsa_system_vgpr_workitem_id 0
		.amdhsa_next_free_vgpr 99
		.amdhsa_next_free_sgpr 18
		.amdhsa_reserve_vcc 1
		.amdhsa_float_round_mode_32 0
		.amdhsa_float_round_mode_16_64 0
		.amdhsa_float_denorm_mode_32 3
		.amdhsa_float_denorm_mode_16_64 3
		.amdhsa_fp16_overflow 0
		.amdhsa_workgroup_processor_mode 1
		.amdhsa_memory_ordered 1
		.amdhsa_forward_progress 1
		.amdhsa_inst_pref_size 48
		.amdhsa_round_robin_scheduling 0
		.amdhsa_exception_fp_ieee_invalid_op 0
		.amdhsa_exception_fp_denorm_src 0
		.amdhsa_exception_fp_ieee_div_zero 0
		.amdhsa_exception_fp_ieee_overflow 0
		.amdhsa_exception_fp_ieee_underflow 0
		.amdhsa_exception_fp_ieee_inexact 0
		.amdhsa_exception_int_div_zero 0
	.end_amdhsa_kernel
	.section	.text._ZN9rocsparseL18bsrxmvn_4x4_kernelILj128ELj8EfliaafEEvT3_20rocsparse_direction_NS_24const_host_device_scalarIT1_EES1_PKS1_PKT2_SA_S7_PKT4_PKT5_S5_PT6_21rocsparse_index_base_b,"axG",@progbits,_ZN9rocsparseL18bsrxmvn_4x4_kernelILj128ELj8EfliaafEEvT3_20rocsparse_direction_NS_24const_host_device_scalarIT1_EES1_PKS1_PKT2_SA_S7_PKT4_PKT5_S5_PT6_21rocsparse_index_base_b,comdat
.Lfunc_end81:
	.size	_ZN9rocsparseL18bsrxmvn_4x4_kernelILj128ELj8EfliaafEEvT3_20rocsparse_direction_NS_24const_host_device_scalarIT1_EES1_PKS1_PKT2_SA_S7_PKT4_PKT5_S5_PT6_21rocsparse_index_base_b, .Lfunc_end81-_ZN9rocsparseL18bsrxmvn_4x4_kernelILj128ELj8EfliaafEEvT3_20rocsparse_direction_NS_24const_host_device_scalarIT1_EES1_PKS1_PKT2_SA_S7_PKT4_PKT5_S5_PT6_21rocsparse_index_base_b
                                        ; -- End function
	.set _ZN9rocsparseL18bsrxmvn_4x4_kernelILj128ELj8EfliaafEEvT3_20rocsparse_direction_NS_24const_host_device_scalarIT1_EES1_PKS1_PKT2_SA_S7_PKT4_PKT5_S5_PT6_21rocsparse_index_base_b.num_vgpr, 99
	.set _ZN9rocsparseL18bsrxmvn_4x4_kernelILj128ELj8EfliaafEEvT3_20rocsparse_direction_NS_24const_host_device_scalarIT1_EES1_PKS1_PKT2_SA_S7_PKT4_PKT5_S5_PT6_21rocsparse_index_base_b.num_agpr, 0
	.set _ZN9rocsparseL18bsrxmvn_4x4_kernelILj128ELj8EfliaafEEvT3_20rocsparse_direction_NS_24const_host_device_scalarIT1_EES1_PKS1_PKT2_SA_S7_PKT4_PKT5_S5_PT6_21rocsparse_index_base_b.numbered_sgpr, 18
	.set _ZN9rocsparseL18bsrxmvn_4x4_kernelILj128ELj8EfliaafEEvT3_20rocsparse_direction_NS_24const_host_device_scalarIT1_EES1_PKS1_PKT2_SA_S7_PKT4_PKT5_S5_PT6_21rocsparse_index_base_b.num_named_barrier, 0
	.set _ZN9rocsparseL18bsrxmvn_4x4_kernelILj128ELj8EfliaafEEvT3_20rocsparse_direction_NS_24const_host_device_scalarIT1_EES1_PKS1_PKT2_SA_S7_PKT4_PKT5_S5_PT6_21rocsparse_index_base_b.private_seg_size, 0
	.set _ZN9rocsparseL18bsrxmvn_4x4_kernelILj128ELj8EfliaafEEvT3_20rocsparse_direction_NS_24const_host_device_scalarIT1_EES1_PKS1_PKT2_SA_S7_PKT4_PKT5_S5_PT6_21rocsparse_index_base_b.uses_vcc, 1
	.set _ZN9rocsparseL18bsrxmvn_4x4_kernelILj128ELj8EfliaafEEvT3_20rocsparse_direction_NS_24const_host_device_scalarIT1_EES1_PKS1_PKT2_SA_S7_PKT4_PKT5_S5_PT6_21rocsparse_index_base_b.uses_flat_scratch, 0
	.set _ZN9rocsparseL18bsrxmvn_4x4_kernelILj128ELj8EfliaafEEvT3_20rocsparse_direction_NS_24const_host_device_scalarIT1_EES1_PKS1_PKT2_SA_S7_PKT4_PKT5_S5_PT6_21rocsparse_index_base_b.has_dyn_sized_stack, 0
	.set _ZN9rocsparseL18bsrxmvn_4x4_kernelILj128ELj8EfliaafEEvT3_20rocsparse_direction_NS_24const_host_device_scalarIT1_EES1_PKS1_PKT2_SA_S7_PKT4_PKT5_S5_PT6_21rocsparse_index_base_b.has_recursion, 0
	.set _ZN9rocsparseL18bsrxmvn_4x4_kernelILj128ELj8EfliaafEEvT3_20rocsparse_direction_NS_24const_host_device_scalarIT1_EES1_PKS1_PKT2_SA_S7_PKT4_PKT5_S5_PT6_21rocsparse_index_base_b.has_indirect_call, 0
	.section	.AMDGPU.csdata,"",@progbits
; Kernel info:
; codeLenInByte = 6028
; TotalNumSgprs: 20
; NumVgprs: 99
; ScratchSize: 0
; MemoryBound: 0
; FloatMode: 240
; IeeeMode: 1
; LDSByteSize: 0 bytes/workgroup (compile time only)
; SGPRBlocks: 0
; VGPRBlocks: 12
; NumSGPRsForWavesPerEU: 20
; NumVGPRsForWavesPerEU: 99
; Occupancy: 12
; WaveLimiterHint : 1
; COMPUTE_PGM_RSRC2:SCRATCH_EN: 0
; COMPUTE_PGM_RSRC2:USER_SGPR: 2
; COMPUTE_PGM_RSRC2:TRAP_HANDLER: 0
; COMPUTE_PGM_RSRC2:TGID_X_EN: 1
; COMPUTE_PGM_RSRC2:TGID_Y_EN: 0
; COMPUTE_PGM_RSRC2:TGID_Z_EN: 0
; COMPUTE_PGM_RSRC2:TIDIG_COMP_CNT: 0
	.section	.text._ZN9rocsparseL18bsrxmvn_4x4_kernelILj128ELj16EfliaafEEvT3_20rocsparse_direction_NS_24const_host_device_scalarIT1_EES1_PKS1_PKT2_SA_S7_PKT4_PKT5_S5_PT6_21rocsparse_index_base_b,"axG",@progbits,_ZN9rocsparseL18bsrxmvn_4x4_kernelILj128ELj16EfliaafEEvT3_20rocsparse_direction_NS_24const_host_device_scalarIT1_EES1_PKS1_PKT2_SA_S7_PKT4_PKT5_S5_PT6_21rocsparse_index_base_b,comdat
	.globl	_ZN9rocsparseL18bsrxmvn_4x4_kernelILj128ELj16EfliaafEEvT3_20rocsparse_direction_NS_24const_host_device_scalarIT1_EES1_PKS1_PKT2_SA_S7_PKT4_PKT5_S5_PT6_21rocsparse_index_base_b ; -- Begin function _ZN9rocsparseL18bsrxmvn_4x4_kernelILj128ELj16EfliaafEEvT3_20rocsparse_direction_NS_24const_host_device_scalarIT1_EES1_PKS1_PKT2_SA_S7_PKT4_PKT5_S5_PT6_21rocsparse_index_base_b
	.p2align	8
	.type	_ZN9rocsparseL18bsrxmvn_4x4_kernelILj128ELj16EfliaafEEvT3_20rocsparse_direction_NS_24const_host_device_scalarIT1_EES1_PKS1_PKT2_SA_S7_PKT4_PKT5_S5_PT6_21rocsparse_index_base_b,@function
_ZN9rocsparseL18bsrxmvn_4x4_kernelILj128ELj16EfliaafEEvT3_20rocsparse_direction_NS_24const_host_device_scalarIT1_EES1_PKS1_PKT2_SA_S7_PKT4_PKT5_S5_PT6_21rocsparse_index_base_b: ; @_ZN9rocsparseL18bsrxmvn_4x4_kernelILj128ELj16EfliaafEEvT3_20rocsparse_direction_NS_24const_host_device_scalarIT1_EES1_PKS1_PKT2_SA_S7_PKT4_PKT5_S5_PT6_21rocsparse_index_base_b
; %bb.0:
	s_clause 0x2
	s_load_b64 s[16:17], s[0:1], 0x58
	s_load_b64 s[14:15], s[0:1], 0x8
	;; [unrolled: 1-line block ×3, first 2 shown]
	s_wait_kmcnt 0x0
	s_bitcmp1_b32 s17, 0
	s_cselect_b32 s2, -1, 0
	s_delay_alu instid0(SALU_CYCLE_1)
	s_and_b32 vcc_lo, exec_lo, s2
	s_xor_b32 s2, s2, -1
	s_cbranch_vccnz .LBB82_2
; %bb.1:
	s_load_b32 s14, s[14:15], 0x0
.LBB82_2:
	s_and_not1_b32 vcc_lo, exec_lo, s2
	s_cbranch_vccnz .LBB82_4
; %bb.3:
	s_load_b32 s12, s[12:13], 0x0
.LBB82_4:
	s_wait_kmcnt 0x0
	s_cmp_neq_f32 s14, 0
	s_mov_b32 s6, 0
	s_cselect_b32 s2, -1, 0
	s_cmp_neq_f32 s12, 1.0
	s_cselect_b32 s3, -1, 0
	s_delay_alu instid0(SALU_CYCLE_1) | instskip(NEXT) | instid1(SALU_CYCLE_1)
	s_or_b32 s2, s2, s3
	s_and_not1_b32 vcc_lo, exec_lo, s2
	s_cbranch_vccnz .LBB82_10
; %bb.5:
	s_clause 0x1
	s_load_b64 s[4:5], s[0:1], 0x18
	s_load_b64 s[2:3], s[0:1], 0x0
	v_lshrrev_b32_e32 v1, 4, v0
	s_delay_alu instid0(VALU_DEP_1)
	v_lshl_or_b32 v4, ttmp9, 3, v1
	s_wait_kmcnt 0x0
	s_cmp_lg_u64 s[4:5], 0
	s_cbranch_scc0 .LBB82_11
; %bb.6:
	s_load_b32 s6, s[0:1], 0x10
	s_mov_b32 s7, 0
                                        ; implicit-def: $vgpr1
	s_wait_kmcnt 0x0
	v_cmp_gt_i32_e32 vcc_lo, s6, v4
	s_mov_b32 s6, 0
	s_and_saveexec_b32 s8, vcc_lo
	s_delay_alu instid0(SALU_CYCLE_1)
	s_xor_b32 s8, exec_lo, s8
	s_cbranch_execz .LBB82_8
; %bb.7:
	v_ashrrev_i32_e32 v5, 31, v4
	s_mov_b32 s6, exec_lo
	s_delay_alu instid0(VALU_DEP_1) | instskip(NEXT) | instid1(VALU_DEP_1)
	v_lshlrev_b64_e32 v[1:2], 2, v[4:5]
	v_add_co_u32 v1, vcc_lo, s4, v1
	s_delay_alu instid0(VALU_DEP_1)
	v_add_co_ci_u32_e64 v2, null, s5, v2, vcc_lo
	global_load_b32 v1, v[1:2], off
	s_wait_loadcnt 0x0
	v_subrev_nc_u32_e32 v1, s16, v1
.LBB82_8:
	s_or_b32 exec_lo, exec_lo, s8
	s_delay_alu instid0(SALU_CYCLE_1)
	s_and_b32 vcc_lo, exec_lo, s7
	s_wait_alu 0xfffe
	s_cbranch_vccz .LBB82_12
.LBB82_9:
	v_cmp_gt_i32_e32 vcc_lo, s2, v4
	s_and_not1_b32 s2, s6, exec_lo
	s_and_b32 s4, vcc_lo, exec_lo
	s_wait_alu 0xfffe
	s_or_b32 s6, s2, s4
	s_wait_alu 0xfffe
	s_and_saveexec_b32 s2, s6
	s_cbranch_execnz .LBB82_13
.LBB82_10:
	s_nop 0
	s_sendmsg sendmsg(MSG_DEALLOC_VGPRS)
	s_endpgm
.LBB82_11:
                                        ; implicit-def: $vgpr1
	s_cbranch_execnz .LBB82_9
.LBB82_12:
	v_mov_b32_e32 v4, v1
	s_and_saveexec_b32 s2, s6
	s_cbranch_execz .LBB82_10
.LBB82_13:
	s_load_b256 s[4:11], s[0:1], 0x20
	s_delay_alu instid0(VALU_DEP_1) | instskip(SKIP_1) | instid1(VALU_DEP_2)
	v_ashrrev_i32_e32 v5, 31, v4
	v_dual_mov_b32 v22, 0 :: v_dual_and_b32 v21, 15, v0
	v_lshlrev_b64_e32 v[1:2], 3, v[4:5]
	s_wait_kmcnt 0x0
	s_delay_alu instid0(VALU_DEP_1) | instskip(SKIP_1) | instid1(VALU_DEP_2)
	v_add_co_u32 v5, vcc_lo, s4, v1
	s_wait_alu 0xfffd
	v_add_co_ci_u32_e64 v6, null, s5, v2, vcc_lo
	v_add_co_u32 v1, vcc_lo, s6, v1
	s_wait_alu 0xfffd
	v_add_co_ci_u32_e64 v2, null, s7, v2, vcc_lo
	v_add_co_u32 v3, vcc_lo, v5, 8
	global_load_b64 v[9:10], v[5:6], off
	s_wait_alu 0xfffd
	v_add_co_ci_u32_e64 v7, null, 0, v6, vcc_lo
	s_cmp_eq_u64 s[6:7], 0
	s_load_b64 s[6:7], s[0:1], 0x40
	s_cselect_b32 vcc_lo, -1, 0
	s_cmp_eq_u32 s3, 1
	s_wait_alu 0xfffe
	v_cndmask_b32_e32 v2, v2, v7, vcc_lo
	v_cndmask_b32_e32 v1, v1, v3, vcc_lo
	global_load_b64 v[2:3], v[1:2], off
	s_wait_loadcnt 0x1
	v_sub_co_u32 v0, vcc_lo, v9, s16
	s_wait_alu 0xfffd
	v_subrev_co_ci_u32_e64 v1, null, 0, v10, vcc_lo
	s_delay_alu instid0(VALU_DEP_2) | instskip(SKIP_1) | instid1(VALU_DEP_2)
	v_add_co_u32 v0, vcc_lo, v0, v21
	s_wait_alu 0xfffd
	v_add_co_ci_u32_e64 v1, null, 0, v1, vcc_lo
	s_delay_alu instid0(VALU_DEP_1) | instskip(SKIP_4) | instid1(VALU_DEP_3)
	v_lshlrev_b64_e32 v[5:6], 4, v[0:1]
	s_wait_loadcnt 0x0
	v_sub_co_u32 v2, vcc_lo, v2, s16
	s_wait_alu 0xfffd
	v_subrev_co_ci_u32_e64 v3, null, 0, v3, vcc_lo
	v_add_co_u32 v5, vcc_lo, s10, v5
	s_delay_alu instid0(VALU_DEP_2)
	v_cmp_lt_i64_e64 s2, v[0:1], v[2:3]
	s_wait_alu 0xfffd
	v_add_co_ci_u32_e64 v6, null, s11, v6, vcc_lo
	s_cbranch_scc1 .LBB82_25
; %bb.14:
	v_dual_mov_b32 v23, 0 :: v_dual_mov_b32 v24, 0
	v_mov_b32_e32 v8, 0
	s_and_saveexec_b32 s10, s2
	s_cbranch_execz .LBB82_24
; %bb.15:
	v_or_b32_e32 v7, 16, v21
	v_not_b32_e32 v12, v9
	v_not_b32_e32 v11, v10
	s_delay_alu instid0(VALU_DEP_3) | instskip(SKIP_3) | instid1(VALU_DEP_3)
	v_sub_co_u32 v7, s3, v7, s16
	s_wait_alu 0xf1ff
	v_sub_co_ci_u32_e64 v8, null, 0, 0, s3
	v_sub_co_u32 v13, s3, s16, v21
	v_add_co_u32 v7, vcc_lo, v7, v9
	s_wait_alu 0xfffd
	s_delay_alu instid0(VALU_DEP_3)
	v_add_co_ci_u32_e64 v8, null, v8, v10, vcc_lo
	s_wait_alu 0xf1ff
	v_sub_co_ci_u32_e64 v14, null, 0, 0, s3
	s_mov_b32 s3, exec_lo
	v_cmp_gt_i64_e32 vcc_lo, v[7:8], v[2:3]
	s_wait_alu 0xfffd
	v_dual_cndmask_b32 v16, v3, v8 :: v_dual_cndmask_b32 v7, v2, v7
	v_add_co_u32 v8, vcc_lo, v13, v12
	s_wait_alu 0xfffd
	v_add_co_ci_u32_e64 v11, null, v14, v11, vcc_lo
	v_mov_b32_e32 v14, v6
	s_delay_alu instid0(VALU_DEP_3) | instskip(SKIP_4) | instid1(VALU_DEP_3)
	v_add_co_u32 v15, vcc_lo, v8, v7
	v_mov_b32_e32 v8, 0
	s_wait_alu 0xfffd
	v_add_co_ci_u32_e64 v16, null, v11, v16, vcc_lo
	v_dual_mov_b32 v12, v1 :: v_dual_mov_b32 v13, v5
	v_dual_mov_b32 v24, v8 :: v_dual_and_b32 v7, 48, v15
	v_dual_mov_b32 v23, v8 :: v_dual_mov_b32 v22, v8
	v_mov_b32_e32 v11, v0
	s_delay_alu instid0(VALU_DEP_3)
	v_cmpx_ne_u64_e32 48, v[7:8]
	s_cbranch_execz .LBB82_19
; %bb.16:
	v_lshrrev_b32_e32 v7, 4, v15
	v_mov_b32_e32 v22, 0
	v_dual_mov_b32 v14, v6 :: v_dual_mov_b32 v13, v5
	v_dual_mov_b32 v12, v1 :: v_dual_mov_b32 v11, v0
	s_delay_alu instid0(VALU_DEP_4) | instskip(SKIP_2) | instid1(VALU_DEP_3)
	v_add_nc_u32_e32 v17, 1, v7
	v_lshlrev_b64_e32 v[7:8], 2, v[0:1]
	v_dual_mov_b32 v23, 0 :: v_dual_mov_b32 v24, 0
	v_and_b32_e32 v19, 3, v17
	s_delay_alu instid0(VALU_DEP_3) | instskip(SKIP_1) | instid1(VALU_DEP_4)
	v_add_co_u32 v17, vcc_lo, s8, v7
	s_wait_alu 0xfffd
	v_add_co_ci_u32_e64 v18, null, s9, v8, vcc_lo
	v_mov_b32_e32 v8, 0
	v_sub_co_u32 v19, s4, 0, v19
	s_wait_alu 0xf1ff
	v_sub_co_ci_u32_e64 v20, null, 0, 0, s4
	s_mov_b32 s4, 0
.LBB82_17:                              ; =>This Inner Loop Header: Depth=1
	global_load_b32 v7, v[17:18], off
	s_wait_loadcnt 0x0
	v_subrev_nc_u32_e32 v7, s16, v7
	s_delay_alu instid0(VALU_DEP_1) | instskip(NEXT) | instid1(VALU_DEP_1)
	v_lshlrev_b32_e32 v7, 2, v7
	v_ashrrev_i32_e32 v25, 31, v7
	s_wait_kmcnt 0x0
	v_add_co_u32 v29, vcc_lo, s6, v7
	s_wait_alu 0xfffd
	s_delay_alu instid0(VALU_DEP_2)
	v_add_co_ci_u32_e64 v30, null, s7, v25, vcc_lo
	global_load_b128 v[25:28], v[13:14], off
	global_load_b32 v7, v[29:30], off
	v_add_co_u32 v13, vcc_lo, 0x100, v13
	s_wait_alu 0xfffd
	v_add_co_ci_u32_e64 v14, null, 0, v14, vcc_lo
	v_add_co_u32 v11, vcc_lo, v11, 16
	s_wait_alu 0xfffd
	v_add_co_ci_u32_e64 v12, null, 0, v12, vcc_lo
	;; [unrolled: 3-line block ×4, first 2 shown]
	s_delay_alu instid0(VALU_DEP_1)
	v_cmp_eq_u64_e32 vcc_lo, 0, v[19:20]
	s_wait_alu 0xfffe
	s_or_b32 s4, vcc_lo, s4
	s_wait_loadcnt 0x1
	v_bfe_i32 v29, v25, 0, 8
	v_bfe_i32 v35, v27, 0, 8
	s_wait_loadcnt 0x0
	v_bfe_i32 v41, v7, 0, 8
	v_bfe_i32 v30, v25, 8, 8
	;; [unrolled: 1-line block ×4, first 2 shown]
	v_cvt_f32_i32_e32 v29, v29
	v_cvt_f32_i32_e32 v35, v35
	v_bfe_i32 v42, v7, 8, 8
	v_cvt_f32_i32_e32 v41, v41
	v_bfe_i32 v32, v26, 0, 8
	v_bfe_i32 v37, v27, 16, 8
	;; [unrolled: 1-line block ×3, first 2 shown]
	v_cvt_f32_i32_e32 v30, v30
	v_cvt_f32_i32_e32 v36, v36
	;; [unrolled: 1-line block ×3, first 2 shown]
	v_bfe_i32 v43, v7, 16, 8
	v_cvt_f32_i32_e32 v42, v42
	v_fmac_f32_e32 v8, v29, v41
	v_fmac_f32_e32 v23, v35, v41
	v_bfe_i32 v33, v26, 8, 8
	v_ashrrev_i32_e32 v27, 24, v27
	v_cvt_f32_i32_e32 v32, v32
	v_cvt_f32_i32_e32 v37, v37
	;; [unrolled: 1-line block ×3, first 2 shown]
	v_ashrrev_i32_e32 v7, 24, v7
	v_cvt_f32_i32_e32 v29, v43
	v_fmac_f32_e32 v8, v30, v42
	v_dual_fmac_f32 v22, v38, v41 :: v_dual_fmac_f32 v23, v36, v42
	v_bfe_i32 v31, v25, 16, 8
	v_bfe_i32 v34, v26, 16, 8
	;; [unrolled: 1-line block ×3, first 2 shown]
	v_cvt_f32_i32_e32 v33, v33
	v_cvt_f32_i32_e32 v27, v27
	v_dual_fmac_f32 v22, v39, v42 :: v_dual_fmac_f32 v23, v37, v29
	v_cvt_f32_i32_e32 v7, v7
	v_fmac_f32_e32 v24, v32, v41
	v_ashrrev_i32_e32 v25, 24, v25
	v_ashrrev_i32_e32 v26, 24, v26
	;; [unrolled: 1-line block ×3, first 2 shown]
	v_cvt_f32_i32_e32 v31, v31
	v_cvt_f32_i32_e32 v34, v34
	;; [unrolled: 1-line block ×3, first 2 shown]
	v_dual_fmac_f32 v23, v27, v7 :: v_dual_fmac_f32 v24, v33, v42
	v_cvt_f32_i32_e32 v25, v25
	v_cvt_f32_i32_e32 v26, v26
	;; [unrolled: 1-line block ×3, first 2 shown]
	v_fmac_f32_e32 v8, v31, v29
	v_fmac_f32_e32 v24, v34, v29
	;; [unrolled: 1-line block ×3, first 2 shown]
	s_delay_alu instid0(VALU_DEP_3) | instskip(NEXT) | instid1(VALU_DEP_3)
	v_fmac_f32_e32 v8, v25, v7
	v_fmac_f32_e32 v24, v26, v7
	s_delay_alu instid0(VALU_DEP_3)
	v_fmac_f32_e32 v22, v28, v7
	s_wait_alu 0xfffe
	s_and_not1_b32 exec_lo, exec_lo, s4
	s_cbranch_execnz .LBB82_17
; %bb.18:
	s_or_b32 exec_lo, exec_lo, s4
.LBB82_19:
	s_wait_alu 0xfffe
	s_or_b32 exec_lo, exec_lo, s3
	s_delay_alu instid0(SALU_CYCLE_1)
	s_mov_b32 s11, exec_lo
	v_cmpx_lt_u64_e32 47, v[15:16]
	s_cbranch_execz .LBB82_23
; %bb.20:
	v_lshlrev_b64_e32 v[15:16], 2, v[11:12]
	s_mov_b32 s13, 0
	s_delay_alu instid0(VALU_DEP_1) | instskip(SKIP_1) | instid1(VALU_DEP_2)
	v_add_co_u32 v7, vcc_lo, s8, v15
	s_wait_alu 0xfffd
	v_add_co_ci_u32_e64 v16, null, s9, v16, vcc_lo
	s_delay_alu instid0(VALU_DEP_2) | instskip(SKIP_1) | instid1(VALU_DEP_2)
	v_add_co_u32 v15, vcc_lo, 0x80, v7
	s_wait_alu 0xfffd
	v_add_co_ci_u32_e64 v16, null, 0, v16, vcc_lo
.LBB82_21:                              ; =>This Inner Loop Header: Depth=1
	s_clause 0x3
	global_load_b32 v7, v[15:16], off offset:-128
	global_load_b32 v37, v[15:16], off offset:-64
	global_load_b32 v38, v[15:16], off
	global_load_b32 v39, v[15:16], off offset:64
	s_clause 0x3
	global_load_b128 v[17:20], v[13:14], off
	global_load_b128 v[25:28], v[13:14], off offset:256
	global_load_b128 v[29:32], v[13:14], off offset:512
	;; [unrolled: 1-line block ×3, first 2 shown]
	s_wait_loadcnt 0x7
	v_subrev_nc_u32_e32 v7, s16, v7
	s_wait_loadcnt 0x6
	v_subrev_nc_u32_e32 v37, s16, v37
	;; [unrolled: 2-line block ×4, first 2 shown]
	s_wait_loadcnt 0x3
	v_bfe_i32 v48, v19, 16, 8
	v_lshlrev_b32_e32 v7, 2, v7
	v_lshlrev_b32_e32 v37, 2, v37
	;; [unrolled: 1-line block ×4, first 2 shown]
	v_bfe_i32 v49, v20, 0, 8
	v_ashrrev_i32_e32 v42, 31, v7
	v_ashrrev_i32_e32 v45, 31, v37
	;; [unrolled: 1-line block ×4, first 2 shown]
	s_wait_kmcnt 0x0
	v_add_co_u32 v43, s5, s6, v7
	v_add_co_u32 v37, vcc_lo, s6, v37
	v_add_co_u32 v39, s3, s6, v38
	s_wait_alu 0xf1ff
	v_add_co_ci_u32_e64 v44, null, s7, v42, s5
	v_add_co_u32 v41, s4, s6, v40
	s_wait_alu 0xfffd
	v_add_co_ci_u32_e64 v38, null, s7, v45, vcc_lo
	v_add_co_ci_u32_e64 v40, null, s7, v46, s3
	s_wait_alu 0xf1ff
	v_add_co_ci_u32_e64 v42, null, s7, v47, s4
	s_clause 0x3
	global_load_b32 v7, v[43:44], off
	global_load_b32 v37, v[37:38], off
	;; [unrolled: 1-line block ×4, first 2 shown]
	v_bfe_i32 v46, v19, 0, 8
	v_bfe_i32 v43, v18, 0, 8
	v_bfe_i32 v47, v19, 8, 8
	v_bfe_i32 v40, v17, 0, 8
	v_bfe_i32 v41, v17, 8, 8
	v_cvt_f32_i32_e32 v46, v46
	v_cvt_f32_i32_e32 v43, v43
	;; [unrolled: 1-line block ×3, first 2 shown]
	v_ashrrev_i32_e32 v19, 24, v19
	v_bfe_i32 v50, v20, 8, 8
	v_cvt_f32_i32_e32 v40, v40
	v_cvt_f32_i32_e32 v48, v48
	;; [unrolled: 1-line block ×3, first 2 shown]
	v_bfe_i32 v44, v18, 8, 8
	v_bfe_i32 v51, v20, 16, 8
	s_wait_loadcnt 0x6
	v_bfe_i32 v58, v27, 0, 8
	v_bfe_i32 v59, v27, 8, 8
	;; [unrolled: 1-line block ×3, first 2 shown]
	v_ashrrev_i32_e32 v27, 24, v27
	v_cvt_f32_i32_e32 v41, v41
	v_cvt_f32_i32_e32 v19, v19
	;; [unrolled: 1-line block ×3, first 2 shown]
	v_bfe_i32 v42, v17, 16, 8
	v_bfe_i32 v45, v18, 16, 8
	v_cvt_f32_i32_e32 v44, v44
	v_cvt_f32_i32_e32 v51, v51
	;; [unrolled: 1-line block ×4, first 2 shown]
	v_ashrrev_i32_e32 v17, 24, v17
	v_ashrrev_i32_e32 v18, 24, v18
	;; [unrolled: 1-line block ×3, first 2 shown]
	s_wait_loadcnt 0x5
	v_bfe_i32 v70, v31, 0, 8
	v_cvt_f32_i32_e32 v42, v42
	v_cvt_f32_i32_e32 v45, v45
	;; [unrolled: 1-line block ×3, first 2 shown]
	v_bfe_i32 v52, v25, 0, 8
	v_bfe_i32 v55, v26, 0, 8
	;; [unrolled: 1-line block ×4, first 2 shown]
	s_wait_loadcnt 0x4
	v_bfe_i32 v82, v35, 0, 8
	v_bfe_i32 v84, v35, 16, 8
	v_cvt_f32_i32_e32 v17, v17
	v_cvt_f32_i32_e32 v18, v18
	;; [unrolled: 1-line block ×5, first 2 shown]
	v_bfe_i32 v53, v25, 8, 8
	v_bfe_i32 v56, v26, 8, 8
	;; [unrolled: 1-line block ×4, first 2 shown]
	v_ashrrev_i32_e32 v31, 24, v31
	v_cvt_f32_i32_e32 v52, v52
	v_cvt_f32_i32_e32 v55, v55
	v_cvt_f32_i32_e32 v61, v61
	v_cvt_f32_i32_e32 v72, v72
	v_cvt_f32_i32_e32 v82, v82
	v_cvt_f32_i32_e32 v84, v84
	v_bfe_i32 v54, v25, 16, 8
	v_bfe_i32 v57, v26, 16, 8
	v_bfe_i32 v63, v28, 16, 8
	v_cvt_f32_i32_e32 v53, v53
	v_cvt_f32_i32_e32 v56, v56
	;; [unrolled: 1-line block ×5, first 2 shown]
	v_ashrrev_i32_e32 v25, 24, v25
	v_ashrrev_i32_e32 v26, 24, v26
	;; [unrolled: 1-line block ×3, first 2 shown]
	v_bfe_i32 v83, v35, 8, 8
	v_ashrrev_i32_e32 v35, 24, v35
	v_cvt_f32_i32_e32 v54, v54
	v_cvt_f32_i32_e32 v57, v57
	v_cvt_f32_i32_e32 v63, v63
	v_bfe_i32 v64, v29, 0, 8
	v_bfe_i32 v67, v30, 0, 8
	v_bfe_i32 v73, v32, 0, 8
	v_cvt_f32_i32_e32 v25, v25
	v_cvt_f32_i32_e32 v26, v26
	;; [unrolled: 1-line block ×5, first 2 shown]
	v_bfe_i32 v65, v29, 8, 8
	v_bfe_i32 v68, v30, 8, 8
	v_bfe_i32 v74, v32, 8, 8
	v_cvt_f32_i32_e32 v64, v64
	v_cvt_f32_i32_e32 v67, v67
	;; [unrolled: 1-line block ×3, first 2 shown]
	v_bfe_i32 v66, v29, 16, 8
	v_bfe_i32 v69, v30, 16, 8
	;; [unrolled: 1-line block ×3, first 2 shown]
	v_cvt_f32_i32_e32 v65, v65
	v_cvt_f32_i32_e32 v68, v68
	;; [unrolled: 1-line block ×3, first 2 shown]
	v_ashrrev_i32_e32 v29, 24, v29
	v_ashrrev_i32_e32 v30, 24, v30
	;; [unrolled: 1-line block ×3, first 2 shown]
	v_cvt_f32_i32_e32 v66, v66
	v_cvt_f32_i32_e32 v69, v69
	v_cvt_f32_i32_e32 v75, v75
	v_bfe_i32 v76, v33, 0, 8
	v_bfe_i32 v79, v34, 0, 8
	v_bfe_i32 v85, v36, 0, 8
	v_cvt_f32_i32_e32 v29, v29
	v_cvt_f32_i32_e32 v30, v30
	v_cvt_f32_i32_e32 v32, v32
	v_bfe_i32 v77, v33, 8, 8
	v_bfe_i32 v80, v34, 8, 8
	v_bfe_i32 v86, v36, 8, 8
	;; [unrolled: 6-line block ×3, first 2 shown]
	v_cvt_f32_i32_e32 v77, v77
	v_cvt_f32_i32_e32 v80, v80
	;; [unrolled: 1-line block ×3, first 2 shown]
	v_add_co_u32 v13, vcc_lo, 0x400, v13
	s_wait_alu 0xfffd
	v_add_co_ci_u32_e64 v14, null, 0, v14, vcc_lo
	v_add_co_u32 v11, vcc_lo, v11, 64
	v_ashrrev_i32_e32 v33, 24, v33
	v_ashrrev_i32_e32 v34, 24, v34
	v_ashrrev_i32_e32 v36, 24, v36
	v_cvt_f32_i32_e32 v78, v78
	v_cvt_f32_i32_e32 v81, v81
	v_cvt_f32_i32_e32 v87, v87
	s_wait_alu 0xfffd
	v_add_co_ci_u32_e64 v12, null, 0, v12, vcc_lo
	v_add_co_u32 v15, vcc_lo, 0x100, v15
	v_cvt_f32_i32_e32 v33, v33
	v_cvt_f32_i32_e32 v34, v34
	;; [unrolled: 1-line block ×3, first 2 shown]
	s_wait_alu 0xfffd
	v_add_co_ci_u32_e64 v16, null, 0, v16, vcc_lo
	v_cmp_ge_i64_e32 vcc_lo, v[11:12], v[2:3]
	s_or_b32 s13, vcc_lo, s13
	s_wait_loadcnt 0x3
	v_bfe_i32 v88, v7, 0, 8
	v_bfe_i32 v89, v7, 8, 8
	v_bfe_i32 v90, v7, 16, 8
	v_ashrrev_i32_e32 v7, 24, v7
	s_wait_loadcnt 0x2
	v_bfe_i32 v91, v37, 0, 8
	v_cvt_f32_i32_e32 v88, v88
	v_cvt_f32_i32_e32 v89, v89
	v_bfe_i32 v92, v37, 8, 8
	v_cvt_f32_i32_e32 v7, v7
	v_bfe_i32 v93, v37, 16, 8
	v_fmac_f32_e32 v23, v46, v88
	v_fmac_f32_e32 v24, v43, v88
	v_cvt_f32_i32_e32 v43, v90
	v_fmac_f32_e32 v8, v40, v88
	v_ashrrev_i32_e32 v37, 24, v37
	v_dual_fmac_f32 v23, v47, v89 :: v_dual_fmac_f32 v22, v49, v88
	s_wait_loadcnt 0x1
	v_bfe_i32 v94, v38, 0, 8
	v_bfe_i32 v95, v38, 8, 8
	;; [unrolled: 1-line block ×3, first 2 shown]
	v_dual_fmac_f32 v23, v48, v43 :: v_dual_fmac_f32 v8, v41, v89
	v_fmac_f32_e32 v22, v50, v89
	v_cvt_f32_i32_e32 v41, v91
	v_ashrrev_i32_e32 v38, 24, v38
	s_delay_alu instid0(VALU_DEP_4)
	v_fmac_f32_e32 v23, v19, v7
	v_fmac_f32_e32 v8, v42, v43
	;; [unrolled: 1-line block ×3, first 2 shown]
	s_wait_loadcnt 0x0
	v_bfe_i32 v97, v39, 0, 8
	v_bfe_i32 v98, v39, 8, 8
	v_fmac_f32_e32 v23, v58, v41
	v_fmac_f32_e32 v24, v44, v89
	;; [unrolled: 1-line block ×4, first 2 shown]
	v_cvt_f32_i32_e32 v17, v93
	v_bfe_i32 v40, v39, 16, 8
	v_fmac_f32_e32 v24, v45, v43
	v_fmac_f32_e32 v8, v52, v41
	;; [unrolled: 1-line block ×3, first 2 shown]
	v_ashrrev_i32_e32 v39, 24, v39
	s_delay_alu instid0(VALU_DEP_4) | instskip(SKIP_1) | instid1(VALU_DEP_2)
	v_fmac_f32_e32 v24, v18, v7
	v_cvt_f32_i32_e32 v7, v92
	v_fmac_f32_e32 v24, v55, v41
	s_delay_alu instid0(VALU_DEP_2) | instskip(SKIP_2) | instid1(VALU_DEP_4)
	v_fmac_f32_e32 v8, v53, v7
	v_fmac_f32_e32 v23, v59, v7
	v_fmac_f32_e32 v22, v62, v7
	v_fmac_f32_e32 v24, v56, v7
	v_cvt_f32_i32_e32 v7, v37
	v_fmac_f32_e32 v8, v54, v17
	v_fmac_f32_e32 v23, v60, v17
	v_fmac_f32_e32 v22, v63, v17
	v_fmac_f32_e32 v24, v57, v17
	v_cvt_f32_i32_e32 v17, v94
	;; [unrolled: 5-line block ×9, first 2 shown]
	v_fmac_f32_e32 v8, v78, v17
	v_fmac_f32_e32 v23, v84, v17
	;; [unrolled: 1-line block ×4, first 2 shown]
	s_delay_alu instid0(VALU_DEP_4) | instskip(NEXT) | instid1(VALU_DEP_4)
	v_fmac_f32_e32 v8, v33, v7
	v_fmac_f32_e32 v23, v35, v7
	s_delay_alu instid0(VALU_DEP_4) | instskip(NEXT) | instid1(VALU_DEP_4)
	v_fmac_f32_e32 v22, v36, v7
	v_fmac_f32_e32 v24, v34, v7
	s_and_not1_b32 exec_lo, exec_lo, s13
	s_cbranch_execnz .LBB82_21
; %bb.22:
	s_or_b32 exec_lo, exec_lo, s13
.LBB82_23:
	s_wait_alu 0xfffe
	s_or_b32 exec_lo, exec_lo, s11
.LBB82_24:
	s_wait_alu 0xfffe
	s_or_b32 exec_lo, exec_lo, s10
	s_cbranch_execz .LBB82_26
	s_branch .LBB82_37
.LBB82_25:
                                        ; implicit-def: $vgpr22
                                        ; implicit-def: $vgpr23
                                        ; implicit-def: $vgpr24
                                        ; implicit-def: $vgpr8
.LBB82_26:
	v_dual_mov_b32 v22, 0 :: v_dual_mov_b32 v23, 0
	v_mov_b32_e32 v24, 0
	v_mov_b32_e32 v8, 0
	s_and_saveexec_b32 s5, s2
	s_cbranch_execz .LBB82_36
; %bb.27:
	v_or_b32_e32 v7, 16, v21
	s_delay_alu instid0(VALU_DEP_1) | instskip(SKIP_3) | instid1(VALU_DEP_3)
	v_sub_co_u32 v7, s2, v7, s16
	s_wait_alu 0xf1ff
	v_sub_co_ci_u32_e64 v8, null, 0, 0, s2
	v_sub_co_u32 v11, s2, s16, v21
	v_add_co_u32 v7, vcc_lo, v7, v9
	s_wait_alu 0xfffd
	s_delay_alu instid0(VALU_DEP_3)
	v_add_co_ci_u32_e64 v8, null, v8, v10, vcc_lo
	v_not_b32_e32 v9, v9
	v_not_b32_e32 v10, v10
	s_wait_alu 0xf1ff
	v_sub_co_ci_u32_e64 v12, null, 0, 0, s2
	v_cmp_gt_i64_e32 vcc_lo, v[7:8], v[2:3]
	s_mov_b32 s2, exec_lo
	s_wait_alu 0xfffd
	v_cndmask_b32_e32 v13, v3, v8, vcc_lo
	v_cndmask_b32_e32 v7, v2, v7, vcc_lo
	v_add_co_u32 v8, vcc_lo, v11, v9
	s_wait_alu 0xfffd
	v_add_co_ci_u32_e64 v10, null, v12, v10, vcc_lo
	s_delay_alu instid0(VALU_DEP_2) | instskip(SKIP_2) | instid1(VALU_DEP_3)
	v_add_co_u32 v9, vcc_lo, v8, v7
	v_mov_b32_e32 v8, 0
	s_wait_alu 0xfffd
	v_add_co_ci_u32_e64 v10, null, v10, v13, vcc_lo
	s_delay_alu instid0(VALU_DEP_2) | instskip(SKIP_1) | instid1(VALU_DEP_2)
	v_dual_mov_b32 v22, v8 :: v_dual_and_b32 v7, 48, v9
	v_dual_mov_b32 v24, v8 :: v_dual_mov_b32 v23, v8
	v_cmpx_ne_u64_e32 48, v[7:8]
	s_cbranch_execz .LBB82_31
; %bb.28:
	v_lshrrev_b32_e32 v7, 4, v9
	v_dual_mov_b32 v23, 0 :: v_dual_mov_b32 v24, 0
	s_delay_alu instid0(VALU_DEP_2) | instskip(SKIP_1) | instid1(VALU_DEP_2)
	v_dual_mov_b32 v22, 0 :: v_dual_add_nc_u32 v11, 1, v7
	v_lshlrev_b64_e32 v[7:8], 2, v[0:1]
	v_and_b32_e32 v13, 3, v11
	s_delay_alu instid0(VALU_DEP_2) | instskip(SKIP_1) | instid1(VALU_DEP_3)
	v_add_co_u32 v11, vcc_lo, s8, v7
	s_wait_alu 0xfffd
	v_add_co_ci_u32_e64 v12, null, s9, v8, vcc_lo
	v_mov_b32_e32 v8, 0
	v_sub_co_u32 v13, s3, 0, v13
	s_wait_alu 0xf1ff
	v_sub_co_ci_u32_e64 v14, null, 0, 0, s3
	s_mov_b32 s3, 0
.LBB82_29:                              ; =>This Inner Loop Header: Depth=1
	global_load_b32 v7, v[11:12], off
	s_wait_loadcnt 0x0
	v_subrev_nc_u32_e32 v7, s16, v7
	s_delay_alu instid0(VALU_DEP_1) | instskip(NEXT) | instid1(VALU_DEP_1)
	v_lshlrev_b32_e32 v7, 2, v7
	v_ashrrev_i32_e32 v15, 31, v7
	s_wait_kmcnt 0x0
	v_add_co_u32 v19, vcc_lo, s6, v7
	s_wait_alu 0xfffd
	s_delay_alu instid0(VALU_DEP_2)
	v_add_co_ci_u32_e64 v20, null, s7, v15, vcc_lo
	global_load_b128 v[15:18], v[5:6], off
	global_load_b32 v7, v[19:20], off
	v_add_co_u32 v5, vcc_lo, 0x100, v5
	s_wait_alu 0xfffd
	v_add_co_ci_u32_e64 v6, null, 0, v6, vcc_lo
	v_add_co_u32 v0, vcc_lo, v0, 16
	s_wait_alu 0xfffd
	v_add_co_ci_u32_e64 v1, null, 0, v1, vcc_lo
	;; [unrolled: 3-line block ×4, first 2 shown]
	s_delay_alu instid0(VALU_DEP_1)
	v_cmp_eq_u64_e32 vcc_lo, 0, v[13:14]
	s_wait_alu 0xfffe
	s_or_b32 s3, vcc_lo, s3
	s_wait_loadcnt 0x1
	v_bfe_i32 v20, v15, 8, 8
	s_wait_loadcnt 0x0
	v_bfe_i32 v35, v7, 0, 8
	v_bfe_i32 v19, v15, 0, 8
	;; [unrolled: 1-line block ×3, first 2 shown]
	v_ashrrev_i32_e32 v15, 24, v15
	v_bfe_i32 v27, v16, 8, 8
	v_cvt_f32_i32_e32 v20, v20
	v_bfe_i32 v36, v7, 8, 8
	v_cvt_f32_i32_e32 v35, v35
	v_bfe_i32 v26, v16, 0, 8
	v_bfe_i32 v28, v16, 16, 8
	v_ashrrev_i32_e32 v16, 24, v16
	v_cvt_f32_i32_e32 v19, v19
	v_cvt_f32_i32_e32 v25, v25
	v_cvt_f32_i32_e32 v15, v15
	v_cvt_f32_i32_e32 v27, v27
	v_cvt_f32_i32_e32 v36, v36
	v_fmac_f32_e32 v24, v20, v35
	v_bfe_i32 v29, v17, 0, 8
	v_bfe_i32 v30, v17, 8, 8
	;; [unrolled: 1-line block ×3, first 2 shown]
	v_ashrrev_i32_e32 v17, 24, v17
	v_cvt_f32_i32_e32 v26, v26
	v_cvt_f32_i32_e32 v28, v28
	;; [unrolled: 1-line block ×3, first 2 shown]
	v_bfe_i32 v37, v7, 16, 8
	v_dual_fmac_f32 v23, v25, v35 :: v_dual_fmac_f32 v24, v27, v36
	v_fmac_f32_e32 v8, v19, v35
	v_fmac_f32_e32 v22, v15, v35
	v_bfe_i32 v32, v18, 0, 8
	v_bfe_i32 v33, v18, 8, 8
	;; [unrolled: 1-line block ×3, first 2 shown]
	v_ashrrev_i32_e32 v18, 24, v18
	v_cvt_f32_i32_e32 v29, v29
	v_cvt_f32_i32_e32 v30, v30
	v_cvt_f32_i32_e32 v31, v31
	v_cvt_f32_i32_e32 v17, v17
	v_ashrrev_i32_e32 v7, 24, v7
	v_cvt_f32_i32_e32 v15, v37
	v_fmac_f32_e32 v23, v28, v36
	v_fmac_f32_e32 v8, v26, v36
	;; [unrolled: 1-line block ×3, first 2 shown]
	v_cvt_f32_i32_e32 v32, v32
	v_cvt_f32_i32_e32 v33, v33
	;; [unrolled: 1-line block ×5, first 2 shown]
	v_fmac_f32_e32 v8, v29, v15
	v_fmac_f32_e32 v24, v30, v15
	;; [unrolled: 1-line block ×4, first 2 shown]
	s_delay_alu instid0(VALU_DEP_4) | instskip(NEXT) | instid1(VALU_DEP_4)
	v_fmac_f32_e32 v8, v32, v7
	v_fmac_f32_e32 v24, v33, v7
	s_delay_alu instid0(VALU_DEP_4) | instskip(NEXT) | instid1(VALU_DEP_4)
	v_fmac_f32_e32 v23, v34, v7
	v_fmac_f32_e32 v22, v18, v7
	s_wait_alu 0xfffe
	s_and_not1_b32 exec_lo, exec_lo, s3
	s_cbranch_execnz .LBB82_29
; %bb.30:
	s_or_b32 exec_lo, exec_lo, s3
.LBB82_31:
	s_wait_alu 0xfffe
	s_or_b32 exec_lo, exec_lo, s2
	s_delay_alu instid0(SALU_CYCLE_1)
	s_mov_b32 s10, exec_lo
	v_cmpx_lt_u64_e32 47, v[9:10]
	s_cbranch_execz .LBB82_35
; %bb.32:
	v_lshlrev_b64_e32 v[9:10], 2, v[0:1]
	s_delay_alu instid0(VALU_DEP_1) | instskip(SKIP_1) | instid1(VALU_DEP_2)
	v_add_co_u32 v7, vcc_lo, s8, v9
	s_wait_alu 0xfffd
	v_add_co_ci_u32_e64 v10, null, s9, v10, vcc_lo
	s_mov_b32 s8, 0
	v_add_co_u32 v9, vcc_lo, 0x80, v7
	s_wait_alu 0xfffd
	v_add_co_ci_u32_e64 v10, null, 0, v10, vcc_lo
.LBB82_33:                              ; =>This Inner Loop Header: Depth=1
	s_clause 0x3
	global_load_b32 v7, v[9:10], off offset:-128
	global_load_b32 v19, v[9:10], off offset:-64
	global_load_b32 v20, v[9:10], off
	global_load_b32 v33, v[9:10], off offset:64
	s_clause 0x3
	global_load_b128 v[11:14], v[5:6], off
	global_load_b128 v[15:18], v[5:6], off offset:256
	global_load_b128 v[25:28], v[5:6], off offset:512
	global_load_b128 v[29:32], v[5:6], off offset:768
	s_wait_loadcnt 0x7
	v_subrev_nc_u32_e32 v7, s16, v7
	s_wait_loadcnt 0x6
	v_subrev_nc_u32_e32 v19, s16, v19
	;; [unrolled: 2-line block ×4, first 2 shown]
	s_wait_loadcnt 0x3
	v_bfe_i32 v42, v13, 16, 8
	v_lshlrev_b32_e32 v7, 2, v7
	v_lshlrev_b32_e32 v19, 2, v19
	;; [unrolled: 1-line block ×4, first 2 shown]
	v_cvt_f32_i32_e32 v42, v42
	v_ashrrev_i32_e32 v36, 31, v7
	v_ashrrev_i32_e32 v39, 31, v19
	;; [unrolled: 1-line block ×4, first 2 shown]
	s_wait_kmcnt 0x0
	v_add_co_u32 v37, s4, s6, v7
	v_add_co_u32 v19, vcc_lo, s6, v19
	v_add_co_u32 v33, s2, s6, v20
	s_wait_alu 0xf1ff
	v_add_co_ci_u32_e64 v38, null, s7, v36, s4
	v_add_co_u32 v35, s3, s6, v34
	s_wait_alu 0xfffd
	v_add_co_ci_u32_e64 v20, null, s7, v39, vcc_lo
	v_add_co_ci_u32_e64 v34, null, s7, v40, s2
	s_wait_alu 0xf1ff
	v_add_co_ci_u32_e64 v36, null, s7, v41, s3
	s_clause 0x3
	global_load_b32 v7, v[37:38], off
	global_load_b32 v19, v[19:20], off
	global_load_b32 v20, v[33:34], off
	global_load_b32 v33, v[35:36], off
	v_bfe_i32 v36, v11, 16, 8
	v_bfe_i32 v34, v11, 0, 8
	v_bfe_i32 v35, v11, 8, 8
	v_ashrrev_i32_e32 v11, 24, v11
	v_bfe_i32 v39, v12, 16, 8
	v_cvt_f32_i32_e32 v36, v36
	v_bfe_i32 v37, v12, 0, 8
	v_bfe_i32 v38, v12, 8, 8
	v_ashrrev_i32_e32 v12, 24, v12
	v_cvt_f32_i32_e32 v34, v34
	v_cvt_f32_i32_e32 v35, v35
	;; [unrolled: 1-line block ×4, first 2 shown]
	v_bfe_i32 v40, v13, 0, 8
	v_bfe_i32 v41, v13, 8, 8
	v_ashrrev_i32_e32 v13, 24, v13
	v_cvt_f32_i32_e32 v37, v37
	v_cvt_f32_i32_e32 v38, v38
	;; [unrolled: 1-line block ×3, first 2 shown]
	v_bfe_i32 v43, v14, 0, 8
	v_bfe_i32 v44, v14, 8, 8
	;; [unrolled: 1-line block ×3, first 2 shown]
	v_ashrrev_i32_e32 v14, 24, v14
	v_cvt_f32_i32_e32 v40, v40
	v_cvt_f32_i32_e32 v41, v41
	;; [unrolled: 1-line block ×3, first 2 shown]
	s_wait_loadcnt 0x6
	v_bfe_i32 v46, v15, 0, 8
	v_bfe_i32 v47, v15, 8, 8
	v_bfe_i32 v48, v15, 16, 8
	v_ashrrev_i32_e32 v15, 24, v15
	v_cvt_f32_i32_e32 v43, v43
	v_cvt_f32_i32_e32 v44, v44
	v_cvt_f32_i32_e32 v45, v45
	v_cvt_f32_i32_e32 v14, v14
	v_bfe_i32 v49, v16, 0, 8
	v_bfe_i32 v50, v16, 8, 8
	v_bfe_i32 v51, v16, 16, 8
	v_ashrrev_i32_e32 v16, 24, v16
	v_cvt_f32_i32_e32 v46, v46
	v_cvt_f32_i32_e32 v47, v47
	v_cvt_f32_i32_e32 v48, v48
	v_cvt_f32_i32_e32 v15, v15
	;; [unrolled: 8-line block ×4, first 2 shown]
	s_wait_loadcnt 0x5
	v_bfe_i32 v58, v25, 0, 8
	v_bfe_i32 v59, v25, 8, 8
	v_bfe_i32 v60, v25, 16, 8
	v_ashrrev_i32_e32 v25, 24, v25
	v_cvt_f32_i32_e32 v55, v55
	v_cvt_f32_i32_e32 v56, v56
	v_cvt_f32_i32_e32 v57, v57
	v_cvt_f32_i32_e32 v18, v18
	v_bfe_i32 v61, v26, 0, 8
	v_bfe_i32 v62, v26, 8, 8
	v_bfe_i32 v63, v26, 16, 8
	v_ashrrev_i32_e32 v26, 24, v26
	v_cvt_f32_i32_e32 v58, v58
	v_cvt_f32_i32_e32 v59, v59
	v_cvt_f32_i32_e32 v60, v60
	v_cvt_f32_i32_e32 v25, v25
	;; [unrolled: 8-line block ×4, first 2 shown]
	s_wait_loadcnt 0x4
	v_bfe_i32 v70, v29, 0, 8
	v_bfe_i32 v71, v29, 8, 8
	v_bfe_i32 v72, v29, 16, 8
	v_ashrrev_i32_e32 v29, 24, v29
	v_cvt_f32_i32_e32 v67, v67
	v_cvt_f32_i32_e32 v68, v68
	v_cvt_f32_i32_e32 v69, v69
	v_cvt_f32_i32_e32 v28, v28
	v_bfe_i32 v73, v30, 0, 8
	v_bfe_i32 v74, v30, 8, 8
	v_bfe_i32 v75, v30, 16, 8
	v_ashrrev_i32_e32 v30, 24, v30
	v_cvt_f32_i32_e32 v70, v70
	v_cvt_f32_i32_e32 v71, v71
	v_cvt_f32_i32_e32 v72, v72
	v_cvt_f32_i32_e32 v29, v29
	;; [unrolled: 8-line block ×3, first 2 shown]
	v_add_co_u32 v5, vcc_lo, 0x400, v5
	s_wait_alu 0xfffd
	v_add_co_ci_u32_e64 v6, null, 0, v6, vcc_lo
	v_add_co_u32 v0, vcc_lo, v0, 64
	v_bfe_i32 v79, v32, 0, 8
	v_bfe_i32 v80, v32, 8, 8
	;; [unrolled: 1-line block ×3, first 2 shown]
	v_ashrrev_i32_e32 v32, 24, v32
	v_cvt_f32_i32_e32 v76, v76
	v_cvt_f32_i32_e32 v77, v77
	;; [unrolled: 1-line block ×4, first 2 shown]
	s_wait_alu 0xfffd
	v_add_co_ci_u32_e64 v1, null, 0, v1, vcc_lo
	v_add_co_u32 v9, vcc_lo, 0x100, v9
	v_cvt_f32_i32_e32 v79, v79
	v_cvt_f32_i32_e32 v80, v80
	;; [unrolled: 1-line block ×4, first 2 shown]
	s_wait_alu 0xfffd
	v_add_co_ci_u32_e64 v10, null, 0, v10, vcc_lo
	v_cmp_ge_i64_e32 vcc_lo, v[0:1], v[2:3]
	s_wait_alu 0xfffe
	s_or_b32 s8, vcc_lo, s8
	s_wait_loadcnt 0x3
	v_bfe_i32 v82, v7, 0, 8
	v_bfe_i32 v83, v7, 8, 8
	;; [unrolled: 1-line block ×3, first 2 shown]
	v_ashrrev_i32_e32 v7, 24, v7
	s_wait_loadcnt 0x2
	v_bfe_i32 v85, v19, 0, 8
	v_cvt_f32_i32_e32 v82, v82
	v_cvt_f32_i32_e32 v83, v83
	v_bfe_i32 v86, v19, 8, 8
	v_cvt_f32_i32_e32 v7, v7
	v_bfe_i32 v87, v19, 16, 8
	v_fmac_f32_e32 v23, v36, v82
	v_fmac_f32_e32 v8, v34, v82
	v_fmac_f32_e32 v24, v35, v82
	v_ashrrev_i32_e32 v19, 24, v19
	s_wait_loadcnt 0x1
	v_bfe_i32 v88, v20, 0, 8
	v_fmac_f32_e32 v23, v39, v83
	v_fmac_f32_e32 v22, v11, v82
	v_cvt_f32_i32_e32 v11, v84
	v_fmac_f32_e32 v8, v37, v83
	v_fmac_f32_e32 v24, v38, v83
	v_bfe_i32 v89, v20, 8, 8
	v_bfe_i32 v90, v20, 16, 8
	v_fmac_f32_e32 v23, v42, v11
	v_fmac_f32_e32 v22, v12, v83
	;; [unrolled: 1-line block ×4, first 2 shown]
	v_ashrrev_i32_e32 v20, 24, v20
	v_fmac_f32_e32 v23, v45, v7
	v_fmac_f32_e32 v22, v13, v11
	v_cvt_f32_i32_e32 v11, v85
	v_fmac_f32_e32 v8, v43, v7
	v_fmac_f32_e32 v24, v44, v7
	s_wait_loadcnt 0x0
	v_bfe_i32 v91, v33, 0, 8
	v_fmac_f32_e32 v22, v14, v7
	v_cvt_f32_i32_e32 v7, v86
	v_fmac_f32_e32 v8, v46, v11
	v_fmac_f32_e32 v24, v47, v11
	v_fmac_f32_e32 v23, v48, v11
	v_fmac_f32_e32 v22, v15, v11
	v_cvt_f32_i32_e32 v11, v87
	v_fmac_f32_e32 v8, v49, v7
	v_fmac_f32_e32 v24, v50, v7
	v_fmac_f32_e32 v23, v51, v7
	;; [unrolled: 5-line block ×7, first 2 shown]
	v_fmac_f32_e32 v22, v27, v11
	v_bfe_i32 v92, v33, 8, 8
	v_cvt_f32_i32_e32 v11, v91
	v_fmac_f32_e32 v8, v67, v7
	v_fmac_f32_e32 v24, v68, v7
	;; [unrolled: 1-line block ×4, first 2 shown]
	v_bfe_i32 v34, v33, 16, 8
	v_cvt_f32_i32_e32 v7, v92
	v_fmac_f32_e32 v8, v70, v11
	v_fmac_f32_e32 v24, v71, v11
	;; [unrolled: 1-line block ×4, first 2 shown]
	v_ashrrev_i32_e32 v33, 24, v33
	v_cvt_f32_i32_e32 v11, v34
	v_fmac_f32_e32 v8, v73, v7
	v_fmac_f32_e32 v24, v74, v7
	;; [unrolled: 1-line block ×4, first 2 shown]
	v_cvt_f32_i32_e32 v7, v33
	v_fmac_f32_e32 v8, v76, v11
	v_fmac_f32_e32 v24, v77, v11
	;; [unrolled: 1-line block ×4, first 2 shown]
	s_delay_alu instid0(VALU_DEP_4) | instskip(NEXT) | instid1(VALU_DEP_4)
	v_fmac_f32_e32 v8, v79, v7
	v_fmac_f32_e32 v24, v80, v7
	s_delay_alu instid0(VALU_DEP_4) | instskip(NEXT) | instid1(VALU_DEP_4)
	v_fmac_f32_e32 v23, v81, v7
	v_fmac_f32_e32 v22, v32, v7
	s_wait_alu 0xfffe
	s_and_not1_b32 exec_lo, exec_lo, s8
	s_cbranch_execnz .LBB82_33
; %bb.34:
	s_or_b32 exec_lo, exec_lo, s8
.LBB82_35:
	s_wait_alu 0xfffe
	s_or_b32 exec_lo, exec_lo, s10
.LBB82_36:
	s_wait_alu 0xfffe
	s_or_b32 exec_lo, exec_lo, s5
.LBB82_37:
	v_mbcnt_lo_u32_b32 v0, -1, 0
	s_mov_b32 s2, -1
	s_delay_alu instid0(VALU_DEP_1) | instskip(SKIP_2) | instid1(VALU_DEP_3)
	v_xor_b32_e32 v1, 8, v0
	v_xor_b32_e32 v6, 4, v0
	;; [unrolled: 1-line block ×3, first 2 shown]
	v_cmp_gt_i32_e32 vcc_lo, 32, v1
	s_wait_alu 0xfffd
	v_cndmask_b32_e32 v1, v0, v1, vcc_lo
	v_cmp_gt_i32_e32 vcc_lo, 32, v6
	s_wait_alu 0xfffd
	v_cndmask_b32_e32 v6, v0, v6, vcc_lo
	v_cmp_gt_i32_e32 vcc_lo, 32, v10
	s_delay_alu instid0(VALU_DEP_2)
	v_lshlrev_b32_e32 v6, 2, v6
	s_wait_alu 0xfffd
	v_dual_cndmask_b32 v10, v0, v10 :: v_dual_lshlrev_b32 v1, 2, v1
	ds_bpermute_b32 v2, v1, v8
	v_lshlrev_b32_e32 v10, 2, v10
	s_wait_dscnt 0x0
	v_add_f32_e32 v2, v8, v2
	ds_bpermute_b32 v3, v1, v24
	ds_bpermute_b32 v5, v1, v23
	;; [unrolled: 1-line block ×4, first 2 shown]
	s_wait_dscnt 0x3
	v_add_f32_e32 v3, v24, v3
	s_wait_dscnt 0x2
	v_add_f32_e32 v5, v23, v5
	;; [unrolled: 2-line block ×3, first 2 shown]
	ds_bpermute_b32 v8, v6, v3
	ds_bpermute_b32 v9, v6, v5
	;; [unrolled: 1-line block ×3, first 2 shown]
	s_wait_dscnt 0x2
	v_dual_add_f32 v2, v2, v7 :: v_dual_add_f32 v3, v3, v8
	s_wait_dscnt 0x1
	v_add_f32_e32 v5, v5, v9
	ds_bpermute_b32 v7, v10, v3
	s_wait_dscnt 0x1
	v_add_f32_e32 v6, v1, v6
	ds_bpermute_b32 v1, v10, v2
	ds_bpermute_b32 v8, v10, v5
	;; [unrolled: 1-line block ×3, first 2 shown]
	v_xor_b32_e32 v10, 1, v0
	s_delay_alu instid0(VALU_DEP_1) | instskip(SKIP_3) | instid1(VALU_DEP_2)
	v_cmp_gt_i32_e32 vcc_lo, 32, v10
	s_wait_alu 0xfffd
	v_cndmask_b32_e32 v0, v0, v10, vcc_lo
	v_cmp_eq_u32_e32 vcc_lo, 15, v21
	v_lshlrev_b32_e32 v10, 2, v0
	s_wait_dscnt 0x2
	v_dual_add_f32 v0, v2, v1 :: v_dual_add_f32 v1, v3, v7
	s_wait_dscnt 0x0
	v_dual_add_f32 v2, v5, v8 :: v_dual_add_f32 v3, v6, v9
	ds_bpermute_b32 v5, v10, v0
	ds_bpermute_b32 v6, v10, v1
	;; [unrolled: 1-line block ×4, first 2 shown]
	s_and_b32 exec_lo, exec_lo, vcc_lo
	s_cbranch_execz .LBB82_10
; %bb.38:
	s_load_b64 s[0:1], s[0:1], 0x50
	s_wait_dscnt 0x2
	v_dual_add_f32 v0, v0, v5 :: v_dual_add_f32 v1, v1, v6
	s_wait_dscnt 0x0
	v_dual_add_f32 v2, v2, v7 :: v_dual_add_f32 v3, v3, v8
	v_lshlrev_b32_e32 v4, 2, v4
	s_delay_alu instid0(VALU_DEP_3) | instskip(NEXT) | instid1(VALU_DEP_3)
	v_dual_mul_f32 v0, s14, v0 :: v_dual_mul_f32 v1, s14, v1
	v_dual_mul_f32 v2, s14, v2 :: v_dual_mul_f32 v3, s14, v3
	s_cmp_eq_f32 s12, 0
	s_cbranch_scc0 .LBB82_40
; %bb.39:
	v_ashrrev_i32_e32 v5, 31, v4
	s_mov_b32 s2, 0
	s_delay_alu instid0(VALU_DEP_1) | instskip(SKIP_1) | instid1(VALU_DEP_1)
	v_lshlrev_b64_e32 v[5:6], 2, v[4:5]
	s_wait_kmcnt 0x0
	v_add_co_u32 v5, vcc_lo, s0, v5
	s_wait_alu 0xfffd
	s_delay_alu instid0(VALU_DEP_2)
	v_add_co_ci_u32_e64 v6, null, s1, v6, vcc_lo
	global_store_b128 v[5:6], v[0:3], off
.LBB82_40:
	s_wait_alu 0xfffe
	s_and_not1_b32 vcc_lo, exec_lo, s2
	s_wait_alu 0xfffe
	s_cbranch_vccnz .LBB82_10
; %bb.41:
	v_ashrrev_i32_e32 v5, 31, v4
	s_delay_alu instid0(VALU_DEP_1) | instskip(SKIP_1) | instid1(VALU_DEP_1)
	v_lshlrev_b64_e32 v[4:5], 2, v[4:5]
	s_wait_kmcnt 0x0
	v_add_co_u32 v8, vcc_lo, s0, v4
	s_wait_alu 0xfffd
	s_delay_alu instid0(VALU_DEP_2)
	v_add_co_ci_u32_e64 v9, null, s1, v5, vcc_lo
	global_load_b128 v[4:7], v[8:9], off
	s_wait_loadcnt 0x0
	v_dual_fmac_f32 v0, s12, v4 :: v_dual_fmac_f32 v1, s12, v5
	v_dual_fmac_f32 v2, s12, v6 :: v_dual_fmac_f32 v3, s12, v7
	global_store_b128 v[8:9], v[0:3], off
	s_nop 0
	s_sendmsg sendmsg(MSG_DEALLOC_VGPRS)
	s_endpgm
	.section	.rodata,"a",@progbits
	.p2align	6, 0x0
	.amdhsa_kernel _ZN9rocsparseL18bsrxmvn_4x4_kernelILj128ELj16EfliaafEEvT3_20rocsparse_direction_NS_24const_host_device_scalarIT1_EES1_PKS1_PKT2_SA_S7_PKT4_PKT5_S5_PT6_21rocsparse_index_base_b
		.amdhsa_group_segment_fixed_size 0
		.amdhsa_private_segment_fixed_size 0
		.amdhsa_kernarg_size 96
		.amdhsa_user_sgpr_count 2
		.amdhsa_user_sgpr_dispatch_ptr 0
		.amdhsa_user_sgpr_queue_ptr 0
		.amdhsa_user_sgpr_kernarg_segment_ptr 1
		.amdhsa_user_sgpr_dispatch_id 0
		.amdhsa_user_sgpr_private_segment_size 0
		.amdhsa_wavefront_size32 1
		.amdhsa_uses_dynamic_stack 0
		.amdhsa_enable_private_segment 0
		.amdhsa_system_sgpr_workgroup_id_x 1
		.amdhsa_system_sgpr_workgroup_id_y 0
		.amdhsa_system_sgpr_workgroup_id_z 0
		.amdhsa_system_sgpr_workgroup_info 0
		.amdhsa_system_vgpr_workitem_id 0
		.amdhsa_next_free_vgpr 99
		.amdhsa_next_free_sgpr 18
		.amdhsa_reserve_vcc 1
		.amdhsa_float_round_mode_32 0
		.amdhsa_float_round_mode_16_64 0
		.amdhsa_float_denorm_mode_32 3
		.amdhsa_float_denorm_mode_16_64 3
		.amdhsa_fp16_overflow 0
		.amdhsa_workgroup_processor_mode 1
		.amdhsa_memory_ordered 1
		.amdhsa_forward_progress 1
		.amdhsa_inst_pref_size 48
		.amdhsa_round_robin_scheduling 0
		.amdhsa_exception_fp_ieee_invalid_op 0
		.amdhsa_exception_fp_denorm_src 0
		.amdhsa_exception_fp_ieee_div_zero 0
		.amdhsa_exception_fp_ieee_overflow 0
		.amdhsa_exception_fp_ieee_underflow 0
		.amdhsa_exception_fp_ieee_inexact 0
		.amdhsa_exception_int_div_zero 0
	.end_amdhsa_kernel
	.section	.text._ZN9rocsparseL18bsrxmvn_4x4_kernelILj128ELj16EfliaafEEvT3_20rocsparse_direction_NS_24const_host_device_scalarIT1_EES1_PKS1_PKT2_SA_S7_PKT4_PKT5_S5_PT6_21rocsparse_index_base_b,"axG",@progbits,_ZN9rocsparseL18bsrxmvn_4x4_kernelILj128ELj16EfliaafEEvT3_20rocsparse_direction_NS_24const_host_device_scalarIT1_EES1_PKS1_PKT2_SA_S7_PKT4_PKT5_S5_PT6_21rocsparse_index_base_b,comdat
.Lfunc_end82:
	.size	_ZN9rocsparseL18bsrxmvn_4x4_kernelILj128ELj16EfliaafEEvT3_20rocsparse_direction_NS_24const_host_device_scalarIT1_EES1_PKS1_PKT2_SA_S7_PKT4_PKT5_S5_PT6_21rocsparse_index_base_b, .Lfunc_end82-_ZN9rocsparseL18bsrxmvn_4x4_kernelILj128ELj16EfliaafEEvT3_20rocsparse_direction_NS_24const_host_device_scalarIT1_EES1_PKS1_PKT2_SA_S7_PKT4_PKT5_S5_PT6_21rocsparse_index_base_b
                                        ; -- End function
	.set _ZN9rocsparseL18bsrxmvn_4x4_kernelILj128ELj16EfliaafEEvT3_20rocsparse_direction_NS_24const_host_device_scalarIT1_EES1_PKS1_PKT2_SA_S7_PKT4_PKT5_S5_PT6_21rocsparse_index_base_b.num_vgpr, 99
	.set _ZN9rocsparseL18bsrxmvn_4x4_kernelILj128ELj16EfliaafEEvT3_20rocsparse_direction_NS_24const_host_device_scalarIT1_EES1_PKS1_PKT2_SA_S7_PKT4_PKT5_S5_PT6_21rocsparse_index_base_b.num_agpr, 0
	.set _ZN9rocsparseL18bsrxmvn_4x4_kernelILj128ELj16EfliaafEEvT3_20rocsparse_direction_NS_24const_host_device_scalarIT1_EES1_PKS1_PKT2_SA_S7_PKT4_PKT5_S5_PT6_21rocsparse_index_base_b.numbered_sgpr, 18
	.set _ZN9rocsparseL18bsrxmvn_4x4_kernelILj128ELj16EfliaafEEvT3_20rocsparse_direction_NS_24const_host_device_scalarIT1_EES1_PKS1_PKT2_SA_S7_PKT4_PKT5_S5_PT6_21rocsparse_index_base_b.num_named_barrier, 0
	.set _ZN9rocsparseL18bsrxmvn_4x4_kernelILj128ELj16EfliaafEEvT3_20rocsparse_direction_NS_24const_host_device_scalarIT1_EES1_PKS1_PKT2_SA_S7_PKT4_PKT5_S5_PT6_21rocsparse_index_base_b.private_seg_size, 0
	.set _ZN9rocsparseL18bsrxmvn_4x4_kernelILj128ELj16EfliaafEEvT3_20rocsparse_direction_NS_24const_host_device_scalarIT1_EES1_PKS1_PKT2_SA_S7_PKT4_PKT5_S5_PT6_21rocsparse_index_base_b.uses_vcc, 1
	.set _ZN9rocsparseL18bsrxmvn_4x4_kernelILj128ELj16EfliaafEEvT3_20rocsparse_direction_NS_24const_host_device_scalarIT1_EES1_PKS1_PKT2_SA_S7_PKT4_PKT5_S5_PT6_21rocsparse_index_base_b.uses_flat_scratch, 0
	.set _ZN9rocsparseL18bsrxmvn_4x4_kernelILj128ELj16EfliaafEEvT3_20rocsparse_direction_NS_24const_host_device_scalarIT1_EES1_PKS1_PKT2_SA_S7_PKT4_PKT5_S5_PT6_21rocsparse_index_base_b.has_dyn_sized_stack, 0
	.set _ZN9rocsparseL18bsrxmvn_4x4_kernelILj128ELj16EfliaafEEvT3_20rocsparse_direction_NS_24const_host_device_scalarIT1_EES1_PKS1_PKT2_SA_S7_PKT4_PKT5_S5_PT6_21rocsparse_index_base_b.has_recursion, 0
	.set _ZN9rocsparseL18bsrxmvn_4x4_kernelILj128ELj16EfliaafEEvT3_20rocsparse_direction_NS_24const_host_device_scalarIT1_EES1_PKS1_PKT2_SA_S7_PKT4_PKT5_S5_PT6_21rocsparse_index_base_b.has_indirect_call, 0
	.section	.AMDGPU.csdata,"",@progbits
; Kernel info:
; codeLenInByte = 6120
; TotalNumSgprs: 20
; NumVgprs: 99
; ScratchSize: 0
; MemoryBound: 0
; FloatMode: 240
; IeeeMode: 1
; LDSByteSize: 0 bytes/workgroup (compile time only)
; SGPRBlocks: 0
; VGPRBlocks: 12
; NumSGPRsForWavesPerEU: 20
; NumVGPRsForWavesPerEU: 99
; Occupancy: 12
; WaveLimiterHint : 1
; COMPUTE_PGM_RSRC2:SCRATCH_EN: 0
; COMPUTE_PGM_RSRC2:USER_SGPR: 2
; COMPUTE_PGM_RSRC2:TRAP_HANDLER: 0
; COMPUTE_PGM_RSRC2:TGID_X_EN: 1
; COMPUTE_PGM_RSRC2:TGID_Y_EN: 0
; COMPUTE_PGM_RSRC2:TGID_Z_EN: 0
; COMPUTE_PGM_RSRC2:TIDIG_COMP_CNT: 0
	.section	.text._ZN9rocsparseL18bsrxmvn_4x4_kernelILj128ELj32EfliaafEEvT3_20rocsparse_direction_NS_24const_host_device_scalarIT1_EES1_PKS1_PKT2_SA_S7_PKT4_PKT5_S5_PT6_21rocsparse_index_base_b,"axG",@progbits,_ZN9rocsparseL18bsrxmvn_4x4_kernelILj128ELj32EfliaafEEvT3_20rocsparse_direction_NS_24const_host_device_scalarIT1_EES1_PKS1_PKT2_SA_S7_PKT4_PKT5_S5_PT6_21rocsparse_index_base_b,comdat
	.globl	_ZN9rocsparseL18bsrxmvn_4x4_kernelILj128ELj32EfliaafEEvT3_20rocsparse_direction_NS_24const_host_device_scalarIT1_EES1_PKS1_PKT2_SA_S7_PKT4_PKT5_S5_PT6_21rocsparse_index_base_b ; -- Begin function _ZN9rocsparseL18bsrxmvn_4x4_kernelILj128ELj32EfliaafEEvT3_20rocsparse_direction_NS_24const_host_device_scalarIT1_EES1_PKS1_PKT2_SA_S7_PKT4_PKT5_S5_PT6_21rocsparse_index_base_b
	.p2align	8
	.type	_ZN9rocsparseL18bsrxmvn_4x4_kernelILj128ELj32EfliaafEEvT3_20rocsparse_direction_NS_24const_host_device_scalarIT1_EES1_PKS1_PKT2_SA_S7_PKT4_PKT5_S5_PT6_21rocsparse_index_base_b,@function
_ZN9rocsparseL18bsrxmvn_4x4_kernelILj128ELj32EfliaafEEvT3_20rocsparse_direction_NS_24const_host_device_scalarIT1_EES1_PKS1_PKT2_SA_S7_PKT4_PKT5_S5_PT6_21rocsparse_index_base_b: ; @_ZN9rocsparseL18bsrxmvn_4x4_kernelILj128ELj32EfliaafEEvT3_20rocsparse_direction_NS_24const_host_device_scalarIT1_EES1_PKS1_PKT2_SA_S7_PKT4_PKT5_S5_PT6_21rocsparse_index_base_b
; %bb.0:
	s_clause 0x2
	s_load_b64 s[16:17], s[0:1], 0x58
	s_load_b64 s[14:15], s[0:1], 0x8
	;; [unrolled: 1-line block ×3, first 2 shown]
	s_wait_kmcnt 0x0
	s_bitcmp1_b32 s17, 0
	s_cselect_b32 s2, -1, 0
	s_delay_alu instid0(SALU_CYCLE_1)
	s_and_b32 vcc_lo, exec_lo, s2
	s_xor_b32 s2, s2, -1
	s_cbranch_vccnz .LBB83_2
; %bb.1:
	s_load_b32 s14, s[14:15], 0x0
.LBB83_2:
	s_and_not1_b32 vcc_lo, exec_lo, s2
	s_cbranch_vccnz .LBB83_4
; %bb.3:
	s_load_b32 s12, s[12:13], 0x0
.LBB83_4:
	s_wait_kmcnt 0x0
	s_cmp_neq_f32 s14, 0
	s_mov_b32 s6, 0
	s_cselect_b32 s2, -1, 0
	s_cmp_neq_f32 s12, 1.0
	s_cselect_b32 s3, -1, 0
	s_delay_alu instid0(SALU_CYCLE_1) | instskip(NEXT) | instid1(SALU_CYCLE_1)
	s_or_b32 s2, s2, s3
	s_and_not1_b32 vcc_lo, exec_lo, s2
	s_cbranch_vccnz .LBB83_10
; %bb.5:
	s_clause 0x1
	s_load_b64 s[4:5], s[0:1], 0x18
	s_load_b64 s[2:3], s[0:1], 0x0
	v_lshrrev_b32_e32 v1, 5, v0
	s_delay_alu instid0(VALU_DEP_1)
	v_lshl_or_b32 v4, ttmp9, 2, v1
	s_wait_kmcnt 0x0
	s_cmp_lg_u64 s[4:5], 0
	s_cbranch_scc0 .LBB83_11
; %bb.6:
	s_load_b32 s6, s[0:1], 0x10
	s_mov_b32 s7, 0
                                        ; implicit-def: $vgpr1
	s_wait_kmcnt 0x0
	v_cmp_gt_i32_e32 vcc_lo, s6, v4
	s_mov_b32 s6, 0
	s_and_saveexec_b32 s8, vcc_lo
	s_delay_alu instid0(SALU_CYCLE_1)
	s_xor_b32 s8, exec_lo, s8
	s_cbranch_execz .LBB83_8
; %bb.7:
	v_ashrrev_i32_e32 v5, 31, v4
	s_mov_b32 s6, exec_lo
	s_delay_alu instid0(VALU_DEP_1) | instskip(NEXT) | instid1(VALU_DEP_1)
	v_lshlrev_b64_e32 v[1:2], 2, v[4:5]
	v_add_co_u32 v1, vcc_lo, s4, v1
	s_delay_alu instid0(VALU_DEP_1)
	v_add_co_ci_u32_e64 v2, null, s5, v2, vcc_lo
	global_load_b32 v1, v[1:2], off
	s_wait_loadcnt 0x0
	v_subrev_nc_u32_e32 v1, s16, v1
.LBB83_8:
	s_or_b32 exec_lo, exec_lo, s8
	s_delay_alu instid0(SALU_CYCLE_1)
	s_and_b32 vcc_lo, exec_lo, s7
	s_wait_alu 0xfffe
	s_cbranch_vccz .LBB83_12
.LBB83_9:
	v_cmp_gt_i32_e32 vcc_lo, s2, v4
	s_and_not1_b32 s2, s6, exec_lo
	s_and_b32 s4, vcc_lo, exec_lo
	s_wait_alu 0xfffe
	s_or_b32 s6, s2, s4
	s_wait_alu 0xfffe
	s_and_saveexec_b32 s2, s6
	s_cbranch_execnz .LBB83_13
.LBB83_10:
	s_nop 0
	s_sendmsg sendmsg(MSG_DEALLOC_VGPRS)
	s_endpgm
.LBB83_11:
                                        ; implicit-def: $vgpr1
	s_cbranch_execnz .LBB83_9
.LBB83_12:
	v_mov_b32_e32 v4, v1
	s_and_saveexec_b32 s2, s6
	s_cbranch_execz .LBB83_10
.LBB83_13:
	s_load_b256 s[4:11], s[0:1], 0x20
	s_delay_alu instid0(VALU_DEP_1) | instskip(SKIP_1) | instid1(VALU_DEP_2)
	v_ashrrev_i32_e32 v5, 31, v4
	v_dual_mov_b32 v22, 0 :: v_dual_and_b32 v21, 31, v0
	v_lshlrev_b64_e32 v[1:2], 3, v[4:5]
	s_wait_kmcnt 0x0
	s_delay_alu instid0(VALU_DEP_1) | instskip(SKIP_1) | instid1(VALU_DEP_2)
	v_add_co_u32 v5, vcc_lo, s4, v1
	s_wait_alu 0xfffd
	v_add_co_ci_u32_e64 v6, null, s5, v2, vcc_lo
	v_add_co_u32 v1, vcc_lo, s6, v1
	s_wait_alu 0xfffd
	v_add_co_ci_u32_e64 v2, null, s7, v2, vcc_lo
	v_add_co_u32 v3, vcc_lo, v5, 8
	global_load_b64 v[9:10], v[5:6], off
	s_wait_alu 0xfffd
	v_add_co_ci_u32_e64 v7, null, 0, v6, vcc_lo
	s_cmp_eq_u64 s[6:7], 0
	s_load_b64 s[6:7], s[0:1], 0x40
	s_cselect_b32 vcc_lo, -1, 0
	s_cmp_eq_u32 s3, 1
	s_wait_alu 0xfffe
	v_cndmask_b32_e32 v2, v2, v7, vcc_lo
	v_cndmask_b32_e32 v1, v1, v3, vcc_lo
	global_load_b64 v[2:3], v[1:2], off
	s_wait_loadcnt 0x1
	v_sub_co_u32 v0, vcc_lo, v9, s16
	s_wait_alu 0xfffd
	v_subrev_co_ci_u32_e64 v1, null, 0, v10, vcc_lo
	s_delay_alu instid0(VALU_DEP_2) | instskip(SKIP_1) | instid1(VALU_DEP_2)
	v_add_co_u32 v0, vcc_lo, v0, v21
	s_wait_alu 0xfffd
	v_add_co_ci_u32_e64 v1, null, 0, v1, vcc_lo
	s_delay_alu instid0(VALU_DEP_1) | instskip(SKIP_4) | instid1(VALU_DEP_3)
	v_lshlrev_b64_e32 v[5:6], 4, v[0:1]
	s_wait_loadcnt 0x0
	v_sub_co_u32 v2, vcc_lo, v2, s16
	s_wait_alu 0xfffd
	v_subrev_co_ci_u32_e64 v3, null, 0, v3, vcc_lo
	v_add_co_u32 v5, vcc_lo, s10, v5
	s_delay_alu instid0(VALU_DEP_2)
	v_cmp_lt_i64_e64 s2, v[0:1], v[2:3]
	s_wait_alu 0xfffd
	v_add_co_ci_u32_e64 v6, null, s11, v6, vcc_lo
	s_cbranch_scc1 .LBB83_25
; %bb.14:
	v_dual_mov_b32 v23, 0 :: v_dual_mov_b32 v24, 0
	v_mov_b32_e32 v8, 0
	s_and_saveexec_b32 s10, s2
	s_cbranch_execz .LBB83_24
; %bb.15:
	v_or_b32_e32 v7, 32, v21
	v_not_b32_e32 v12, v9
	v_not_b32_e32 v11, v10
	s_delay_alu instid0(VALU_DEP_3) | instskip(SKIP_3) | instid1(VALU_DEP_3)
	v_sub_co_u32 v7, s3, v7, s16
	s_wait_alu 0xf1ff
	v_sub_co_ci_u32_e64 v8, null, 0, 0, s3
	v_sub_co_u32 v13, s3, s16, v21
	v_add_co_u32 v7, vcc_lo, v7, v9
	s_wait_alu 0xfffd
	s_delay_alu instid0(VALU_DEP_3)
	v_add_co_ci_u32_e64 v8, null, v8, v10, vcc_lo
	s_wait_alu 0xf1ff
	v_sub_co_ci_u32_e64 v14, null, 0, 0, s3
	s_mov_b32 s3, exec_lo
	v_cmp_gt_i64_e32 vcc_lo, v[7:8], v[2:3]
	s_wait_alu 0xfffd
	v_dual_cndmask_b32 v16, v3, v8 :: v_dual_cndmask_b32 v7, v2, v7
	v_add_co_u32 v8, vcc_lo, v13, v12
	s_wait_alu 0xfffd
	v_add_co_ci_u32_e64 v11, null, v14, v11, vcc_lo
	v_mov_b32_e32 v14, v6
	s_delay_alu instid0(VALU_DEP_3) | instskip(SKIP_4) | instid1(VALU_DEP_3)
	v_add_co_u32 v15, vcc_lo, v8, v7
	v_mov_b32_e32 v8, 0
	s_wait_alu 0xfffd
	v_add_co_ci_u32_e64 v16, null, v11, v16, vcc_lo
	v_dual_mov_b32 v12, v1 :: v_dual_mov_b32 v13, v5
	v_dual_mov_b32 v24, v8 :: v_dual_and_b32 v7, 0x60, v15
	v_dual_mov_b32 v23, v8 :: v_dual_mov_b32 v22, v8
	v_mov_b32_e32 v11, v0
	s_delay_alu instid0(VALU_DEP_3)
	v_cmpx_ne_u64_e32 0x60, v[7:8]
	s_cbranch_execz .LBB83_19
; %bb.16:
	v_lshrrev_b32_e32 v7, 5, v15
	v_mov_b32_e32 v22, 0
	v_dual_mov_b32 v14, v6 :: v_dual_mov_b32 v13, v5
	v_dual_mov_b32 v12, v1 :: v_dual_mov_b32 v11, v0
	s_delay_alu instid0(VALU_DEP_4) | instskip(SKIP_2) | instid1(VALU_DEP_3)
	v_add_nc_u32_e32 v17, 1, v7
	v_lshlrev_b64_e32 v[7:8], 2, v[0:1]
	v_dual_mov_b32 v23, 0 :: v_dual_mov_b32 v24, 0
	v_and_b32_e32 v19, 3, v17
	s_delay_alu instid0(VALU_DEP_3) | instskip(SKIP_1) | instid1(VALU_DEP_4)
	v_add_co_u32 v17, vcc_lo, s8, v7
	s_wait_alu 0xfffd
	v_add_co_ci_u32_e64 v18, null, s9, v8, vcc_lo
	v_mov_b32_e32 v8, 0
	v_sub_co_u32 v19, s4, 0, v19
	s_wait_alu 0xf1ff
	v_sub_co_ci_u32_e64 v20, null, 0, 0, s4
	s_mov_b32 s4, 0
.LBB83_17:                              ; =>This Inner Loop Header: Depth=1
	global_load_b32 v7, v[17:18], off
	s_wait_loadcnt 0x0
	v_subrev_nc_u32_e32 v7, s16, v7
	s_delay_alu instid0(VALU_DEP_1) | instskip(NEXT) | instid1(VALU_DEP_1)
	v_lshlrev_b32_e32 v7, 2, v7
	v_ashrrev_i32_e32 v25, 31, v7
	s_wait_kmcnt 0x0
	v_add_co_u32 v29, vcc_lo, s6, v7
	s_wait_alu 0xfffd
	s_delay_alu instid0(VALU_DEP_2)
	v_add_co_ci_u32_e64 v30, null, s7, v25, vcc_lo
	global_load_b128 v[25:28], v[13:14], off
	global_load_b32 v7, v[29:30], off
	v_add_co_u32 v13, vcc_lo, 0x200, v13
	s_wait_alu 0xfffd
	v_add_co_ci_u32_e64 v14, null, 0, v14, vcc_lo
	v_add_co_u32 v11, vcc_lo, v11, 32
	s_wait_alu 0xfffd
	v_add_co_ci_u32_e64 v12, null, 0, v12, vcc_lo
	;; [unrolled: 3-line block ×4, first 2 shown]
	s_delay_alu instid0(VALU_DEP_1)
	v_cmp_eq_u64_e32 vcc_lo, 0, v[19:20]
	s_wait_alu 0xfffe
	s_or_b32 s4, vcc_lo, s4
	s_wait_loadcnt 0x1
	v_bfe_i32 v29, v25, 0, 8
	v_bfe_i32 v35, v27, 0, 8
	s_wait_loadcnt 0x0
	v_bfe_i32 v41, v7, 0, 8
	v_bfe_i32 v30, v25, 8, 8
	;; [unrolled: 1-line block ×4, first 2 shown]
	v_cvt_f32_i32_e32 v29, v29
	v_cvt_f32_i32_e32 v35, v35
	v_bfe_i32 v42, v7, 8, 8
	v_cvt_f32_i32_e32 v41, v41
	v_bfe_i32 v32, v26, 0, 8
	v_bfe_i32 v37, v27, 16, 8
	;; [unrolled: 1-line block ×3, first 2 shown]
	v_cvt_f32_i32_e32 v30, v30
	v_cvt_f32_i32_e32 v36, v36
	;; [unrolled: 1-line block ×3, first 2 shown]
	v_bfe_i32 v43, v7, 16, 8
	v_cvt_f32_i32_e32 v42, v42
	v_fmac_f32_e32 v8, v29, v41
	v_fmac_f32_e32 v23, v35, v41
	v_bfe_i32 v33, v26, 8, 8
	v_ashrrev_i32_e32 v27, 24, v27
	v_cvt_f32_i32_e32 v32, v32
	v_cvt_f32_i32_e32 v37, v37
	v_cvt_f32_i32_e32 v39, v39
	v_ashrrev_i32_e32 v7, 24, v7
	v_cvt_f32_i32_e32 v29, v43
	v_fmac_f32_e32 v8, v30, v42
	v_dual_fmac_f32 v22, v38, v41 :: v_dual_fmac_f32 v23, v36, v42
	v_bfe_i32 v31, v25, 16, 8
	v_bfe_i32 v34, v26, 16, 8
	;; [unrolled: 1-line block ×3, first 2 shown]
	v_cvt_f32_i32_e32 v33, v33
	v_cvt_f32_i32_e32 v27, v27
	v_dual_fmac_f32 v22, v39, v42 :: v_dual_fmac_f32 v23, v37, v29
	v_cvt_f32_i32_e32 v7, v7
	v_fmac_f32_e32 v24, v32, v41
	v_ashrrev_i32_e32 v25, 24, v25
	v_ashrrev_i32_e32 v26, 24, v26
	;; [unrolled: 1-line block ×3, first 2 shown]
	v_cvt_f32_i32_e32 v31, v31
	v_cvt_f32_i32_e32 v34, v34
	;; [unrolled: 1-line block ×3, first 2 shown]
	v_dual_fmac_f32 v23, v27, v7 :: v_dual_fmac_f32 v24, v33, v42
	v_cvt_f32_i32_e32 v25, v25
	v_cvt_f32_i32_e32 v26, v26
	;; [unrolled: 1-line block ×3, first 2 shown]
	v_fmac_f32_e32 v8, v31, v29
	v_fmac_f32_e32 v24, v34, v29
	;; [unrolled: 1-line block ×3, first 2 shown]
	s_delay_alu instid0(VALU_DEP_3) | instskip(NEXT) | instid1(VALU_DEP_3)
	v_fmac_f32_e32 v8, v25, v7
	v_fmac_f32_e32 v24, v26, v7
	s_delay_alu instid0(VALU_DEP_3)
	v_fmac_f32_e32 v22, v28, v7
	s_wait_alu 0xfffe
	s_and_not1_b32 exec_lo, exec_lo, s4
	s_cbranch_execnz .LBB83_17
; %bb.18:
	s_or_b32 exec_lo, exec_lo, s4
.LBB83_19:
	s_wait_alu 0xfffe
	s_or_b32 exec_lo, exec_lo, s3
	s_delay_alu instid0(SALU_CYCLE_1)
	s_mov_b32 s11, exec_lo
	v_cmpx_lt_u64_e32 0x5f, v[15:16]
	s_cbranch_execz .LBB83_23
; %bb.20:
	v_lshlrev_b64_e32 v[15:16], 2, v[11:12]
	s_mov_b32 s13, 0
	s_delay_alu instid0(VALU_DEP_1) | instskip(SKIP_1) | instid1(VALU_DEP_2)
	v_add_co_u32 v7, vcc_lo, s8, v15
	s_wait_alu 0xfffd
	v_add_co_ci_u32_e64 v16, null, s9, v16, vcc_lo
	s_delay_alu instid0(VALU_DEP_2) | instskip(SKIP_1) | instid1(VALU_DEP_2)
	v_add_co_u32 v15, vcc_lo, 0x100, v7
	s_wait_alu 0xfffd
	v_add_co_ci_u32_e64 v16, null, 0, v16, vcc_lo
.LBB83_21:                              ; =>This Inner Loop Header: Depth=1
	s_clause 0x3
	global_load_b32 v7, v[15:16], off offset:-256
	global_load_b32 v37, v[15:16], off offset:-128
	global_load_b32 v38, v[15:16], off
	global_load_b32 v39, v[15:16], off offset:128
	s_clause 0x3
	global_load_b128 v[17:20], v[13:14], off
	global_load_b128 v[25:28], v[13:14], off offset:512
	global_load_b128 v[29:32], v[13:14], off offset:1024
	;; [unrolled: 1-line block ×3, first 2 shown]
	s_wait_loadcnt 0x7
	v_subrev_nc_u32_e32 v7, s16, v7
	s_wait_loadcnt 0x6
	v_subrev_nc_u32_e32 v37, s16, v37
	;; [unrolled: 2-line block ×4, first 2 shown]
	s_wait_loadcnt 0x3
	v_bfe_i32 v48, v19, 16, 8
	v_lshlrev_b32_e32 v7, 2, v7
	v_lshlrev_b32_e32 v37, 2, v37
	;; [unrolled: 1-line block ×4, first 2 shown]
	v_bfe_i32 v49, v20, 0, 8
	v_ashrrev_i32_e32 v42, 31, v7
	v_ashrrev_i32_e32 v45, 31, v37
	;; [unrolled: 1-line block ×4, first 2 shown]
	s_wait_kmcnt 0x0
	v_add_co_u32 v43, s5, s6, v7
	v_add_co_u32 v37, vcc_lo, s6, v37
	v_add_co_u32 v39, s3, s6, v38
	s_wait_alu 0xf1ff
	v_add_co_ci_u32_e64 v44, null, s7, v42, s5
	v_add_co_u32 v41, s4, s6, v40
	s_wait_alu 0xfffd
	v_add_co_ci_u32_e64 v38, null, s7, v45, vcc_lo
	v_add_co_ci_u32_e64 v40, null, s7, v46, s3
	s_wait_alu 0xf1ff
	v_add_co_ci_u32_e64 v42, null, s7, v47, s4
	s_clause 0x3
	global_load_b32 v7, v[43:44], off
	global_load_b32 v37, v[37:38], off
	;; [unrolled: 1-line block ×4, first 2 shown]
	v_bfe_i32 v46, v19, 0, 8
	v_bfe_i32 v43, v18, 0, 8
	;; [unrolled: 1-line block ×5, first 2 shown]
	v_cvt_f32_i32_e32 v46, v46
	v_cvt_f32_i32_e32 v43, v43
	;; [unrolled: 1-line block ×3, first 2 shown]
	v_ashrrev_i32_e32 v19, 24, v19
	v_bfe_i32 v50, v20, 8, 8
	v_cvt_f32_i32_e32 v40, v40
	v_cvt_f32_i32_e32 v48, v48
	;; [unrolled: 1-line block ×3, first 2 shown]
	v_bfe_i32 v44, v18, 8, 8
	v_bfe_i32 v51, v20, 16, 8
	s_wait_loadcnt 0x6
	v_bfe_i32 v58, v27, 0, 8
	v_bfe_i32 v59, v27, 8, 8
	;; [unrolled: 1-line block ×3, first 2 shown]
	v_ashrrev_i32_e32 v27, 24, v27
	v_cvt_f32_i32_e32 v41, v41
	v_cvt_f32_i32_e32 v19, v19
	;; [unrolled: 1-line block ×3, first 2 shown]
	v_bfe_i32 v42, v17, 16, 8
	v_bfe_i32 v45, v18, 16, 8
	v_cvt_f32_i32_e32 v44, v44
	v_cvt_f32_i32_e32 v51, v51
	;; [unrolled: 1-line block ×4, first 2 shown]
	v_ashrrev_i32_e32 v17, 24, v17
	v_ashrrev_i32_e32 v18, 24, v18
	;; [unrolled: 1-line block ×3, first 2 shown]
	s_wait_loadcnt 0x5
	v_bfe_i32 v70, v31, 0, 8
	v_cvt_f32_i32_e32 v42, v42
	v_cvt_f32_i32_e32 v45, v45
	;; [unrolled: 1-line block ×3, first 2 shown]
	v_bfe_i32 v52, v25, 0, 8
	v_bfe_i32 v55, v26, 0, 8
	;; [unrolled: 1-line block ×4, first 2 shown]
	s_wait_loadcnt 0x4
	v_bfe_i32 v82, v35, 0, 8
	v_bfe_i32 v84, v35, 16, 8
	v_cvt_f32_i32_e32 v17, v17
	v_cvt_f32_i32_e32 v18, v18
	;; [unrolled: 1-line block ×5, first 2 shown]
	v_bfe_i32 v53, v25, 8, 8
	v_bfe_i32 v56, v26, 8, 8
	;; [unrolled: 1-line block ×4, first 2 shown]
	v_ashrrev_i32_e32 v31, 24, v31
	v_cvt_f32_i32_e32 v52, v52
	v_cvt_f32_i32_e32 v55, v55
	;; [unrolled: 1-line block ×6, first 2 shown]
	v_bfe_i32 v54, v25, 16, 8
	v_bfe_i32 v57, v26, 16, 8
	;; [unrolled: 1-line block ×3, first 2 shown]
	v_cvt_f32_i32_e32 v53, v53
	v_cvt_f32_i32_e32 v56, v56
	;; [unrolled: 1-line block ×5, first 2 shown]
	v_ashrrev_i32_e32 v25, 24, v25
	v_ashrrev_i32_e32 v26, 24, v26
	;; [unrolled: 1-line block ×3, first 2 shown]
	v_bfe_i32 v83, v35, 8, 8
	v_ashrrev_i32_e32 v35, 24, v35
	v_cvt_f32_i32_e32 v54, v54
	v_cvt_f32_i32_e32 v57, v57
	;; [unrolled: 1-line block ×3, first 2 shown]
	v_bfe_i32 v64, v29, 0, 8
	v_bfe_i32 v67, v30, 0, 8
	;; [unrolled: 1-line block ×3, first 2 shown]
	v_cvt_f32_i32_e32 v25, v25
	v_cvt_f32_i32_e32 v26, v26
	;; [unrolled: 1-line block ×5, first 2 shown]
	v_bfe_i32 v65, v29, 8, 8
	v_bfe_i32 v68, v30, 8, 8
	;; [unrolled: 1-line block ×3, first 2 shown]
	v_cvt_f32_i32_e32 v64, v64
	v_cvt_f32_i32_e32 v67, v67
	;; [unrolled: 1-line block ×3, first 2 shown]
	v_bfe_i32 v66, v29, 16, 8
	v_bfe_i32 v69, v30, 16, 8
	;; [unrolled: 1-line block ×3, first 2 shown]
	v_cvt_f32_i32_e32 v65, v65
	v_cvt_f32_i32_e32 v68, v68
	;; [unrolled: 1-line block ×3, first 2 shown]
	v_ashrrev_i32_e32 v29, 24, v29
	v_ashrrev_i32_e32 v30, 24, v30
	;; [unrolled: 1-line block ×3, first 2 shown]
	v_cvt_f32_i32_e32 v66, v66
	v_cvt_f32_i32_e32 v69, v69
	v_cvt_f32_i32_e32 v75, v75
	v_bfe_i32 v76, v33, 0, 8
	v_bfe_i32 v79, v34, 0, 8
	v_bfe_i32 v85, v36, 0, 8
	v_cvt_f32_i32_e32 v29, v29
	v_cvt_f32_i32_e32 v30, v30
	v_cvt_f32_i32_e32 v32, v32
	v_bfe_i32 v77, v33, 8, 8
	v_bfe_i32 v80, v34, 8, 8
	v_bfe_i32 v86, v36, 8, 8
	;; [unrolled: 6-line block ×3, first 2 shown]
	v_cvt_f32_i32_e32 v77, v77
	v_cvt_f32_i32_e32 v80, v80
	;; [unrolled: 1-line block ×3, first 2 shown]
	v_add_co_u32 v13, vcc_lo, 0x800, v13
	s_wait_alu 0xfffd
	v_add_co_ci_u32_e64 v14, null, 0, v14, vcc_lo
	v_add_co_u32 v11, vcc_lo, 0x80, v11
	v_ashrrev_i32_e32 v33, 24, v33
	v_ashrrev_i32_e32 v34, 24, v34
	v_ashrrev_i32_e32 v36, 24, v36
	v_cvt_f32_i32_e32 v78, v78
	v_cvt_f32_i32_e32 v81, v81
	;; [unrolled: 1-line block ×3, first 2 shown]
	s_wait_alu 0xfffd
	v_add_co_ci_u32_e64 v12, null, 0, v12, vcc_lo
	v_add_co_u32 v15, vcc_lo, 0x200, v15
	v_cvt_f32_i32_e32 v33, v33
	v_cvt_f32_i32_e32 v34, v34
	v_cvt_f32_i32_e32 v36, v36
	s_wait_alu 0xfffd
	v_add_co_ci_u32_e64 v16, null, 0, v16, vcc_lo
	v_cmp_ge_i64_e32 vcc_lo, v[11:12], v[2:3]
	s_or_b32 s13, vcc_lo, s13
	s_wait_loadcnt 0x3
	v_bfe_i32 v88, v7, 0, 8
	v_bfe_i32 v89, v7, 8, 8
	;; [unrolled: 1-line block ×3, first 2 shown]
	v_ashrrev_i32_e32 v7, 24, v7
	s_wait_loadcnt 0x2
	v_bfe_i32 v91, v37, 0, 8
	v_cvt_f32_i32_e32 v88, v88
	v_cvt_f32_i32_e32 v89, v89
	v_bfe_i32 v92, v37, 8, 8
	v_cvt_f32_i32_e32 v7, v7
	v_bfe_i32 v93, v37, 16, 8
	v_fmac_f32_e32 v23, v46, v88
	v_fmac_f32_e32 v24, v43, v88
	v_cvt_f32_i32_e32 v43, v90
	v_fmac_f32_e32 v8, v40, v88
	v_ashrrev_i32_e32 v37, 24, v37
	v_dual_fmac_f32 v23, v47, v89 :: v_dual_fmac_f32 v22, v49, v88
	s_wait_loadcnt 0x1
	v_bfe_i32 v94, v38, 0, 8
	v_bfe_i32 v95, v38, 8, 8
	;; [unrolled: 1-line block ×3, first 2 shown]
	v_dual_fmac_f32 v23, v48, v43 :: v_dual_fmac_f32 v8, v41, v89
	v_fmac_f32_e32 v22, v50, v89
	v_cvt_f32_i32_e32 v41, v91
	v_ashrrev_i32_e32 v38, 24, v38
	s_delay_alu instid0(VALU_DEP_4)
	v_fmac_f32_e32 v23, v19, v7
	v_fmac_f32_e32 v8, v42, v43
	;; [unrolled: 1-line block ×3, first 2 shown]
	s_wait_loadcnt 0x0
	v_bfe_i32 v97, v39, 0, 8
	v_bfe_i32 v98, v39, 8, 8
	v_fmac_f32_e32 v23, v58, v41
	v_fmac_f32_e32 v24, v44, v89
	;; [unrolled: 1-line block ×4, first 2 shown]
	v_cvt_f32_i32_e32 v17, v93
	v_bfe_i32 v40, v39, 16, 8
	v_fmac_f32_e32 v24, v45, v43
	v_fmac_f32_e32 v8, v52, v41
	;; [unrolled: 1-line block ×3, first 2 shown]
	v_ashrrev_i32_e32 v39, 24, v39
	s_delay_alu instid0(VALU_DEP_4) | instskip(SKIP_1) | instid1(VALU_DEP_2)
	v_fmac_f32_e32 v24, v18, v7
	v_cvt_f32_i32_e32 v7, v92
	v_fmac_f32_e32 v24, v55, v41
	s_delay_alu instid0(VALU_DEP_2) | instskip(SKIP_2) | instid1(VALU_DEP_4)
	v_fmac_f32_e32 v8, v53, v7
	v_fmac_f32_e32 v23, v59, v7
	v_fmac_f32_e32 v22, v62, v7
	v_fmac_f32_e32 v24, v56, v7
	v_cvt_f32_i32_e32 v7, v37
	v_fmac_f32_e32 v8, v54, v17
	v_fmac_f32_e32 v23, v60, v17
	v_fmac_f32_e32 v22, v63, v17
	v_fmac_f32_e32 v24, v57, v17
	v_cvt_f32_i32_e32 v17, v94
	;; [unrolled: 5-line block ×9, first 2 shown]
	v_fmac_f32_e32 v8, v78, v17
	v_fmac_f32_e32 v23, v84, v17
	;; [unrolled: 1-line block ×4, first 2 shown]
	s_delay_alu instid0(VALU_DEP_4) | instskip(NEXT) | instid1(VALU_DEP_4)
	v_fmac_f32_e32 v8, v33, v7
	v_fmac_f32_e32 v23, v35, v7
	s_delay_alu instid0(VALU_DEP_4) | instskip(NEXT) | instid1(VALU_DEP_4)
	v_fmac_f32_e32 v22, v36, v7
	v_fmac_f32_e32 v24, v34, v7
	s_and_not1_b32 exec_lo, exec_lo, s13
	s_cbranch_execnz .LBB83_21
; %bb.22:
	s_or_b32 exec_lo, exec_lo, s13
.LBB83_23:
	s_wait_alu 0xfffe
	s_or_b32 exec_lo, exec_lo, s11
.LBB83_24:
	s_wait_alu 0xfffe
	s_or_b32 exec_lo, exec_lo, s10
	s_cbranch_execz .LBB83_26
	s_branch .LBB83_37
.LBB83_25:
                                        ; implicit-def: $vgpr22
                                        ; implicit-def: $vgpr23
                                        ; implicit-def: $vgpr24
                                        ; implicit-def: $vgpr8
.LBB83_26:
	v_dual_mov_b32 v22, 0 :: v_dual_mov_b32 v23, 0
	v_mov_b32_e32 v24, 0
	v_mov_b32_e32 v8, 0
	s_and_saveexec_b32 s5, s2
	s_cbranch_execz .LBB83_36
; %bb.27:
	v_or_b32_e32 v7, 32, v21
	s_delay_alu instid0(VALU_DEP_1) | instskip(SKIP_3) | instid1(VALU_DEP_3)
	v_sub_co_u32 v7, s2, v7, s16
	s_wait_alu 0xf1ff
	v_sub_co_ci_u32_e64 v8, null, 0, 0, s2
	v_sub_co_u32 v11, s2, s16, v21
	v_add_co_u32 v7, vcc_lo, v7, v9
	s_wait_alu 0xfffd
	s_delay_alu instid0(VALU_DEP_3)
	v_add_co_ci_u32_e64 v8, null, v8, v10, vcc_lo
	v_not_b32_e32 v9, v9
	v_not_b32_e32 v10, v10
	s_wait_alu 0xf1ff
	v_sub_co_ci_u32_e64 v12, null, 0, 0, s2
	v_cmp_gt_i64_e32 vcc_lo, v[7:8], v[2:3]
	s_mov_b32 s2, exec_lo
	s_wait_alu 0xfffd
	v_cndmask_b32_e32 v13, v3, v8, vcc_lo
	v_cndmask_b32_e32 v7, v2, v7, vcc_lo
	v_add_co_u32 v8, vcc_lo, v11, v9
	s_wait_alu 0xfffd
	v_add_co_ci_u32_e64 v10, null, v12, v10, vcc_lo
	s_delay_alu instid0(VALU_DEP_2) | instskip(SKIP_2) | instid1(VALU_DEP_3)
	v_add_co_u32 v9, vcc_lo, v8, v7
	v_mov_b32_e32 v8, 0
	s_wait_alu 0xfffd
	v_add_co_ci_u32_e64 v10, null, v10, v13, vcc_lo
	s_delay_alu instid0(VALU_DEP_2) | instskip(SKIP_1) | instid1(VALU_DEP_2)
	v_dual_mov_b32 v22, v8 :: v_dual_and_b32 v7, 0x60, v9
	v_dual_mov_b32 v24, v8 :: v_dual_mov_b32 v23, v8
	v_cmpx_ne_u64_e32 0x60, v[7:8]
	s_cbranch_execz .LBB83_31
; %bb.28:
	v_lshrrev_b32_e32 v7, 5, v9
	v_dual_mov_b32 v23, 0 :: v_dual_mov_b32 v24, 0
	s_delay_alu instid0(VALU_DEP_2) | instskip(SKIP_1) | instid1(VALU_DEP_2)
	v_dual_mov_b32 v22, 0 :: v_dual_add_nc_u32 v11, 1, v7
	v_lshlrev_b64_e32 v[7:8], 2, v[0:1]
	v_and_b32_e32 v13, 3, v11
	s_delay_alu instid0(VALU_DEP_2) | instskip(SKIP_1) | instid1(VALU_DEP_3)
	v_add_co_u32 v11, vcc_lo, s8, v7
	s_wait_alu 0xfffd
	v_add_co_ci_u32_e64 v12, null, s9, v8, vcc_lo
	v_mov_b32_e32 v8, 0
	v_sub_co_u32 v13, s3, 0, v13
	s_wait_alu 0xf1ff
	v_sub_co_ci_u32_e64 v14, null, 0, 0, s3
	s_mov_b32 s3, 0
.LBB83_29:                              ; =>This Inner Loop Header: Depth=1
	global_load_b32 v7, v[11:12], off
	s_wait_loadcnt 0x0
	v_subrev_nc_u32_e32 v7, s16, v7
	s_delay_alu instid0(VALU_DEP_1) | instskip(NEXT) | instid1(VALU_DEP_1)
	v_lshlrev_b32_e32 v7, 2, v7
	v_ashrrev_i32_e32 v15, 31, v7
	s_wait_kmcnt 0x0
	v_add_co_u32 v19, vcc_lo, s6, v7
	s_wait_alu 0xfffd
	s_delay_alu instid0(VALU_DEP_2)
	v_add_co_ci_u32_e64 v20, null, s7, v15, vcc_lo
	global_load_b128 v[15:18], v[5:6], off
	global_load_b32 v7, v[19:20], off
	v_add_co_u32 v5, vcc_lo, 0x200, v5
	s_wait_alu 0xfffd
	v_add_co_ci_u32_e64 v6, null, 0, v6, vcc_lo
	v_add_co_u32 v0, vcc_lo, v0, 32
	s_wait_alu 0xfffd
	v_add_co_ci_u32_e64 v1, null, 0, v1, vcc_lo
	;; [unrolled: 3-line block ×4, first 2 shown]
	s_delay_alu instid0(VALU_DEP_1)
	v_cmp_eq_u64_e32 vcc_lo, 0, v[13:14]
	s_wait_alu 0xfffe
	s_or_b32 s3, vcc_lo, s3
	s_wait_loadcnt 0x1
	v_bfe_i32 v20, v15, 8, 8
	s_wait_loadcnt 0x0
	v_bfe_i32 v35, v7, 0, 8
	v_bfe_i32 v19, v15, 0, 8
	;; [unrolled: 1-line block ×3, first 2 shown]
	v_ashrrev_i32_e32 v15, 24, v15
	v_bfe_i32 v27, v16, 8, 8
	v_cvt_f32_i32_e32 v20, v20
	v_bfe_i32 v36, v7, 8, 8
	v_cvt_f32_i32_e32 v35, v35
	v_bfe_i32 v26, v16, 0, 8
	v_bfe_i32 v28, v16, 16, 8
	v_ashrrev_i32_e32 v16, 24, v16
	v_cvt_f32_i32_e32 v19, v19
	v_cvt_f32_i32_e32 v25, v25
	;; [unrolled: 1-line block ×5, first 2 shown]
	v_fmac_f32_e32 v24, v20, v35
	v_bfe_i32 v29, v17, 0, 8
	v_bfe_i32 v30, v17, 8, 8
	;; [unrolled: 1-line block ×3, first 2 shown]
	v_ashrrev_i32_e32 v17, 24, v17
	v_cvt_f32_i32_e32 v26, v26
	v_cvt_f32_i32_e32 v28, v28
	;; [unrolled: 1-line block ×3, first 2 shown]
	v_bfe_i32 v37, v7, 16, 8
	v_dual_fmac_f32 v23, v25, v35 :: v_dual_fmac_f32 v24, v27, v36
	v_fmac_f32_e32 v8, v19, v35
	v_fmac_f32_e32 v22, v15, v35
	v_bfe_i32 v32, v18, 0, 8
	v_bfe_i32 v33, v18, 8, 8
	;; [unrolled: 1-line block ×3, first 2 shown]
	v_ashrrev_i32_e32 v18, 24, v18
	v_cvt_f32_i32_e32 v29, v29
	v_cvt_f32_i32_e32 v30, v30
	;; [unrolled: 1-line block ×4, first 2 shown]
	v_ashrrev_i32_e32 v7, 24, v7
	v_cvt_f32_i32_e32 v15, v37
	v_fmac_f32_e32 v23, v28, v36
	v_fmac_f32_e32 v8, v26, v36
	;; [unrolled: 1-line block ×3, first 2 shown]
	v_cvt_f32_i32_e32 v32, v32
	v_cvt_f32_i32_e32 v33, v33
	;; [unrolled: 1-line block ×5, first 2 shown]
	v_fmac_f32_e32 v8, v29, v15
	v_fmac_f32_e32 v24, v30, v15
	;; [unrolled: 1-line block ×4, first 2 shown]
	s_delay_alu instid0(VALU_DEP_4) | instskip(NEXT) | instid1(VALU_DEP_4)
	v_fmac_f32_e32 v8, v32, v7
	v_fmac_f32_e32 v24, v33, v7
	s_delay_alu instid0(VALU_DEP_4) | instskip(NEXT) | instid1(VALU_DEP_4)
	v_fmac_f32_e32 v23, v34, v7
	v_fmac_f32_e32 v22, v18, v7
	s_wait_alu 0xfffe
	s_and_not1_b32 exec_lo, exec_lo, s3
	s_cbranch_execnz .LBB83_29
; %bb.30:
	s_or_b32 exec_lo, exec_lo, s3
.LBB83_31:
	s_wait_alu 0xfffe
	s_or_b32 exec_lo, exec_lo, s2
	s_delay_alu instid0(SALU_CYCLE_1)
	s_mov_b32 s10, exec_lo
	v_cmpx_lt_u64_e32 0x5f, v[9:10]
	s_cbranch_execz .LBB83_35
; %bb.32:
	v_lshlrev_b64_e32 v[9:10], 2, v[0:1]
	s_delay_alu instid0(VALU_DEP_1) | instskip(SKIP_1) | instid1(VALU_DEP_2)
	v_add_co_u32 v7, vcc_lo, s8, v9
	s_wait_alu 0xfffd
	v_add_co_ci_u32_e64 v10, null, s9, v10, vcc_lo
	s_mov_b32 s8, 0
	v_add_co_u32 v9, vcc_lo, 0x100, v7
	s_wait_alu 0xfffd
	v_add_co_ci_u32_e64 v10, null, 0, v10, vcc_lo
.LBB83_33:                              ; =>This Inner Loop Header: Depth=1
	s_clause 0x3
	global_load_b32 v7, v[9:10], off offset:-256
	global_load_b32 v19, v[9:10], off offset:-128
	global_load_b32 v20, v[9:10], off
	global_load_b32 v33, v[9:10], off offset:128
	s_clause 0x3
	global_load_b128 v[11:14], v[5:6], off
	global_load_b128 v[15:18], v[5:6], off offset:512
	global_load_b128 v[25:28], v[5:6], off offset:1024
	;; [unrolled: 1-line block ×3, first 2 shown]
	s_wait_loadcnt 0x7
	v_subrev_nc_u32_e32 v7, s16, v7
	s_wait_loadcnt 0x6
	v_subrev_nc_u32_e32 v19, s16, v19
	;; [unrolled: 2-line block ×4, first 2 shown]
	s_wait_loadcnt 0x3
	v_bfe_i32 v42, v13, 16, 8
	v_lshlrev_b32_e32 v7, 2, v7
	v_lshlrev_b32_e32 v19, 2, v19
	;; [unrolled: 1-line block ×4, first 2 shown]
	v_cvt_f32_i32_e32 v42, v42
	v_ashrrev_i32_e32 v36, 31, v7
	v_ashrrev_i32_e32 v39, 31, v19
	;; [unrolled: 1-line block ×4, first 2 shown]
	s_wait_kmcnt 0x0
	v_add_co_u32 v37, s4, s6, v7
	v_add_co_u32 v19, vcc_lo, s6, v19
	v_add_co_u32 v33, s2, s6, v20
	s_wait_alu 0xf1ff
	v_add_co_ci_u32_e64 v38, null, s7, v36, s4
	v_add_co_u32 v35, s3, s6, v34
	s_wait_alu 0xfffd
	v_add_co_ci_u32_e64 v20, null, s7, v39, vcc_lo
	v_add_co_ci_u32_e64 v34, null, s7, v40, s2
	s_wait_alu 0xf1ff
	v_add_co_ci_u32_e64 v36, null, s7, v41, s3
	s_clause 0x3
	global_load_b32 v7, v[37:38], off
	global_load_b32 v19, v[19:20], off
	;; [unrolled: 1-line block ×4, first 2 shown]
	v_bfe_i32 v36, v11, 16, 8
	v_bfe_i32 v34, v11, 0, 8
	;; [unrolled: 1-line block ×3, first 2 shown]
	v_ashrrev_i32_e32 v11, 24, v11
	v_bfe_i32 v39, v12, 16, 8
	v_cvt_f32_i32_e32 v36, v36
	v_bfe_i32 v37, v12, 0, 8
	v_bfe_i32 v38, v12, 8, 8
	v_ashrrev_i32_e32 v12, 24, v12
	v_cvt_f32_i32_e32 v34, v34
	v_cvt_f32_i32_e32 v35, v35
	;; [unrolled: 1-line block ×4, first 2 shown]
	v_bfe_i32 v40, v13, 0, 8
	v_bfe_i32 v41, v13, 8, 8
	v_ashrrev_i32_e32 v13, 24, v13
	v_cvt_f32_i32_e32 v37, v37
	v_cvt_f32_i32_e32 v38, v38
	;; [unrolled: 1-line block ×3, first 2 shown]
	v_bfe_i32 v43, v14, 0, 8
	v_bfe_i32 v44, v14, 8, 8
	;; [unrolled: 1-line block ×3, first 2 shown]
	v_ashrrev_i32_e32 v14, 24, v14
	v_cvt_f32_i32_e32 v40, v40
	v_cvt_f32_i32_e32 v41, v41
	;; [unrolled: 1-line block ×3, first 2 shown]
	s_wait_loadcnt 0x6
	v_bfe_i32 v46, v15, 0, 8
	v_bfe_i32 v47, v15, 8, 8
	v_bfe_i32 v48, v15, 16, 8
	v_ashrrev_i32_e32 v15, 24, v15
	v_cvt_f32_i32_e32 v43, v43
	v_cvt_f32_i32_e32 v44, v44
	v_cvt_f32_i32_e32 v45, v45
	v_cvt_f32_i32_e32 v14, v14
	v_bfe_i32 v49, v16, 0, 8
	v_bfe_i32 v50, v16, 8, 8
	v_bfe_i32 v51, v16, 16, 8
	v_ashrrev_i32_e32 v16, 24, v16
	v_cvt_f32_i32_e32 v46, v46
	v_cvt_f32_i32_e32 v47, v47
	v_cvt_f32_i32_e32 v48, v48
	v_cvt_f32_i32_e32 v15, v15
	;; [unrolled: 8-line block ×4, first 2 shown]
	s_wait_loadcnt 0x5
	v_bfe_i32 v58, v25, 0, 8
	v_bfe_i32 v59, v25, 8, 8
	v_bfe_i32 v60, v25, 16, 8
	v_ashrrev_i32_e32 v25, 24, v25
	v_cvt_f32_i32_e32 v55, v55
	v_cvt_f32_i32_e32 v56, v56
	v_cvt_f32_i32_e32 v57, v57
	v_cvt_f32_i32_e32 v18, v18
	v_bfe_i32 v61, v26, 0, 8
	v_bfe_i32 v62, v26, 8, 8
	v_bfe_i32 v63, v26, 16, 8
	v_ashrrev_i32_e32 v26, 24, v26
	v_cvt_f32_i32_e32 v58, v58
	v_cvt_f32_i32_e32 v59, v59
	v_cvt_f32_i32_e32 v60, v60
	v_cvt_f32_i32_e32 v25, v25
	;; [unrolled: 8-line block ×4, first 2 shown]
	s_wait_loadcnt 0x4
	v_bfe_i32 v70, v29, 0, 8
	v_bfe_i32 v71, v29, 8, 8
	v_bfe_i32 v72, v29, 16, 8
	v_ashrrev_i32_e32 v29, 24, v29
	v_cvt_f32_i32_e32 v67, v67
	v_cvt_f32_i32_e32 v68, v68
	v_cvt_f32_i32_e32 v69, v69
	v_cvt_f32_i32_e32 v28, v28
	v_bfe_i32 v73, v30, 0, 8
	v_bfe_i32 v74, v30, 8, 8
	v_bfe_i32 v75, v30, 16, 8
	v_ashrrev_i32_e32 v30, 24, v30
	v_cvt_f32_i32_e32 v70, v70
	v_cvt_f32_i32_e32 v71, v71
	v_cvt_f32_i32_e32 v72, v72
	v_cvt_f32_i32_e32 v29, v29
	v_bfe_i32 v76, v31, 0, 8
	v_bfe_i32 v77, v31, 8, 8
	v_bfe_i32 v78, v31, 16, 8
	v_ashrrev_i32_e32 v31, 24, v31
	v_cvt_f32_i32_e32 v73, v73
	v_cvt_f32_i32_e32 v74, v74
	v_cvt_f32_i32_e32 v75, v75
	v_cvt_f32_i32_e32 v30, v30
	v_add_co_u32 v5, vcc_lo, 0x800, v5
	s_wait_alu 0xfffd
	v_add_co_ci_u32_e64 v6, null, 0, v6, vcc_lo
	v_add_co_u32 v0, vcc_lo, 0x80, v0
	v_bfe_i32 v79, v32, 0, 8
	v_bfe_i32 v80, v32, 8, 8
	;; [unrolled: 1-line block ×3, first 2 shown]
	v_ashrrev_i32_e32 v32, 24, v32
	v_cvt_f32_i32_e32 v76, v76
	v_cvt_f32_i32_e32 v77, v77
	;; [unrolled: 1-line block ×4, first 2 shown]
	s_wait_alu 0xfffd
	v_add_co_ci_u32_e64 v1, null, 0, v1, vcc_lo
	v_add_co_u32 v9, vcc_lo, 0x200, v9
	v_cvt_f32_i32_e32 v79, v79
	v_cvt_f32_i32_e32 v80, v80
	v_cvt_f32_i32_e32 v81, v81
	v_cvt_f32_i32_e32 v32, v32
	s_wait_alu 0xfffd
	v_add_co_ci_u32_e64 v10, null, 0, v10, vcc_lo
	v_cmp_ge_i64_e32 vcc_lo, v[0:1], v[2:3]
	s_wait_alu 0xfffe
	s_or_b32 s8, vcc_lo, s8
	s_wait_loadcnt 0x3
	v_bfe_i32 v82, v7, 0, 8
	v_bfe_i32 v83, v7, 8, 8
	;; [unrolled: 1-line block ×3, first 2 shown]
	v_ashrrev_i32_e32 v7, 24, v7
	s_wait_loadcnt 0x2
	v_bfe_i32 v85, v19, 0, 8
	v_cvt_f32_i32_e32 v82, v82
	v_cvt_f32_i32_e32 v83, v83
	v_bfe_i32 v86, v19, 8, 8
	v_cvt_f32_i32_e32 v7, v7
	v_bfe_i32 v87, v19, 16, 8
	v_fmac_f32_e32 v23, v36, v82
	v_fmac_f32_e32 v8, v34, v82
	;; [unrolled: 1-line block ×3, first 2 shown]
	v_ashrrev_i32_e32 v19, 24, v19
	s_wait_loadcnt 0x1
	v_bfe_i32 v88, v20, 0, 8
	v_fmac_f32_e32 v23, v39, v83
	v_fmac_f32_e32 v22, v11, v82
	v_cvt_f32_i32_e32 v11, v84
	v_fmac_f32_e32 v8, v37, v83
	v_fmac_f32_e32 v24, v38, v83
	v_bfe_i32 v89, v20, 8, 8
	v_bfe_i32 v90, v20, 16, 8
	v_fmac_f32_e32 v23, v42, v11
	v_fmac_f32_e32 v22, v12, v83
	;; [unrolled: 1-line block ×4, first 2 shown]
	v_ashrrev_i32_e32 v20, 24, v20
	v_fmac_f32_e32 v23, v45, v7
	v_fmac_f32_e32 v22, v13, v11
	v_cvt_f32_i32_e32 v11, v85
	v_fmac_f32_e32 v8, v43, v7
	v_fmac_f32_e32 v24, v44, v7
	s_wait_loadcnt 0x0
	v_bfe_i32 v91, v33, 0, 8
	v_fmac_f32_e32 v22, v14, v7
	v_cvt_f32_i32_e32 v7, v86
	v_fmac_f32_e32 v8, v46, v11
	v_fmac_f32_e32 v24, v47, v11
	v_fmac_f32_e32 v23, v48, v11
	v_fmac_f32_e32 v22, v15, v11
	v_cvt_f32_i32_e32 v11, v87
	v_fmac_f32_e32 v8, v49, v7
	v_fmac_f32_e32 v24, v50, v7
	v_fmac_f32_e32 v23, v51, v7
	v_fmac_f32_e32 v22, v16, v7
	v_cvt_f32_i32_e32 v7, v19
	v_fmac_f32_e32 v8, v52, v11
	v_fmac_f32_e32 v24, v53, v11
	v_fmac_f32_e32 v23, v54, v11
	v_fmac_f32_e32 v22, v17, v11
	v_cvt_f32_i32_e32 v11, v88
	v_fmac_f32_e32 v8, v55, v7
	v_fmac_f32_e32 v24, v56, v7
	v_fmac_f32_e32 v23, v57, v7
	v_fmac_f32_e32 v22, v18, v7
	v_cvt_f32_i32_e32 v7, v89
	v_fmac_f32_e32 v8, v58, v11
	v_fmac_f32_e32 v24, v59, v11
	v_fmac_f32_e32 v23, v60, v11
	v_fmac_f32_e32 v22, v25, v11
	v_cvt_f32_i32_e32 v11, v90
	v_fmac_f32_e32 v8, v61, v7
	v_fmac_f32_e32 v24, v62, v7
	v_fmac_f32_e32 v23, v63, v7
	v_fmac_f32_e32 v22, v26, v7
	v_cvt_f32_i32_e32 v7, v20
	v_fmac_f32_e32 v8, v64, v11
	v_fmac_f32_e32 v24, v65, v11
	v_fmac_f32_e32 v23, v66, v11
	v_fmac_f32_e32 v22, v27, v11
	v_bfe_i32 v92, v33, 8, 8
	v_cvt_f32_i32_e32 v11, v91
	v_fmac_f32_e32 v8, v67, v7
	v_fmac_f32_e32 v24, v68, v7
	;; [unrolled: 1-line block ×4, first 2 shown]
	v_bfe_i32 v34, v33, 16, 8
	v_cvt_f32_i32_e32 v7, v92
	v_fmac_f32_e32 v8, v70, v11
	v_fmac_f32_e32 v24, v71, v11
	;; [unrolled: 1-line block ×4, first 2 shown]
	v_ashrrev_i32_e32 v33, 24, v33
	v_cvt_f32_i32_e32 v11, v34
	v_fmac_f32_e32 v8, v73, v7
	v_fmac_f32_e32 v24, v74, v7
	;; [unrolled: 1-line block ×4, first 2 shown]
	v_cvt_f32_i32_e32 v7, v33
	v_fmac_f32_e32 v8, v76, v11
	v_fmac_f32_e32 v24, v77, v11
	;; [unrolled: 1-line block ×4, first 2 shown]
	s_delay_alu instid0(VALU_DEP_4) | instskip(NEXT) | instid1(VALU_DEP_4)
	v_fmac_f32_e32 v8, v79, v7
	v_fmac_f32_e32 v24, v80, v7
	s_delay_alu instid0(VALU_DEP_4) | instskip(NEXT) | instid1(VALU_DEP_4)
	v_fmac_f32_e32 v23, v81, v7
	v_fmac_f32_e32 v22, v32, v7
	s_wait_alu 0xfffe
	s_and_not1_b32 exec_lo, exec_lo, s8
	s_cbranch_execnz .LBB83_33
; %bb.34:
	s_or_b32 exec_lo, exec_lo, s8
.LBB83_35:
	s_wait_alu 0xfffe
	s_or_b32 exec_lo, exec_lo, s10
.LBB83_36:
	s_wait_alu 0xfffe
	s_or_b32 exec_lo, exec_lo, s5
.LBB83_37:
	v_mbcnt_lo_u32_b32 v0, -1, 0
	s_mov_b32 s2, -1
	s_delay_alu instid0(VALU_DEP_1) | instskip(SKIP_2) | instid1(VALU_DEP_3)
	v_xor_b32_e32 v1, 16, v0
	v_xor_b32_e32 v6, 8, v0
	;; [unrolled: 1-line block ×3, first 2 shown]
	v_cmp_gt_i32_e32 vcc_lo, 32, v1
	s_wait_alu 0xfffd
	v_cndmask_b32_e32 v1, v0, v1, vcc_lo
	v_cmp_gt_i32_e32 vcc_lo, 32, v6
	s_wait_alu 0xfffd
	v_cndmask_b32_e32 v6, v0, v6, vcc_lo
	v_cmp_gt_i32_e32 vcc_lo, 32, v10
	s_delay_alu instid0(VALU_DEP_2)
	v_lshlrev_b32_e32 v6, 2, v6
	s_wait_alu 0xfffd
	v_dual_cndmask_b32 v10, v0, v10 :: v_dual_lshlrev_b32 v1, 2, v1
	ds_bpermute_b32 v2, v1, v8
	v_lshlrev_b32_e32 v10, 2, v10
	s_wait_dscnt 0x0
	v_add_f32_e32 v2, v8, v2
	ds_bpermute_b32 v3, v1, v24
	ds_bpermute_b32 v5, v1, v23
	;; [unrolled: 1-line block ×4, first 2 shown]
	s_wait_dscnt 0x3
	v_add_f32_e32 v3, v24, v3
	s_wait_dscnt 0x2
	v_add_f32_e32 v5, v23, v5
	;; [unrolled: 2-line block ×3, first 2 shown]
	ds_bpermute_b32 v8, v6, v3
	ds_bpermute_b32 v9, v6, v5
	;; [unrolled: 1-line block ×3, first 2 shown]
	s_wait_dscnt 0x2
	v_dual_add_f32 v2, v2, v7 :: v_dual_add_f32 v3, v3, v8
	s_wait_dscnt 0x1
	v_add_f32_e32 v5, v5, v9
	s_wait_dscnt 0x0
	v_add_f32_e32 v1, v1, v6
	ds_bpermute_b32 v6, v10, v2
	ds_bpermute_b32 v7, v10, v3
	;; [unrolled: 1-line block ×4, first 2 shown]
	v_xor_b32_e32 v10, 2, v0
	s_delay_alu instid0(VALU_DEP_1) | instskip(SKIP_2) | instid1(VALU_DEP_1)
	v_cmp_gt_i32_e32 vcc_lo, 32, v10
	s_wait_alu 0xfffd
	v_cndmask_b32_e32 v10, v0, v10, vcc_lo
	v_lshlrev_b32_e32 v10, 2, v10
	s_wait_dscnt 0x2
	v_dual_add_f32 v2, v2, v6 :: v_dual_add_f32 v3, v3, v7
	s_wait_dscnt 0x1
	v_add_f32_e32 v5, v5, v8
	ds_bpermute_b32 v7, v10, v3
	s_wait_dscnt 0x1
	v_add_f32_e32 v6, v1, v9
	ds_bpermute_b32 v1, v10, v2
	ds_bpermute_b32 v8, v10, v5
	;; [unrolled: 1-line block ×3, first 2 shown]
	v_xor_b32_e32 v10, 1, v0
	s_delay_alu instid0(VALU_DEP_1) | instskip(SKIP_3) | instid1(VALU_DEP_2)
	v_cmp_gt_i32_e32 vcc_lo, 32, v10
	s_wait_alu 0xfffd
	v_cndmask_b32_e32 v0, v0, v10, vcc_lo
	v_cmp_eq_u32_e32 vcc_lo, 31, v21
	v_lshlrev_b32_e32 v10, 2, v0
	s_wait_dscnt 0x2
	v_dual_add_f32 v0, v2, v1 :: v_dual_add_f32 v1, v3, v7
	s_wait_dscnt 0x0
	v_dual_add_f32 v2, v5, v8 :: v_dual_add_f32 v3, v6, v9
	ds_bpermute_b32 v5, v10, v0
	ds_bpermute_b32 v6, v10, v1
	;; [unrolled: 1-line block ×4, first 2 shown]
	s_and_b32 exec_lo, exec_lo, vcc_lo
	s_cbranch_execz .LBB83_10
; %bb.38:
	s_load_b64 s[0:1], s[0:1], 0x50
	s_wait_dscnt 0x2
	v_dual_add_f32 v0, v0, v5 :: v_dual_add_f32 v1, v1, v6
	s_wait_dscnt 0x0
	v_dual_add_f32 v2, v2, v7 :: v_dual_add_f32 v3, v3, v8
	v_lshlrev_b32_e32 v4, 2, v4
	s_delay_alu instid0(VALU_DEP_3) | instskip(NEXT) | instid1(VALU_DEP_3)
	v_dual_mul_f32 v0, s14, v0 :: v_dual_mul_f32 v1, s14, v1
	v_dual_mul_f32 v2, s14, v2 :: v_dual_mul_f32 v3, s14, v3
	s_cmp_eq_f32 s12, 0
	s_cbranch_scc0 .LBB83_40
; %bb.39:
	v_ashrrev_i32_e32 v5, 31, v4
	s_mov_b32 s2, 0
	s_delay_alu instid0(VALU_DEP_1) | instskip(SKIP_1) | instid1(VALU_DEP_1)
	v_lshlrev_b64_e32 v[5:6], 2, v[4:5]
	s_wait_kmcnt 0x0
	v_add_co_u32 v5, vcc_lo, s0, v5
	s_wait_alu 0xfffd
	s_delay_alu instid0(VALU_DEP_2)
	v_add_co_ci_u32_e64 v6, null, s1, v6, vcc_lo
	global_store_b128 v[5:6], v[0:3], off
.LBB83_40:
	s_wait_alu 0xfffe
	s_and_not1_b32 vcc_lo, exec_lo, s2
	s_wait_alu 0xfffe
	s_cbranch_vccnz .LBB83_10
; %bb.41:
	v_ashrrev_i32_e32 v5, 31, v4
	s_delay_alu instid0(VALU_DEP_1) | instskip(SKIP_1) | instid1(VALU_DEP_1)
	v_lshlrev_b64_e32 v[4:5], 2, v[4:5]
	s_wait_kmcnt 0x0
	v_add_co_u32 v8, vcc_lo, s0, v4
	s_wait_alu 0xfffd
	s_delay_alu instid0(VALU_DEP_2)
	v_add_co_ci_u32_e64 v9, null, s1, v5, vcc_lo
	global_load_b128 v[4:7], v[8:9], off
	s_wait_loadcnt 0x0
	v_dual_fmac_f32 v0, s12, v4 :: v_dual_fmac_f32 v1, s12, v5
	v_dual_fmac_f32 v2, s12, v6 :: v_dual_fmac_f32 v3, s12, v7
	global_store_b128 v[8:9], v[0:3], off
	s_nop 0
	s_sendmsg sendmsg(MSG_DEALLOC_VGPRS)
	s_endpgm
	.section	.rodata,"a",@progbits
	.p2align	6, 0x0
	.amdhsa_kernel _ZN9rocsparseL18bsrxmvn_4x4_kernelILj128ELj32EfliaafEEvT3_20rocsparse_direction_NS_24const_host_device_scalarIT1_EES1_PKS1_PKT2_SA_S7_PKT4_PKT5_S5_PT6_21rocsparse_index_base_b
		.amdhsa_group_segment_fixed_size 0
		.amdhsa_private_segment_fixed_size 0
		.amdhsa_kernarg_size 96
		.amdhsa_user_sgpr_count 2
		.amdhsa_user_sgpr_dispatch_ptr 0
		.amdhsa_user_sgpr_queue_ptr 0
		.amdhsa_user_sgpr_kernarg_segment_ptr 1
		.amdhsa_user_sgpr_dispatch_id 0
		.amdhsa_user_sgpr_private_segment_size 0
		.amdhsa_wavefront_size32 1
		.amdhsa_uses_dynamic_stack 0
		.amdhsa_enable_private_segment 0
		.amdhsa_system_sgpr_workgroup_id_x 1
		.amdhsa_system_sgpr_workgroup_id_y 0
		.amdhsa_system_sgpr_workgroup_id_z 0
		.amdhsa_system_sgpr_workgroup_info 0
		.amdhsa_system_vgpr_workitem_id 0
		.amdhsa_next_free_vgpr 99
		.amdhsa_next_free_sgpr 18
		.amdhsa_reserve_vcc 1
		.amdhsa_float_round_mode_32 0
		.amdhsa_float_round_mode_16_64 0
		.amdhsa_float_denorm_mode_32 3
		.amdhsa_float_denorm_mode_16_64 3
		.amdhsa_fp16_overflow 0
		.amdhsa_workgroup_processor_mode 1
		.amdhsa_memory_ordered 1
		.amdhsa_forward_progress 1
		.amdhsa_inst_pref_size 49
		.amdhsa_round_robin_scheduling 0
		.amdhsa_exception_fp_ieee_invalid_op 0
		.amdhsa_exception_fp_denorm_src 0
		.amdhsa_exception_fp_ieee_div_zero 0
		.amdhsa_exception_fp_ieee_overflow 0
		.amdhsa_exception_fp_ieee_underflow 0
		.amdhsa_exception_fp_ieee_inexact 0
		.amdhsa_exception_int_div_zero 0
	.end_amdhsa_kernel
	.section	.text._ZN9rocsparseL18bsrxmvn_4x4_kernelILj128ELj32EfliaafEEvT3_20rocsparse_direction_NS_24const_host_device_scalarIT1_EES1_PKS1_PKT2_SA_S7_PKT4_PKT5_S5_PT6_21rocsparse_index_base_b,"axG",@progbits,_ZN9rocsparseL18bsrxmvn_4x4_kernelILj128ELj32EfliaafEEvT3_20rocsparse_direction_NS_24const_host_device_scalarIT1_EES1_PKS1_PKT2_SA_S7_PKT4_PKT5_S5_PT6_21rocsparse_index_base_b,comdat
.Lfunc_end83:
	.size	_ZN9rocsparseL18bsrxmvn_4x4_kernelILj128ELj32EfliaafEEvT3_20rocsparse_direction_NS_24const_host_device_scalarIT1_EES1_PKS1_PKT2_SA_S7_PKT4_PKT5_S5_PT6_21rocsparse_index_base_b, .Lfunc_end83-_ZN9rocsparseL18bsrxmvn_4x4_kernelILj128ELj32EfliaafEEvT3_20rocsparse_direction_NS_24const_host_device_scalarIT1_EES1_PKS1_PKT2_SA_S7_PKT4_PKT5_S5_PT6_21rocsparse_index_base_b
                                        ; -- End function
	.set _ZN9rocsparseL18bsrxmvn_4x4_kernelILj128ELj32EfliaafEEvT3_20rocsparse_direction_NS_24const_host_device_scalarIT1_EES1_PKS1_PKT2_SA_S7_PKT4_PKT5_S5_PT6_21rocsparse_index_base_b.num_vgpr, 99
	.set _ZN9rocsparseL18bsrxmvn_4x4_kernelILj128ELj32EfliaafEEvT3_20rocsparse_direction_NS_24const_host_device_scalarIT1_EES1_PKS1_PKT2_SA_S7_PKT4_PKT5_S5_PT6_21rocsparse_index_base_b.num_agpr, 0
	.set _ZN9rocsparseL18bsrxmvn_4x4_kernelILj128ELj32EfliaafEEvT3_20rocsparse_direction_NS_24const_host_device_scalarIT1_EES1_PKS1_PKT2_SA_S7_PKT4_PKT5_S5_PT6_21rocsparse_index_base_b.numbered_sgpr, 18
	.set _ZN9rocsparseL18bsrxmvn_4x4_kernelILj128ELj32EfliaafEEvT3_20rocsparse_direction_NS_24const_host_device_scalarIT1_EES1_PKS1_PKT2_SA_S7_PKT4_PKT5_S5_PT6_21rocsparse_index_base_b.num_named_barrier, 0
	.set _ZN9rocsparseL18bsrxmvn_4x4_kernelILj128ELj32EfliaafEEvT3_20rocsparse_direction_NS_24const_host_device_scalarIT1_EES1_PKS1_PKT2_SA_S7_PKT4_PKT5_S5_PT6_21rocsparse_index_base_b.private_seg_size, 0
	.set _ZN9rocsparseL18bsrxmvn_4x4_kernelILj128ELj32EfliaafEEvT3_20rocsparse_direction_NS_24const_host_device_scalarIT1_EES1_PKS1_PKT2_SA_S7_PKT4_PKT5_S5_PT6_21rocsparse_index_base_b.uses_vcc, 1
	.set _ZN9rocsparseL18bsrxmvn_4x4_kernelILj128ELj32EfliaafEEvT3_20rocsparse_direction_NS_24const_host_device_scalarIT1_EES1_PKS1_PKT2_SA_S7_PKT4_PKT5_S5_PT6_21rocsparse_index_base_b.uses_flat_scratch, 0
	.set _ZN9rocsparseL18bsrxmvn_4x4_kernelILj128ELj32EfliaafEEvT3_20rocsparse_direction_NS_24const_host_device_scalarIT1_EES1_PKS1_PKT2_SA_S7_PKT4_PKT5_S5_PT6_21rocsparse_index_base_b.has_dyn_sized_stack, 0
	.set _ZN9rocsparseL18bsrxmvn_4x4_kernelILj128ELj32EfliaafEEvT3_20rocsparse_direction_NS_24const_host_device_scalarIT1_EES1_PKS1_PKT2_SA_S7_PKT4_PKT5_S5_PT6_21rocsparse_index_base_b.has_recursion, 0
	.set _ZN9rocsparseL18bsrxmvn_4x4_kernelILj128ELj32EfliaafEEvT3_20rocsparse_direction_NS_24const_host_device_scalarIT1_EES1_PKS1_PKT2_SA_S7_PKT4_PKT5_S5_PT6_21rocsparse_index_base_b.has_indirect_call, 0
	.section	.AMDGPU.csdata,"",@progbits
; Kernel info:
; codeLenInByte = 6244
; TotalNumSgprs: 20
; NumVgprs: 99
; ScratchSize: 0
; MemoryBound: 0
; FloatMode: 240
; IeeeMode: 1
; LDSByteSize: 0 bytes/workgroup (compile time only)
; SGPRBlocks: 0
; VGPRBlocks: 12
; NumSGPRsForWavesPerEU: 20
; NumVGPRsForWavesPerEU: 99
; Occupancy: 12
; WaveLimiterHint : 1
; COMPUTE_PGM_RSRC2:SCRATCH_EN: 0
; COMPUTE_PGM_RSRC2:USER_SGPR: 2
; COMPUTE_PGM_RSRC2:TRAP_HANDLER: 0
; COMPUTE_PGM_RSRC2:TGID_X_EN: 1
; COMPUTE_PGM_RSRC2:TGID_Y_EN: 0
; COMPUTE_PGM_RSRC2:TGID_Z_EN: 0
; COMPUTE_PGM_RSRC2:TIDIG_COMP_CNT: 0
	.section	.text._ZN9rocsparseL18bsrxmvn_4x4_kernelILj128ELj64EfliaafEEvT3_20rocsparse_direction_NS_24const_host_device_scalarIT1_EES1_PKS1_PKT2_SA_S7_PKT4_PKT5_S5_PT6_21rocsparse_index_base_b,"axG",@progbits,_ZN9rocsparseL18bsrxmvn_4x4_kernelILj128ELj64EfliaafEEvT3_20rocsparse_direction_NS_24const_host_device_scalarIT1_EES1_PKS1_PKT2_SA_S7_PKT4_PKT5_S5_PT6_21rocsparse_index_base_b,comdat
	.globl	_ZN9rocsparseL18bsrxmvn_4x4_kernelILj128ELj64EfliaafEEvT3_20rocsparse_direction_NS_24const_host_device_scalarIT1_EES1_PKS1_PKT2_SA_S7_PKT4_PKT5_S5_PT6_21rocsparse_index_base_b ; -- Begin function _ZN9rocsparseL18bsrxmvn_4x4_kernelILj128ELj64EfliaafEEvT3_20rocsparse_direction_NS_24const_host_device_scalarIT1_EES1_PKS1_PKT2_SA_S7_PKT4_PKT5_S5_PT6_21rocsparse_index_base_b
	.p2align	8
	.type	_ZN9rocsparseL18bsrxmvn_4x4_kernelILj128ELj64EfliaafEEvT3_20rocsparse_direction_NS_24const_host_device_scalarIT1_EES1_PKS1_PKT2_SA_S7_PKT4_PKT5_S5_PT6_21rocsparse_index_base_b,@function
_ZN9rocsparseL18bsrxmvn_4x4_kernelILj128ELj64EfliaafEEvT3_20rocsparse_direction_NS_24const_host_device_scalarIT1_EES1_PKS1_PKT2_SA_S7_PKT4_PKT5_S5_PT6_21rocsparse_index_base_b: ; @_ZN9rocsparseL18bsrxmvn_4x4_kernelILj128ELj64EfliaafEEvT3_20rocsparse_direction_NS_24const_host_device_scalarIT1_EES1_PKS1_PKT2_SA_S7_PKT4_PKT5_S5_PT6_21rocsparse_index_base_b
; %bb.0:
	s_clause 0x2
	s_load_b64 s[16:17], s[0:1], 0x58
	s_load_b64 s[14:15], s[0:1], 0x8
	s_load_b64 s[12:13], s[0:1], 0x48
	s_wait_kmcnt 0x0
	s_bitcmp1_b32 s17, 0
	s_cselect_b32 s2, -1, 0
	s_delay_alu instid0(SALU_CYCLE_1)
	s_and_b32 vcc_lo, exec_lo, s2
	s_xor_b32 s2, s2, -1
	s_cbranch_vccnz .LBB84_2
; %bb.1:
	s_load_b32 s14, s[14:15], 0x0
.LBB84_2:
	s_and_not1_b32 vcc_lo, exec_lo, s2
	s_cbranch_vccnz .LBB84_4
; %bb.3:
	s_load_b32 s12, s[12:13], 0x0
.LBB84_4:
	s_wait_kmcnt 0x0
	s_cmp_neq_f32 s14, 0
	s_mov_b32 s6, 0
	s_cselect_b32 s2, -1, 0
	s_cmp_neq_f32 s12, 1.0
	s_cselect_b32 s3, -1, 0
	s_delay_alu instid0(SALU_CYCLE_1) | instskip(NEXT) | instid1(SALU_CYCLE_1)
	s_or_b32 s2, s2, s3
	s_and_not1_b32 vcc_lo, exec_lo, s2
	s_cbranch_vccnz .LBB84_10
; %bb.5:
	s_clause 0x1
	s_load_b64 s[4:5], s[0:1], 0x18
	s_load_b64 s[2:3], s[0:1], 0x0
	v_lshrrev_b32_e32 v1, 6, v0
	s_delay_alu instid0(VALU_DEP_1)
	v_lshl_or_b32 v4, ttmp9, 1, v1
	s_wait_kmcnt 0x0
	s_cmp_lg_u64 s[4:5], 0
	s_cbranch_scc0 .LBB84_11
; %bb.6:
	s_load_b32 s6, s[0:1], 0x10
	s_mov_b32 s7, 0
                                        ; implicit-def: $vgpr1
	s_wait_kmcnt 0x0
	v_cmp_gt_i32_e32 vcc_lo, s6, v4
	s_mov_b32 s6, 0
	s_and_saveexec_b32 s8, vcc_lo
	s_delay_alu instid0(SALU_CYCLE_1)
	s_xor_b32 s8, exec_lo, s8
	s_cbranch_execz .LBB84_8
; %bb.7:
	v_ashrrev_i32_e32 v5, 31, v4
	s_mov_b32 s6, exec_lo
	s_delay_alu instid0(VALU_DEP_1) | instskip(NEXT) | instid1(VALU_DEP_1)
	v_lshlrev_b64_e32 v[1:2], 2, v[4:5]
	v_add_co_u32 v1, vcc_lo, s4, v1
	s_delay_alu instid0(VALU_DEP_1)
	v_add_co_ci_u32_e64 v2, null, s5, v2, vcc_lo
	global_load_b32 v1, v[1:2], off
	s_wait_loadcnt 0x0
	v_subrev_nc_u32_e32 v1, s16, v1
.LBB84_8:
	s_or_b32 exec_lo, exec_lo, s8
	s_delay_alu instid0(SALU_CYCLE_1)
	s_and_b32 vcc_lo, exec_lo, s7
	s_wait_alu 0xfffe
	s_cbranch_vccz .LBB84_12
.LBB84_9:
	v_cmp_gt_i32_e32 vcc_lo, s2, v4
	s_and_not1_b32 s2, s6, exec_lo
	s_and_b32 s4, vcc_lo, exec_lo
	s_wait_alu 0xfffe
	s_or_b32 s6, s2, s4
	s_wait_alu 0xfffe
	s_and_saveexec_b32 s2, s6
	s_cbranch_execnz .LBB84_13
.LBB84_10:
	s_nop 0
	s_sendmsg sendmsg(MSG_DEALLOC_VGPRS)
	s_endpgm
.LBB84_11:
                                        ; implicit-def: $vgpr1
	s_cbranch_execnz .LBB84_9
.LBB84_12:
	v_mov_b32_e32 v4, v1
	s_and_saveexec_b32 s2, s6
	s_cbranch_execz .LBB84_10
.LBB84_13:
	s_load_b256 s[4:11], s[0:1], 0x20
	s_delay_alu instid0(VALU_DEP_1) | instskip(SKIP_1) | instid1(VALU_DEP_2)
	v_ashrrev_i32_e32 v5, 31, v4
	v_dual_mov_b32 v22, 0 :: v_dual_and_b32 v21, 63, v0
	v_lshlrev_b64_e32 v[1:2], 3, v[4:5]
	s_wait_kmcnt 0x0
	s_delay_alu instid0(VALU_DEP_1) | instskip(SKIP_1) | instid1(VALU_DEP_2)
	v_add_co_u32 v5, vcc_lo, s4, v1
	s_wait_alu 0xfffd
	v_add_co_ci_u32_e64 v6, null, s5, v2, vcc_lo
	v_add_co_u32 v1, vcc_lo, s6, v1
	s_wait_alu 0xfffd
	v_add_co_ci_u32_e64 v2, null, s7, v2, vcc_lo
	v_add_co_u32 v3, vcc_lo, v5, 8
	global_load_b64 v[9:10], v[5:6], off
	s_wait_alu 0xfffd
	v_add_co_ci_u32_e64 v7, null, 0, v6, vcc_lo
	s_cmp_eq_u64 s[6:7], 0
	s_load_b64 s[6:7], s[0:1], 0x40
	s_cselect_b32 vcc_lo, -1, 0
	s_cmp_eq_u32 s3, 1
	s_wait_alu 0xfffe
	v_cndmask_b32_e32 v2, v2, v7, vcc_lo
	v_cndmask_b32_e32 v1, v1, v3, vcc_lo
	global_load_b64 v[2:3], v[1:2], off
	s_wait_loadcnt 0x1
	v_sub_co_u32 v0, vcc_lo, v9, s16
	s_wait_alu 0xfffd
	v_subrev_co_ci_u32_e64 v1, null, 0, v10, vcc_lo
	s_delay_alu instid0(VALU_DEP_2) | instskip(SKIP_1) | instid1(VALU_DEP_2)
	v_add_co_u32 v0, vcc_lo, v0, v21
	s_wait_alu 0xfffd
	v_add_co_ci_u32_e64 v1, null, 0, v1, vcc_lo
	s_delay_alu instid0(VALU_DEP_1) | instskip(SKIP_4) | instid1(VALU_DEP_3)
	v_lshlrev_b64_e32 v[5:6], 4, v[0:1]
	s_wait_loadcnt 0x0
	v_sub_co_u32 v2, vcc_lo, v2, s16
	s_wait_alu 0xfffd
	v_subrev_co_ci_u32_e64 v3, null, 0, v3, vcc_lo
	v_add_co_u32 v5, vcc_lo, s10, v5
	s_delay_alu instid0(VALU_DEP_2)
	v_cmp_lt_i64_e64 s2, v[0:1], v[2:3]
	s_wait_alu 0xfffd
	v_add_co_ci_u32_e64 v6, null, s11, v6, vcc_lo
	s_cbranch_scc1 .LBB84_25
; %bb.14:
	v_dual_mov_b32 v23, 0 :: v_dual_mov_b32 v24, 0
	v_mov_b32_e32 v8, 0
	s_and_saveexec_b32 s10, s2
	s_cbranch_execz .LBB84_24
; %bb.15:
	v_or_b32_e32 v7, 64, v21
	v_not_b32_e32 v12, v9
	v_not_b32_e32 v11, v10
	s_delay_alu instid0(VALU_DEP_3) | instskip(SKIP_3) | instid1(VALU_DEP_3)
	v_sub_co_u32 v7, s3, v7, s16
	s_wait_alu 0xf1ff
	v_sub_co_ci_u32_e64 v8, null, 0, 0, s3
	v_sub_co_u32 v13, s3, s16, v21
	v_add_co_u32 v7, vcc_lo, v7, v9
	s_wait_alu 0xfffd
	s_delay_alu instid0(VALU_DEP_3)
	v_add_co_ci_u32_e64 v8, null, v8, v10, vcc_lo
	s_wait_alu 0xf1ff
	v_sub_co_ci_u32_e64 v14, null, 0, 0, s3
	s_mov_b32 s3, exec_lo
	v_cmp_gt_i64_e32 vcc_lo, v[7:8], v[2:3]
	s_wait_alu 0xfffd
	v_dual_cndmask_b32 v16, v3, v8 :: v_dual_cndmask_b32 v7, v2, v7
	v_add_co_u32 v8, vcc_lo, v13, v12
	s_wait_alu 0xfffd
	v_add_co_ci_u32_e64 v11, null, v14, v11, vcc_lo
	v_mov_b32_e32 v14, v6
	s_delay_alu instid0(VALU_DEP_3) | instskip(SKIP_4) | instid1(VALU_DEP_3)
	v_add_co_u32 v15, vcc_lo, v8, v7
	v_mov_b32_e32 v8, 0
	s_wait_alu 0xfffd
	v_add_co_ci_u32_e64 v16, null, v11, v16, vcc_lo
	v_dual_mov_b32 v12, v1 :: v_dual_mov_b32 v13, v5
	v_dual_mov_b32 v24, v8 :: v_dual_and_b32 v7, 0xc0, v15
	v_dual_mov_b32 v23, v8 :: v_dual_mov_b32 v22, v8
	v_mov_b32_e32 v11, v0
	s_delay_alu instid0(VALU_DEP_3)
	v_cmpx_ne_u64_e32 0xc0, v[7:8]
	s_cbranch_execz .LBB84_19
; %bb.16:
	v_lshrrev_b32_e32 v7, 6, v15
	v_mov_b32_e32 v22, 0
	v_dual_mov_b32 v14, v6 :: v_dual_mov_b32 v13, v5
	v_dual_mov_b32 v12, v1 :: v_dual_mov_b32 v11, v0
	s_delay_alu instid0(VALU_DEP_4) | instskip(SKIP_2) | instid1(VALU_DEP_3)
	v_add_nc_u32_e32 v17, 1, v7
	v_lshlrev_b64_e32 v[7:8], 2, v[0:1]
	v_dual_mov_b32 v23, 0 :: v_dual_mov_b32 v24, 0
	v_and_b32_e32 v19, 3, v17
	s_delay_alu instid0(VALU_DEP_3) | instskip(SKIP_1) | instid1(VALU_DEP_4)
	v_add_co_u32 v17, vcc_lo, s8, v7
	s_wait_alu 0xfffd
	v_add_co_ci_u32_e64 v18, null, s9, v8, vcc_lo
	v_mov_b32_e32 v8, 0
	v_sub_co_u32 v19, s4, 0, v19
	s_wait_alu 0xf1ff
	v_sub_co_ci_u32_e64 v20, null, 0, 0, s4
	s_mov_b32 s4, 0
.LBB84_17:                              ; =>This Inner Loop Header: Depth=1
	global_load_b32 v7, v[17:18], off
	s_wait_loadcnt 0x0
	v_subrev_nc_u32_e32 v7, s16, v7
	s_delay_alu instid0(VALU_DEP_1) | instskip(NEXT) | instid1(VALU_DEP_1)
	v_lshlrev_b32_e32 v7, 2, v7
	v_ashrrev_i32_e32 v25, 31, v7
	s_wait_kmcnt 0x0
	v_add_co_u32 v29, vcc_lo, s6, v7
	s_wait_alu 0xfffd
	s_delay_alu instid0(VALU_DEP_2)
	v_add_co_ci_u32_e64 v30, null, s7, v25, vcc_lo
	global_load_b128 v[25:28], v[13:14], off
	global_load_b32 v7, v[29:30], off
	v_add_co_u32 v13, vcc_lo, 0x400, v13
	s_wait_alu 0xfffd
	v_add_co_ci_u32_e64 v14, null, 0, v14, vcc_lo
	v_add_co_u32 v11, vcc_lo, v11, 64
	s_wait_alu 0xfffd
	v_add_co_ci_u32_e64 v12, null, 0, v12, vcc_lo
	;; [unrolled: 3-line block ×4, first 2 shown]
	s_delay_alu instid0(VALU_DEP_1)
	v_cmp_eq_u64_e32 vcc_lo, 0, v[19:20]
	s_wait_alu 0xfffe
	s_or_b32 s4, vcc_lo, s4
	s_wait_loadcnt 0x1
	v_bfe_i32 v29, v25, 0, 8
	v_bfe_i32 v35, v27, 0, 8
	s_wait_loadcnt 0x0
	v_bfe_i32 v41, v7, 0, 8
	v_bfe_i32 v30, v25, 8, 8
	;; [unrolled: 1-line block ×4, first 2 shown]
	v_cvt_f32_i32_e32 v29, v29
	v_cvt_f32_i32_e32 v35, v35
	v_bfe_i32 v42, v7, 8, 8
	v_cvt_f32_i32_e32 v41, v41
	v_bfe_i32 v32, v26, 0, 8
	v_bfe_i32 v37, v27, 16, 8
	;; [unrolled: 1-line block ×3, first 2 shown]
	v_cvt_f32_i32_e32 v30, v30
	v_cvt_f32_i32_e32 v36, v36
	;; [unrolled: 1-line block ×3, first 2 shown]
	v_bfe_i32 v43, v7, 16, 8
	v_cvt_f32_i32_e32 v42, v42
	v_fmac_f32_e32 v8, v29, v41
	v_fmac_f32_e32 v23, v35, v41
	v_bfe_i32 v33, v26, 8, 8
	v_ashrrev_i32_e32 v27, 24, v27
	v_cvt_f32_i32_e32 v32, v32
	v_cvt_f32_i32_e32 v37, v37
	;; [unrolled: 1-line block ×3, first 2 shown]
	v_ashrrev_i32_e32 v7, 24, v7
	v_cvt_f32_i32_e32 v29, v43
	v_fmac_f32_e32 v8, v30, v42
	v_dual_fmac_f32 v22, v38, v41 :: v_dual_fmac_f32 v23, v36, v42
	v_bfe_i32 v31, v25, 16, 8
	v_bfe_i32 v34, v26, 16, 8
	;; [unrolled: 1-line block ×3, first 2 shown]
	v_cvt_f32_i32_e32 v33, v33
	v_cvt_f32_i32_e32 v27, v27
	v_dual_fmac_f32 v22, v39, v42 :: v_dual_fmac_f32 v23, v37, v29
	v_cvt_f32_i32_e32 v7, v7
	v_fmac_f32_e32 v24, v32, v41
	v_ashrrev_i32_e32 v25, 24, v25
	v_ashrrev_i32_e32 v26, 24, v26
	;; [unrolled: 1-line block ×3, first 2 shown]
	v_cvt_f32_i32_e32 v31, v31
	v_cvt_f32_i32_e32 v34, v34
	;; [unrolled: 1-line block ×3, first 2 shown]
	v_dual_fmac_f32 v23, v27, v7 :: v_dual_fmac_f32 v24, v33, v42
	v_cvt_f32_i32_e32 v25, v25
	v_cvt_f32_i32_e32 v26, v26
	;; [unrolled: 1-line block ×3, first 2 shown]
	v_fmac_f32_e32 v8, v31, v29
	v_fmac_f32_e32 v24, v34, v29
	v_fmac_f32_e32 v22, v40, v29
	s_delay_alu instid0(VALU_DEP_3) | instskip(NEXT) | instid1(VALU_DEP_3)
	v_fmac_f32_e32 v8, v25, v7
	v_fmac_f32_e32 v24, v26, v7
	s_delay_alu instid0(VALU_DEP_3)
	v_fmac_f32_e32 v22, v28, v7
	s_wait_alu 0xfffe
	s_and_not1_b32 exec_lo, exec_lo, s4
	s_cbranch_execnz .LBB84_17
; %bb.18:
	s_or_b32 exec_lo, exec_lo, s4
.LBB84_19:
	s_wait_alu 0xfffe
	s_or_b32 exec_lo, exec_lo, s3
	s_delay_alu instid0(SALU_CYCLE_1)
	s_mov_b32 s11, exec_lo
	v_cmpx_lt_u64_e32 0xbf, v[15:16]
	s_cbranch_execz .LBB84_23
; %bb.20:
	v_lshlrev_b64_e32 v[15:16], 2, v[11:12]
	s_mov_b32 s13, 0
	s_delay_alu instid0(VALU_DEP_1) | instskip(SKIP_1) | instid1(VALU_DEP_2)
	v_add_co_u32 v7, vcc_lo, s8, v15
	s_wait_alu 0xfffd
	v_add_co_ci_u32_e64 v16, null, s9, v16, vcc_lo
	s_delay_alu instid0(VALU_DEP_2) | instskip(SKIP_1) | instid1(VALU_DEP_2)
	v_add_co_u32 v15, vcc_lo, 0x200, v7
	s_wait_alu 0xfffd
	v_add_co_ci_u32_e64 v16, null, 0, v16, vcc_lo
.LBB84_21:                              ; =>This Inner Loop Header: Depth=1
	s_clause 0x3
	global_load_b32 v7, v[15:16], off offset:-512
	global_load_b32 v37, v[15:16], off offset:-256
	global_load_b32 v38, v[15:16], off
	global_load_b32 v39, v[15:16], off offset:256
	s_clause 0x3
	global_load_b128 v[17:20], v[13:14], off
	global_load_b128 v[25:28], v[13:14], off offset:1024
	global_load_b128 v[29:32], v[13:14], off offset:2048
	;; [unrolled: 1-line block ×3, first 2 shown]
	s_wait_loadcnt 0x7
	v_subrev_nc_u32_e32 v7, s16, v7
	s_wait_loadcnt 0x6
	v_subrev_nc_u32_e32 v37, s16, v37
	;; [unrolled: 2-line block ×4, first 2 shown]
	s_wait_loadcnt 0x3
	v_bfe_i32 v48, v19, 16, 8
	v_lshlrev_b32_e32 v7, 2, v7
	v_lshlrev_b32_e32 v37, 2, v37
	v_lshlrev_b32_e32 v38, 2, v38
	v_lshlrev_b32_e32 v40, 2, v39
	v_bfe_i32 v49, v20, 0, 8
	v_ashrrev_i32_e32 v42, 31, v7
	v_ashrrev_i32_e32 v45, 31, v37
	;; [unrolled: 1-line block ×4, first 2 shown]
	s_wait_kmcnt 0x0
	v_add_co_u32 v43, s5, s6, v7
	v_add_co_u32 v37, vcc_lo, s6, v37
	v_add_co_u32 v39, s3, s6, v38
	s_wait_alu 0xf1ff
	v_add_co_ci_u32_e64 v44, null, s7, v42, s5
	v_add_co_u32 v41, s4, s6, v40
	s_wait_alu 0xfffd
	v_add_co_ci_u32_e64 v38, null, s7, v45, vcc_lo
	v_add_co_ci_u32_e64 v40, null, s7, v46, s3
	s_wait_alu 0xf1ff
	v_add_co_ci_u32_e64 v42, null, s7, v47, s4
	s_clause 0x3
	global_load_b32 v7, v[43:44], off
	global_load_b32 v37, v[37:38], off
	;; [unrolled: 1-line block ×4, first 2 shown]
	v_bfe_i32 v46, v19, 0, 8
	v_bfe_i32 v43, v18, 0, 8
	;; [unrolled: 1-line block ×5, first 2 shown]
	v_cvt_f32_i32_e32 v46, v46
	v_cvt_f32_i32_e32 v43, v43
	;; [unrolled: 1-line block ×3, first 2 shown]
	v_ashrrev_i32_e32 v19, 24, v19
	v_bfe_i32 v50, v20, 8, 8
	v_cvt_f32_i32_e32 v40, v40
	v_cvt_f32_i32_e32 v48, v48
	v_cvt_f32_i32_e32 v49, v49
	v_bfe_i32 v44, v18, 8, 8
	v_bfe_i32 v51, v20, 16, 8
	s_wait_loadcnt 0x6
	v_bfe_i32 v58, v27, 0, 8
	v_bfe_i32 v59, v27, 8, 8
	;; [unrolled: 1-line block ×3, first 2 shown]
	v_ashrrev_i32_e32 v27, 24, v27
	v_cvt_f32_i32_e32 v41, v41
	v_cvt_f32_i32_e32 v19, v19
	;; [unrolled: 1-line block ×3, first 2 shown]
	v_bfe_i32 v42, v17, 16, 8
	v_bfe_i32 v45, v18, 16, 8
	v_cvt_f32_i32_e32 v44, v44
	v_cvt_f32_i32_e32 v51, v51
	;; [unrolled: 1-line block ×4, first 2 shown]
	v_ashrrev_i32_e32 v17, 24, v17
	v_ashrrev_i32_e32 v18, 24, v18
	;; [unrolled: 1-line block ×3, first 2 shown]
	s_wait_loadcnt 0x5
	v_bfe_i32 v70, v31, 0, 8
	v_cvt_f32_i32_e32 v42, v42
	v_cvt_f32_i32_e32 v45, v45
	;; [unrolled: 1-line block ×3, first 2 shown]
	v_bfe_i32 v52, v25, 0, 8
	v_bfe_i32 v55, v26, 0, 8
	v_bfe_i32 v61, v28, 0, 8
	v_bfe_i32 v72, v31, 16, 8
	s_wait_loadcnt 0x4
	v_bfe_i32 v82, v35, 0, 8
	v_bfe_i32 v84, v35, 16, 8
	v_cvt_f32_i32_e32 v17, v17
	v_cvt_f32_i32_e32 v18, v18
	;; [unrolled: 1-line block ×5, first 2 shown]
	v_bfe_i32 v53, v25, 8, 8
	v_bfe_i32 v56, v26, 8, 8
	;; [unrolled: 1-line block ×4, first 2 shown]
	v_ashrrev_i32_e32 v31, 24, v31
	v_cvt_f32_i32_e32 v52, v52
	v_cvt_f32_i32_e32 v55, v55
	v_cvt_f32_i32_e32 v61, v61
	v_cvt_f32_i32_e32 v72, v72
	v_cvt_f32_i32_e32 v82, v82
	v_cvt_f32_i32_e32 v84, v84
	v_bfe_i32 v54, v25, 16, 8
	v_bfe_i32 v57, v26, 16, 8
	;; [unrolled: 1-line block ×3, first 2 shown]
	v_cvt_f32_i32_e32 v53, v53
	v_cvt_f32_i32_e32 v56, v56
	;; [unrolled: 1-line block ×5, first 2 shown]
	v_ashrrev_i32_e32 v25, 24, v25
	v_ashrrev_i32_e32 v26, 24, v26
	;; [unrolled: 1-line block ×3, first 2 shown]
	v_bfe_i32 v83, v35, 8, 8
	v_ashrrev_i32_e32 v35, 24, v35
	v_cvt_f32_i32_e32 v54, v54
	v_cvt_f32_i32_e32 v57, v57
	;; [unrolled: 1-line block ×3, first 2 shown]
	v_bfe_i32 v64, v29, 0, 8
	v_bfe_i32 v67, v30, 0, 8
	;; [unrolled: 1-line block ×3, first 2 shown]
	v_cvt_f32_i32_e32 v25, v25
	v_cvt_f32_i32_e32 v26, v26
	;; [unrolled: 1-line block ×5, first 2 shown]
	v_bfe_i32 v65, v29, 8, 8
	v_bfe_i32 v68, v30, 8, 8
	;; [unrolled: 1-line block ×3, first 2 shown]
	v_cvt_f32_i32_e32 v64, v64
	v_cvt_f32_i32_e32 v67, v67
	;; [unrolled: 1-line block ×3, first 2 shown]
	v_bfe_i32 v66, v29, 16, 8
	v_bfe_i32 v69, v30, 16, 8
	;; [unrolled: 1-line block ×3, first 2 shown]
	v_cvt_f32_i32_e32 v65, v65
	v_cvt_f32_i32_e32 v68, v68
	;; [unrolled: 1-line block ×3, first 2 shown]
	v_ashrrev_i32_e32 v29, 24, v29
	v_ashrrev_i32_e32 v30, 24, v30
	;; [unrolled: 1-line block ×3, first 2 shown]
	v_cvt_f32_i32_e32 v66, v66
	v_cvt_f32_i32_e32 v69, v69
	v_cvt_f32_i32_e32 v75, v75
	v_bfe_i32 v76, v33, 0, 8
	v_bfe_i32 v79, v34, 0, 8
	v_bfe_i32 v85, v36, 0, 8
	v_cvt_f32_i32_e32 v29, v29
	v_cvt_f32_i32_e32 v30, v30
	v_cvt_f32_i32_e32 v32, v32
	v_bfe_i32 v77, v33, 8, 8
	v_bfe_i32 v80, v34, 8, 8
	v_bfe_i32 v86, v36, 8, 8
	v_cvt_f32_i32_e32 v76, v76
	v_cvt_f32_i32_e32 v79, v79
	v_cvt_f32_i32_e32 v85, v85
	v_bfe_i32 v78, v33, 16, 8
	v_bfe_i32 v81, v34, 16, 8
	v_bfe_i32 v87, v36, 16, 8
	v_cvt_f32_i32_e32 v77, v77
	v_cvt_f32_i32_e32 v80, v80
	;; [unrolled: 1-line block ×3, first 2 shown]
	v_add_co_u32 v13, vcc_lo, 0x1000, v13
	s_wait_alu 0xfffd
	v_add_co_ci_u32_e64 v14, null, 0, v14, vcc_lo
	v_add_co_u32 v11, vcc_lo, 0x100, v11
	v_ashrrev_i32_e32 v33, 24, v33
	v_ashrrev_i32_e32 v34, 24, v34
	;; [unrolled: 1-line block ×3, first 2 shown]
	v_cvt_f32_i32_e32 v78, v78
	v_cvt_f32_i32_e32 v81, v81
	;; [unrolled: 1-line block ×3, first 2 shown]
	s_wait_alu 0xfffd
	v_add_co_ci_u32_e64 v12, null, 0, v12, vcc_lo
	v_add_co_u32 v15, vcc_lo, 0x400, v15
	v_cvt_f32_i32_e32 v33, v33
	v_cvt_f32_i32_e32 v34, v34
	;; [unrolled: 1-line block ×3, first 2 shown]
	s_wait_alu 0xfffd
	v_add_co_ci_u32_e64 v16, null, 0, v16, vcc_lo
	v_cmp_ge_i64_e32 vcc_lo, v[11:12], v[2:3]
	s_or_b32 s13, vcc_lo, s13
	s_wait_loadcnt 0x3
	v_bfe_i32 v88, v7, 0, 8
	v_bfe_i32 v89, v7, 8, 8
	;; [unrolled: 1-line block ×3, first 2 shown]
	v_ashrrev_i32_e32 v7, 24, v7
	s_wait_loadcnt 0x2
	v_bfe_i32 v91, v37, 0, 8
	v_cvt_f32_i32_e32 v88, v88
	v_cvt_f32_i32_e32 v89, v89
	v_bfe_i32 v92, v37, 8, 8
	v_cvt_f32_i32_e32 v7, v7
	v_bfe_i32 v93, v37, 16, 8
	v_fmac_f32_e32 v23, v46, v88
	v_fmac_f32_e32 v24, v43, v88
	v_cvt_f32_i32_e32 v43, v90
	v_fmac_f32_e32 v8, v40, v88
	v_ashrrev_i32_e32 v37, 24, v37
	v_dual_fmac_f32 v23, v47, v89 :: v_dual_fmac_f32 v22, v49, v88
	s_wait_loadcnt 0x1
	v_bfe_i32 v94, v38, 0, 8
	v_bfe_i32 v95, v38, 8, 8
	;; [unrolled: 1-line block ×3, first 2 shown]
	v_dual_fmac_f32 v23, v48, v43 :: v_dual_fmac_f32 v8, v41, v89
	v_fmac_f32_e32 v22, v50, v89
	v_cvt_f32_i32_e32 v41, v91
	v_ashrrev_i32_e32 v38, 24, v38
	s_delay_alu instid0(VALU_DEP_4)
	v_fmac_f32_e32 v23, v19, v7
	v_fmac_f32_e32 v8, v42, v43
	;; [unrolled: 1-line block ×3, first 2 shown]
	s_wait_loadcnt 0x0
	v_bfe_i32 v97, v39, 0, 8
	v_bfe_i32 v98, v39, 8, 8
	v_fmac_f32_e32 v23, v58, v41
	v_fmac_f32_e32 v24, v44, v89
	v_fmac_f32_e32 v8, v17, v7
	v_fmac_f32_e32 v22, v20, v7
	v_cvt_f32_i32_e32 v17, v93
	v_bfe_i32 v40, v39, 16, 8
	v_fmac_f32_e32 v24, v45, v43
	v_fmac_f32_e32 v8, v52, v41
	;; [unrolled: 1-line block ×3, first 2 shown]
	v_ashrrev_i32_e32 v39, 24, v39
	s_delay_alu instid0(VALU_DEP_4) | instskip(SKIP_1) | instid1(VALU_DEP_2)
	v_fmac_f32_e32 v24, v18, v7
	v_cvt_f32_i32_e32 v7, v92
	v_fmac_f32_e32 v24, v55, v41
	s_delay_alu instid0(VALU_DEP_2) | instskip(SKIP_2) | instid1(VALU_DEP_4)
	v_fmac_f32_e32 v8, v53, v7
	v_fmac_f32_e32 v23, v59, v7
	v_fmac_f32_e32 v22, v62, v7
	v_fmac_f32_e32 v24, v56, v7
	v_cvt_f32_i32_e32 v7, v37
	v_fmac_f32_e32 v8, v54, v17
	v_fmac_f32_e32 v23, v60, v17
	v_fmac_f32_e32 v22, v63, v17
	v_fmac_f32_e32 v24, v57, v17
	v_cvt_f32_i32_e32 v17, v94
	v_fmac_f32_e32 v8, v25, v7
	v_fmac_f32_e32 v23, v27, v7
	v_fmac_f32_e32 v22, v28, v7
	v_fmac_f32_e32 v24, v26, v7
	v_cvt_f32_i32_e32 v7, v95
	v_fmac_f32_e32 v8, v64, v17
	v_fmac_f32_e32 v23, v70, v17
	v_fmac_f32_e32 v22, v73, v17
	v_fmac_f32_e32 v24, v67, v17
	v_cvt_f32_i32_e32 v17, v96
	v_fmac_f32_e32 v8, v65, v7
	v_fmac_f32_e32 v23, v71, v7
	v_fmac_f32_e32 v22, v74, v7
	v_fmac_f32_e32 v24, v68, v7
	v_cvt_f32_i32_e32 v7, v38
	v_fmac_f32_e32 v8, v66, v17
	v_fmac_f32_e32 v23, v72, v17
	v_fmac_f32_e32 v22, v75, v17
	v_fmac_f32_e32 v24, v69, v17
	v_cvt_f32_i32_e32 v17, v97
	v_fmac_f32_e32 v8, v29, v7
	v_fmac_f32_e32 v23, v31, v7
	v_fmac_f32_e32 v22, v32, v7
	v_fmac_f32_e32 v24, v30, v7
	v_cvt_f32_i32_e32 v7, v98
	v_fmac_f32_e32 v8, v76, v17
	v_fmac_f32_e32 v23, v82, v17
	v_fmac_f32_e32 v22, v85, v17
	v_fmac_f32_e32 v24, v79, v17
	v_cvt_f32_i32_e32 v17, v40
	v_fmac_f32_e32 v8, v77, v7
	v_fmac_f32_e32 v23, v83, v7
	v_fmac_f32_e32 v22, v86, v7
	v_fmac_f32_e32 v24, v80, v7
	v_cvt_f32_i32_e32 v7, v39
	v_fmac_f32_e32 v8, v78, v17
	v_fmac_f32_e32 v23, v84, v17
	;; [unrolled: 1-line block ×4, first 2 shown]
	s_delay_alu instid0(VALU_DEP_4) | instskip(NEXT) | instid1(VALU_DEP_4)
	v_fmac_f32_e32 v8, v33, v7
	v_fmac_f32_e32 v23, v35, v7
	s_delay_alu instid0(VALU_DEP_4) | instskip(NEXT) | instid1(VALU_DEP_4)
	v_fmac_f32_e32 v22, v36, v7
	v_fmac_f32_e32 v24, v34, v7
	s_and_not1_b32 exec_lo, exec_lo, s13
	s_cbranch_execnz .LBB84_21
; %bb.22:
	s_or_b32 exec_lo, exec_lo, s13
.LBB84_23:
	s_wait_alu 0xfffe
	s_or_b32 exec_lo, exec_lo, s11
.LBB84_24:
	s_wait_alu 0xfffe
	s_or_b32 exec_lo, exec_lo, s10
	s_cbranch_execz .LBB84_26
	s_branch .LBB84_37
.LBB84_25:
                                        ; implicit-def: $vgpr22
                                        ; implicit-def: $vgpr23
                                        ; implicit-def: $vgpr24
                                        ; implicit-def: $vgpr8
.LBB84_26:
	v_dual_mov_b32 v22, 0 :: v_dual_mov_b32 v23, 0
	v_mov_b32_e32 v24, 0
	v_mov_b32_e32 v8, 0
	s_and_saveexec_b32 s5, s2
	s_cbranch_execz .LBB84_36
; %bb.27:
	v_or_b32_e32 v7, 64, v21
	s_delay_alu instid0(VALU_DEP_1) | instskip(SKIP_3) | instid1(VALU_DEP_3)
	v_sub_co_u32 v7, s2, v7, s16
	s_wait_alu 0xf1ff
	v_sub_co_ci_u32_e64 v8, null, 0, 0, s2
	v_sub_co_u32 v11, s2, s16, v21
	v_add_co_u32 v7, vcc_lo, v7, v9
	s_wait_alu 0xfffd
	s_delay_alu instid0(VALU_DEP_3)
	v_add_co_ci_u32_e64 v8, null, v8, v10, vcc_lo
	v_not_b32_e32 v9, v9
	v_not_b32_e32 v10, v10
	s_wait_alu 0xf1ff
	v_sub_co_ci_u32_e64 v12, null, 0, 0, s2
	v_cmp_gt_i64_e32 vcc_lo, v[7:8], v[2:3]
	s_mov_b32 s2, exec_lo
	s_wait_alu 0xfffd
	v_cndmask_b32_e32 v13, v3, v8, vcc_lo
	v_cndmask_b32_e32 v7, v2, v7, vcc_lo
	v_add_co_u32 v8, vcc_lo, v11, v9
	s_wait_alu 0xfffd
	v_add_co_ci_u32_e64 v10, null, v12, v10, vcc_lo
	s_delay_alu instid0(VALU_DEP_2) | instskip(SKIP_2) | instid1(VALU_DEP_3)
	v_add_co_u32 v9, vcc_lo, v8, v7
	v_mov_b32_e32 v8, 0
	s_wait_alu 0xfffd
	v_add_co_ci_u32_e64 v10, null, v10, v13, vcc_lo
	s_delay_alu instid0(VALU_DEP_2) | instskip(SKIP_1) | instid1(VALU_DEP_2)
	v_dual_mov_b32 v22, v8 :: v_dual_and_b32 v7, 0xc0, v9
	v_dual_mov_b32 v24, v8 :: v_dual_mov_b32 v23, v8
	v_cmpx_ne_u64_e32 0xc0, v[7:8]
	s_cbranch_execz .LBB84_31
; %bb.28:
	v_lshrrev_b32_e32 v7, 6, v9
	v_dual_mov_b32 v23, 0 :: v_dual_mov_b32 v24, 0
	s_delay_alu instid0(VALU_DEP_2) | instskip(SKIP_1) | instid1(VALU_DEP_2)
	v_dual_mov_b32 v22, 0 :: v_dual_add_nc_u32 v11, 1, v7
	v_lshlrev_b64_e32 v[7:8], 2, v[0:1]
	v_and_b32_e32 v13, 3, v11
	s_delay_alu instid0(VALU_DEP_2) | instskip(SKIP_1) | instid1(VALU_DEP_3)
	v_add_co_u32 v11, vcc_lo, s8, v7
	s_wait_alu 0xfffd
	v_add_co_ci_u32_e64 v12, null, s9, v8, vcc_lo
	v_mov_b32_e32 v8, 0
	v_sub_co_u32 v13, s3, 0, v13
	s_wait_alu 0xf1ff
	v_sub_co_ci_u32_e64 v14, null, 0, 0, s3
	s_mov_b32 s3, 0
.LBB84_29:                              ; =>This Inner Loop Header: Depth=1
	global_load_b32 v7, v[11:12], off
	s_wait_loadcnt 0x0
	v_subrev_nc_u32_e32 v7, s16, v7
	s_delay_alu instid0(VALU_DEP_1) | instskip(NEXT) | instid1(VALU_DEP_1)
	v_lshlrev_b32_e32 v7, 2, v7
	v_ashrrev_i32_e32 v15, 31, v7
	s_wait_kmcnt 0x0
	v_add_co_u32 v19, vcc_lo, s6, v7
	s_wait_alu 0xfffd
	s_delay_alu instid0(VALU_DEP_2)
	v_add_co_ci_u32_e64 v20, null, s7, v15, vcc_lo
	global_load_b128 v[15:18], v[5:6], off
	global_load_b32 v7, v[19:20], off
	v_add_co_u32 v5, vcc_lo, 0x400, v5
	s_wait_alu 0xfffd
	v_add_co_ci_u32_e64 v6, null, 0, v6, vcc_lo
	v_add_co_u32 v0, vcc_lo, v0, 64
	s_wait_alu 0xfffd
	v_add_co_ci_u32_e64 v1, null, 0, v1, vcc_lo
	;; [unrolled: 3-line block ×4, first 2 shown]
	s_delay_alu instid0(VALU_DEP_1)
	v_cmp_eq_u64_e32 vcc_lo, 0, v[13:14]
	s_wait_alu 0xfffe
	s_or_b32 s3, vcc_lo, s3
	s_wait_loadcnt 0x1
	v_bfe_i32 v20, v15, 8, 8
	s_wait_loadcnt 0x0
	v_bfe_i32 v35, v7, 0, 8
	v_bfe_i32 v19, v15, 0, 8
	;; [unrolled: 1-line block ×3, first 2 shown]
	v_ashrrev_i32_e32 v15, 24, v15
	v_bfe_i32 v27, v16, 8, 8
	v_cvt_f32_i32_e32 v20, v20
	v_bfe_i32 v36, v7, 8, 8
	v_cvt_f32_i32_e32 v35, v35
	v_bfe_i32 v26, v16, 0, 8
	v_bfe_i32 v28, v16, 16, 8
	v_ashrrev_i32_e32 v16, 24, v16
	v_cvt_f32_i32_e32 v19, v19
	v_cvt_f32_i32_e32 v25, v25
	;; [unrolled: 1-line block ×5, first 2 shown]
	v_fmac_f32_e32 v24, v20, v35
	v_bfe_i32 v29, v17, 0, 8
	v_bfe_i32 v30, v17, 8, 8
	v_bfe_i32 v31, v17, 16, 8
	v_ashrrev_i32_e32 v17, 24, v17
	v_cvt_f32_i32_e32 v26, v26
	v_cvt_f32_i32_e32 v28, v28
	v_cvt_f32_i32_e32 v16, v16
	v_bfe_i32 v37, v7, 16, 8
	v_dual_fmac_f32 v23, v25, v35 :: v_dual_fmac_f32 v24, v27, v36
	v_fmac_f32_e32 v8, v19, v35
	v_fmac_f32_e32 v22, v15, v35
	v_bfe_i32 v32, v18, 0, 8
	v_bfe_i32 v33, v18, 8, 8
	;; [unrolled: 1-line block ×3, first 2 shown]
	v_ashrrev_i32_e32 v18, 24, v18
	v_cvt_f32_i32_e32 v29, v29
	v_cvt_f32_i32_e32 v30, v30
	;; [unrolled: 1-line block ×4, first 2 shown]
	v_ashrrev_i32_e32 v7, 24, v7
	v_cvt_f32_i32_e32 v15, v37
	v_fmac_f32_e32 v23, v28, v36
	v_fmac_f32_e32 v8, v26, v36
	;; [unrolled: 1-line block ×3, first 2 shown]
	v_cvt_f32_i32_e32 v32, v32
	v_cvt_f32_i32_e32 v33, v33
	;; [unrolled: 1-line block ×5, first 2 shown]
	v_fmac_f32_e32 v8, v29, v15
	v_fmac_f32_e32 v24, v30, v15
	;; [unrolled: 1-line block ×4, first 2 shown]
	s_delay_alu instid0(VALU_DEP_4) | instskip(NEXT) | instid1(VALU_DEP_4)
	v_fmac_f32_e32 v8, v32, v7
	v_fmac_f32_e32 v24, v33, v7
	s_delay_alu instid0(VALU_DEP_4) | instskip(NEXT) | instid1(VALU_DEP_4)
	v_fmac_f32_e32 v23, v34, v7
	v_fmac_f32_e32 v22, v18, v7
	s_wait_alu 0xfffe
	s_and_not1_b32 exec_lo, exec_lo, s3
	s_cbranch_execnz .LBB84_29
; %bb.30:
	s_or_b32 exec_lo, exec_lo, s3
.LBB84_31:
	s_wait_alu 0xfffe
	s_or_b32 exec_lo, exec_lo, s2
	s_delay_alu instid0(SALU_CYCLE_1)
	s_mov_b32 s10, exec_lo
	v_cmpx_lt_u64_e32 0xbf, v[9:10]
	s_cbranch_execz .LBB84_35
; %bb.32:
	v_lshlrev_b64_e32 v[9:10], 2, v[0:1]
	s_delay_alu instid0(VALU_DEP_1) | instskip(SKIP_1) | instid1(VALU_DEP_2)
	v_add_co_u32 v7, vcc_lo, s8, v9
	s_wait_alu 0xfffd
	v_add_co_ci_u32_e64 v10, null, s9, v10, vcc_lo
	s_mov_b32 s8, 0
	v_add_co_u32 v9, vcc_lo, 0x200, v7
	s_wait_alu 0xfffd
	v_add_co_ci_u32_e64 v10, null, 0, v10, vcc_lo
.LBB84_33:                              ; =>This Inner Loop Header: Depth=1
	s_clause 0x3
	global_load_b32 v7, v[9:10], off offset:-512
	global_load_b32 v19, v[9:10], off offset:-256
	global_load_b32 v20, v[9:10], off
	global_load_b32 v33, v[9:10], off offset:256
	s_clause 0x3
	global_load_b128 v[11:14], v[5:6], off
	global_load_b128 v[15:18], v[5:6], off offset:1024
	global_load_b128 v[25:28], v[5:6], off offset:2048
	;; [unrolled: 1-line block ×3, first 2 shown]
	s_wait_loadcnt 0x7
	v_subrev_nc_u32_e32 v7, s16, v7
	s_wait_loadcnt 0x6
	v_subrev_nc_u32_e32 v19, s16, v19
	;; [unrolled: 2-line block ×4, first 2 shown]
	s_wait_loadcnt 0x3
	v_bfe_i32 v42, v13, 16, 8
	v_lshlrev_b32_e32 v7, 2, v7
	v_lshlrev_b32_e32 v19, 2, v19
	;; [unrolled: 1-line block ×4, first 2 shown]
	v_cvt_f32_i32_e32 v42, v42
	v_ashrrev_i32_e32 v36, 31, v7
	v_ashrrev_i32_e32 v39, 31, v19
	;; [unrolled: 1-line block ×4, first 2 shown]
	s_wait_kmcnt 0x0
	v_add_co_u32 v37, s4, s6, v7
	v_add_co_u32 v19, vcc_lo, s6, v19
	v_add_co_u32 v33, s2, s6, v20
	s_wait_alu 0xf1ff
	v_add_co_ci_u32_e64 v38, null, s7, v36, s4
	v_add_co_u32 v35, s3, s6, v34
	s_wait_alu 0xfffd
	v_add_co_ci_u32_e64 v20, null, s7, v39, vcc_lo
	v_add_co_ci_u32_e64 v34, null, s7, v40, s2
	s_wait_alu 0xf1ff
	v_add_co_ci_u32_e64 v36, null, s7, v41, s3
	s_clause 0x3
	global_load_b32 v7, v[37:38], off
	global_load_b32 v19, v[19:20], off
	;; [unrolled: 1-line block ×4, first 2 shown]
	v_bfe_i32 v36, v11, 16, 8
	v_bfe_i32 v34, v11, 0, 8
	;; [unrolled: 1-line block ×3, first 2 shown]
	v_ashrrev_i32_e32 v11, 24, v11
	v_bfe_i32 v39, v12, 16, 8
	v_cvt_f32_i32_e32 v36, v36
	v_bfe_i32 v37, v12, 0, 8
	v_bfe_i32 v38, v12, 8, 8
	v_ashrrev_i32_e32 v12, 24, v12
	v_cvt_f32_i32_e32 v34, v34
	v_cvt_f32_i32_e32 v35, v35
	;; [unrolled: 1-line block ×4, first 2 shown]
	v_bfe_i32 v40, v13, 0, 8
	v_bfe_i32 v41, v13, 8, 8
	v_ashrrev_i32_e32 v13, 24, v13
	v_cvt_f32_i32_e32 v37, v37
	v_cvt_f32_i32_e32 v38, v38
	;; [unrolled: 1-line block ×3, first 2 shown]
	v_bfe_i32 v43, v14, 0, 8
	v_bfe_i32 v44, v14, 8, 8
	;; [unrolled: 1-line block ×3, first 2 shown]
	v_ashrrev_i32_e32 v14, 24, v14
	v_cvt_f32_i32_e32 v40, v40
	v_cvt_f32_i32_e32 v41, v41
	;; [unrolled: 1-line block ×3, first 2 shown]
	s_wait_loadcnt 0x6
	v_bfe_i32 v46, v15, 0, 8
	v_bfe_i32 v47, v15, 8, 8
	v_bfe_i32 v48, v15, 16, 8
	v_ashrrev_i32_e32 v15, 24, v15
	v_cvt_f32_i32_e32 v43, v43
	v_cvt_f32_i32_e32 v44, v44
	v_cvt_f32_i32_e32 v45, v45
	v_cvt_f32_i32_e32 v14, v14
	v_bfe_i32 v49, v16, 0, 8
	v_bfe_i32 v50, v16, 8, 8
	v_bfe_i32 v51, v16, 16, 8
	v_ashrrev_i32_e32 v16, 24, v16
	v_cvt_f32_i32_e32 v46, v46
	v_cvt_f32_i32_e32 v47, v47
	v_cvt_f32_i32_e32 v48, v48
	v_cvt_f32_i32_e32 v15, v15
	;; [unrolled: 8-line block ×4, first 2 shown]
	s_wait_loadcnt 0x5
	v_bfe_i32 v58, v25, 0, 8
	v_bfe_i32 v59, v25, 8, 8
	v_bfe_i32 v60, v25, 16, 8
	v_ashrrev_i32_e32 v25, 24, v25
	v_cvt_f32_i32_e32 v55, v55
	v_cvt_f32_i32_e32 v56, v56
	v_cvt_f32_i32_e32 v57, v57
	v_cvt_f32_i32_e32 v18, v18
	v_bfe_i32 v61, v26, 0, 8
	v_bfe_i32 v62, v26, 8, 8
	v_bfe_i32 v63, v26, 16, 8
	v_ashrrev_i32_e32 v26, 24, v26
	v_cvt_f32_i32_e32 v58, v58
	v_cvt_f32_i32_e32 v59, v59
	v_cvt_f32_i32_e32 v60, v60
	v_cvt_f32_i32_e32 v25, v25
	;; [unrolled: 8-line block ×4, first 2 shown]
	s_wait_loadcnt 0x4
	v_bfe_i32 v70, v29, 0, 8
	v_bfe_i32 v71, v29, 8, 8
	v_bfe_i32 v72, v29, 16, 8
	v_ashrrev_i32_e32 v29, 24, v29
	v_cvt_f32_i32_e32 v67, v67
	v_cvt_f32_i32_e32 v68, v68
	v_cvt_f32_i32_e32 v69, v69
	v_cvt_f32_i32_e32 v28, v28
	v_bfe_i32 v73, v30, 0, 8
	v_bfe_i32 v74, v30, 8, 8
	v_bfe_i32 v75, v30, 16, 8
	v_ashrrev_i32_e32 v30, 24, v30
	v_cvt_f32_i32_e32 v70, v70
	v_cvt_f32_i32_e32 v71, v71
	v_cvt_f32_i32_e32 v72, v72
	v_cvt_f32_i32_e32 v29, v29
	;; [unrolled: 8-line block ×3, first 2 shown]
	v_add_co_u32 v5, vcc_lo, 0x1000, v5
	s_wait_alu 0xfffd
	v_add_co_ci_u32_e64 v6, null, 0, v6, vcc_lo
	v_add_co_u32 v0, vcc_lo, 0x100, v0
	v_bfe_i32 v79, v32, 0, 8
	v_bfe_i32 v80, v32, 8, 8
	;; [unrolled: 1-line block ×3, first 2 shown]
	v_ashrrev_i32_e32 v32, 24, v32
	v_cvt_f32_i32_e32 v76, v76
	v_cvt_f32_i32_e32 v77, v77
	;; [unrolled: 1-line block ×4, first 2 shown]
	s_wait_alu 0xfffd
	v_add_co_ci_u32_e64 v1, null, 0, v1, vcc_lo
	v_add_co_u32 v9, vcc_lo, 0x400, v9
	v_cvt_f32_i32_e32 v79, v79
	v_cvt_f32_i32_e32 v80, v80
	;; [unrolled: 1-line block ×4, first 2 shown]
	s_wait_alu 0xfffd
	v_add_co_ci_u32_e64 v10, null, 0, v10, vcc_lo
	v_cmp_ge_i64_e32 vcc_lo, v[0:1], v[2:3]
	s_wait_alu 0xfffe
	s_or_b32 s8, vcc_lo, s8
	s_wait_loadcnt 0x3
	v_bfe_i32 v82, v7, 0, 8
	v_bfe_i32 v83, v7, 8, 8
	;; [unrolled: 1-line block ×3, first 2 shown]
	v_ashrrev_i32_e32 v7, 24, v7
	s_wait_loadcnt 0x2
	v_bfe_i32 v85, v19, 0, 8
	v_cvt_f32_i32_e32 v82, v82
	v_cvt_f32_i32_e32 v83, v83
	v_bfe_i32 v86, v19, 8, 8
	v_cvt_f32_i32_e32 v7, v7
	v_bfe_i32 v87, v19, 16, 8
	v_fmac_f32_e32 v23, v36, v82
	v_fmac_f32_e32 v8, v34, v82
	;; [unrolled: 1-line block ×3, first 2 shown]
	v_ashrrev_i32_e32 v19, 24, v19
	s_wait_loadcnt 0x1
	v_bfe_i32 v88, v20, 0, 8
	v_fmac_f32_e32 v23, v39, v83
	v_fmac_f32_e32 v22, v11, v82
	v_cvt_f32_i32_e32 v11, v84
	v_fmac_f32_e32 v8, v37, v83
	v_fmac_f32_e32 v24, v38, v83
	v_bfe_i32 v89, v20, 8, 8
	v_bfe_i32 v90, v20, 16, 8
	v_fmac_f32_e32 v23, v42, v11
	v_fmac_f32_e32 v22, v12, v83
	v_fmac_f32_e32 v8, v40, v11
	v_fmac_f32_e32 v24, v41, v11
	v_ashrrev_i32_e32 v20, 24, v20
	v_fmac_f32_e32 v23, v45, v7
	v_fmac_f32_e32 v22, v13, v11
	v_cvt_f32_i32_e32 v11, v85
	v_fmac_f32_e32 v8, v43, v7
	v_fmac_f32_e32 v24, v44, v7
	s_wait_loadcnt 0x0
	v_bfe_i32 v91, v33, 0, 8
	v_fmac_f32_e32 v22, v14, v7
	v_cvt_f32_i32_e32 v7, v86
	v_fmac_f32_e32 v8, v46, v11
	v_fmac_f32_e32 v24, v47, v11
	v_fmac_f32_e32 v23, v48, v11
	v_fmac_f32_e32 v22, v15, v11
	v_cvt_f32_i32_e32 v11, v87
	v_fmac_f32_e32 v8, v49, v7
	v_fmac_f32_e32 v24, v50, v7
	v_fmac_f32_e32 v23, v51, v7
	;; [unrolled: 5-line block ×7, first 2 shown]
	v_fmac_f32_e32 v22, v27, v11
	v_bfe_i32 v92, v33, 8, 8
	v_cvt_f32_i32_e32 v11, v91
	v_fmac_f32_e32 v8, v67, v7
	v_fmac_f32_e32 v24, v68, v7
	;; [unrolled: 1-line block ×4, first 2 shown]
	v_bfe_i32 v34, v33, 16, 8
	v_cvt_f32_i32_e32 v7, v92
	v_fmac_f32_e32 v8, v70, v11
	v_fmac_f32_e32 v24, v71, v11
	;; [unrolled: 1-line block ×4, first 2 shown]
	v_ashrrev_i32_e32 v33, 24, v33
	v_cvt_f32_i32_e32 v11, v34
	v_fmac_f32_e32 v8, v73, v7
	v_fmac_f32_e32 v24, v74, v7
	;; [unrolled: 1-line block ×4, first 2 shown]
	v_cvt_f32_i32_e32 v7, v33
	v_fmac_f32_e32 v8, v76, v11
	v_fmac_f32_e32 v24, v77, v11
	;; [unrolled: 1-line block ×4, first 2 shown]
	s_delay_alu instid0(VALU_DEP_4) | instskip(NEXT) | instid1(VALU_DEP_4)
	v_fmac_f32_e32 v8, v79, v7
	v_fmac_f32_e32 v24, v80, v7
	s_delay_alu instid0(VALU_DEP_4) | instskip(NEXT) | instid1(VALU_DEP_4)
	v_fmac_f32_e32 v23, v81, v7
	v_fmac_f32_e32 v22, v32, v7
	s_wait_alu 0xfffe
	s_and_not1_b32 exec_lo, exec_lo, s8
	s_cbranch_execnz .LBB84_33
; %bb.34:
	s_or_b32 exec_lo, exec_lo, s8
.LBB84_35:
	s_wait_alu 0xfffe
	s_or_b32 exec_lo, exec_lo, s10
.LBB84_36:
	s_wait_alu 0xfffe
	s_or_b32 exec_lo, exec_lo, s5
.LBB84_37:
	v_mbcnt_lo_u32_b32 v0, -1, 0
	s_mov_b32 s2, -1
	s_delay_alu instid0(VALU_DEP_1) | instskip(SKIP_2) | instid1(VALU_DEP_3)
	v_or_b32_e32 v1, 32, v0
	v_xor_b32_e32 v6, 16, v0
	v_xor_b32_e32 v10, 8, v0
	v_cmp_gt_i32_e32 vcc_lo, 32, v1
	s_wait_alu 0xfffd
	v_cndmask_b32_e32 v1, v0, v1, vcc_lo
	v_cmp_gt_i32_e32 vcc_lo, 32, v6
	s_wait_alu 0xfffd
	v_cndmask_b32_e32 v6, v0, v6, vcc_lo
	v_cmp_gt_i32_e32 vcc_lo, 32, v10
	s_delay_alu instid0(VALU_DEP_2)
	v_lshlrev_b32_e32 v6, 2, v6
	s_wait_alu 0xfffd
	v_dual_cndmask_b32 v10, v0, v10 :: v_dual_lshlrev_b32 v1, 2, v1
	ds_bpermute_b32 v2, v1, v8
	v_lshlrev_b32_e32 v10, 2, v10
	s_wait_dscnt 0x0
	v_add_f32_e32 v2, v8, v2
	ds_bpermute_b32 v3, v1, v24
	ds_bpermute_b32 v5, v1, v23
	;; [unrolled: 1-line block ×4, first 2 shown]
	s_wait_dscnt 0x3
	v_add_f32_e32 v3, v24, v3
	s_wait_dscnt 0x2
	v_add_f32_e32 v5, v23, v5
	s_wait_dscnt 0x1
	v_add_f32_e32 v1, v22, v1
	ds_bpermute_b32 v8, v6, v3
	ds_bpermute_b32 v9, v6, v5
	;; [unrolled: 1-line block ×3, first 2 shown]
	s_wait_dscnt 0x2
	v_dual_add_f32 v2, v2, v7 :: v_dual_add_f32 v3, v3, v8
	s_wait_dscnt 0x1
	v_add_f32_e32 v5, v5, v9
	s_wait_dscnt 0x0
	v_add_f32_e32 v1, v1, v6
	ds_bpermute_b32 v6, v10, v2
	ds_bpermute_b32 v7, v10, v3
	;; [unrolled: 1-line block ×4, first 2 shown]
	v_xor_b32_e32 v10, 4, v0
	s_delay_alu instid0(VALU_DEP_1) | instskip(SKIP_2) | instid1(VALU_DEP_1)
	v_cmp_gt_i32_e32 vcc_lo, 32, v10
	s_wait_alu 0xfffd
	v_cndmask_b32_e32 v10, v0, v10, vcc_lo
	v_lshlrev_b32_e32 v10, 2, v10
	s_wait_dscnt 0x2
	v_dual_add_f32 v2, v2, v6 :: v_dual_add_f32 v3, v3, v7
	s_wait_dscnt 0x1
	v_add_f32_e32 v5, v5, v8
	s_wait_dscnt 0x0
	v_add_f32_e32 v1, v1, v9
	ds_bpermute_b32 v6, v10, v2
	ds_bpermute_b32 v7, v10, v3
	;; [unrolled: 1-line block ×4, first 2 shown]
	v_xor_b32_e32 v10, 2, v0
	s_delay_alu instid0(VALU_DEP_1) | instskip(SKIP_2) | instid1(VALU_DEP_1)
	v_cmp_gt_i32_e32 vcc_lo, 32, v10
	s_wait_alu 0xfffd
	v_cndmask_b32_e32 v10, v0, v10, vcc_lo
	v_lshlrev_b32_e32 v10, 2, v10
	s_wait_dscnt 0x2
	v_dual_add_f32 v2, v2, v6 :: v_dual_add_f32 v3, v3, v7
	s_wait_dscnt 0x1
	v_add_f32_e32 v5, v5, v8
	ds_bpermute_b32 v7, v10, v3
	s_wait_dscnt 0x1
	v_add_f32_e32 v6, v1, v9
	ds_bpermute_b32 v1, v10, v2
	ds_bpermute_b32 v8, v10, v5
	;; [unrolled: 1-line block ×3, first 2 shown]
	v_xor_b32_e32 v10, 1, v0
	s_delay_alu instid0(VALU_DEP_1) | instskip(SKIP_3) | instid1(VALU_DEP_2)
	v_cmp_gt_i32_e32 vcc_lo, 32, v10
	s_wait_alu 0xfffd
	v_cndmask_b32_e32 v0, v0, v10, vcc_lo
	v_cmp_eq_u32_e32 vcc_lo, 63, v21
	v_lshlrev_b32_e32 v10, 2, v0
	s_wait_dscnt 0x2
	v_dual_add_f32 v0, v2, v1 :: v_dual_add_f32 v1, v3, v7
	s_wait_dscnt 0x0
	v_dual_add_f32 v2, v5, v8 :: v_dual_add_f32 v3, v6, v9
	ds_bpermute_b32 v5, v10, v0
	ds_bpermute_b32 v6, v10, v1
	;; [unrolled: 1-line block ×4, first 2 shown]
	s_and_b32 exec_lo, exec_lo, vcc_lo
	s_cbranch_execz .LBB84_10
; %bb.38:
	s_load_b64 s[0:1], s[0:1], 0x50
	s_wait_dscnt 0x2
	v_dual_add_f32 v0, v0, v5 :: v_dual_add_f32 v1, v1, v6
	s_wait_dscnt 0x0
	v_dual_add_f32 v2, v2, v7 :: v_dual_add_f32 v3, v3, v8
	v_lshlrev_b32_e32 v4, 2, v4
	s_delay_alu instid0(VALU_DEP_3) | instskip(NEXT) | instid1(VALU_DEP_3)
	v_dual_mul_f32 v0, s14, v0 :: v_dual_mul_f32 v1, s14, v1
	v_dual_mul_f32 v2, s14, v2 :: v_dual_mul_f32 v3, s14, v3
	s_cmp_eq_f32 s12, 0
	s_cbranch_scc0 .LBB84_40
; %bb.39:
	v_ashrrev_i32_e32 v5, 31, v4
	s_mov_b32 s2, 0
	s_delay_alu instid0(VALU_DEP_1) | instskip(SKIP_1) | instid1(VALU_DEP_1)
	v_lshlrev_b64_e32 v[5:6], 2, v[4:5]
	s_wait_kmcnt 0x0
	v_add_co_u32 v5, vcc_lo, s0, v5
	s_wait_alu 0xfffd
	s_delay_alu instid0(VALU_DEP_2)
	v_add_co_ci_u32_e64 v6, null, s1, v6, vcc_lo
	global_store_b128 v[5:6], v[0:3], off
.LBB84_40:
	s_wait_alu 0xfffe
	s_and_not1_b32 vcc_lo, exec_lo, s2
	s_wait_alu 0xfffe
	s_cbranch_vccnz .LBB84_10
; %bb.41:
	v_ashrrev_i32_e32 v5, 31, v4
	s_delay_alu instid0(VALU_DEP_1) | instskip(SKIP_1) | instid1(VALU_DEP_1)
	v_lshlrev_b64_e32 v[4:5], 2, v[4:5]
	s_wait_kmcnt 0x0
	v_add_co_u32 v8, vcc_lo, s0, v4
	s_wait_alu 0xfffd
	s_delay_alu instid0(VALU_DEP_2)
	v_add_co_ci_u32_e64 v9, null, s1, v5, vcc_lo
	global_load_b128 v[4:7], v[8:9], off
	s_wait_loadcnt 0x0
	v_dual_fmac_f32 v0, s12, v4 :: v_dual_fmac_f32 v1, s12, v5
	v_dual_fmac_f32 v2, s12, v6 :: v_dual_fmac_f32 v3, s12, v7
	global_store_b128 v[8:9], v[0:3], off
	s_nop 0
	s_sendmsg sendmsg(MSG_DEALLOC_VGPRS)
	s_endpgm
	.section	.rodata,"a",@progbits
	.p2align	6, 0x0
	.amdhsa_kernel _ZN9rocsparseL18bsrxmvn_4x4_kernelILj128ELj64EfliaafEEvT3_20rocsparse_direction_NS_24const_host_device_scalarIT1_EES1_PKS1_PKT2_SA_S7_PKT4_PKT5_S5_PT6_21rocsparse_index_base_b
		.amdhsa_group_segment_fixed_size 0
		.amdhsa_private_segment_fixed_size 0
		.amdhsa_kernarg_size 96
		.amdhsa_user_sgpr_count 2
		.amdhsa_user_sgpr_dispatch_ptr 0
		.amdhsa_user_sgpr_queue_ptr 0
		.amdhsa_user_sgpr_kernarg_segment_ptr 1
		.amdhsa_user_sgpr_dispatch_id 0
		.amdhsa_user_sgpr_private_segment_size 0
		.amdhsa_wavefront_size32 1
		.amdhsa_uses_dynamic_stack 0
		.amdhsa_enable_private_segment 0
		.amdhsa_system_sgpr_workgroup_id_x 1
		.amdhsa_system_sgpr_workgroup_id_y 0
		.amdhsa_system_sgpr_workgroup_id_z 0
		.amdhsa_system_sgpr_workgroup_info 0
		.amdhsa_system_vgpr_workitem_id 0
		.amdhsa_next_free_vgpr 99
		.amdhsa_next_free_sgpr 18
		.amdhsa_reserve_vcc 1
		.amdhsa_float_round_mode_32 0
		.amdhsa_float_round_mode_16_64 0
		.amdhsa_float_denorm_mode_32 3
		.amdhsa_float_denorm_mode_16_64 3
		.amdhsa_fp16_overflow 0
		.amdhsa_workgroup_processor_mode 1
		.amdhsa_memory_ordered 1
		.amdhsa_forward_progress 1
		.amdhsa_inst_pref_size 50
		.amdhsa_round_robin_scheduling 0
		.amdhsa_exception_fp_ieee_invalid_op 0
		.amdhsa_exception_fp_denorm_src 0
		.amdhsa_exception_fp_ieee_div_zero 0
		.amdhsa_exception_fp_ieee_overflow 0
		.amdhsa_exception_fp_ieee_underflow 0
		.amdhsa_exception_fp_ieee_inexact 0
		.amdhsa_exception_int_div_zero 0
	.end_amdhsa_kernel
	.section	.text._ZN9rocsparseL18bsrxmvn_4x4_kernelILj128ELj64EfliaafEEvT3_20rocsparse_direction_NS_24const_host_device_scalarIT1_EES1_PKS1_PKT2_SA_S7_PKT4_PKT5_S5_PT6_21rocsparse_index_base_b,"axG",@progbits,_ZN9rocsparseL18bsrxmvn_4x4_kernelILj128ELj64EfliaafEEvT3_20rocsparse_direction_NS_24const_host_device_scalarIT1_EES1_PKS1_PKT2_SA_S7_PKT4_PKT5_S5_PT6_21rocsparse_index_base_b,comdat
.Lfunc_end84:
	.size	_ZN9rocsparseL18bsrxmvn_4x4_kernelILj128ELj64EfliaafEEvT3_20rocsparse_direction_NS_24const_host_device_scalarIT1_EES1_PKS1_PKT2_SA_S7_PKT4_PKT5_S5_PT6_21rocsparse_index_base_b, .Lfunc_end84-_ZN9rocsparseL18bsrxmvn_4x4_kernelILj128ELj64EfliaafEEvT3_20rocsparse_direction_NS_24const_host_device_scalarIT1_EES1_PKS1_PKT2_SA_S7_PKT4_PKT5_S5_PT6_21rocsparse_index_base_b
                                        ; -- End function
	.set _ZN9rocsparseL18bsrxmvn_4x4_kernelILj128ELj64EfliaafEEvT3_20rocsparse_direction_NS_24const_host_device_scalarIT1_EES1_PKS1_PKT2_SA_S7_PKT4_PKT5_S5_PT6_21rocsparse_index_base_b.num_vgpr, 99
	.set _ZN9rocsparseL18bsrxmvn_4x4_kernelILj128ELj64EfliaafEEvT3_20rocsparse_direction_NS_24const_host_device_scalarIT1_EES1_PKS1_PKT2_SA_S7_PKT4_PKT5_S5_PT6_21rocsparse_index_base_b.num_agpr, 0
	.set _ZN9rocsparseL18bsrxmvn_4x4_kernelILj128ELj64EfliaafEEvT3_20rocsparse_direction_NS_24const_host_device_scalarIT1_EES1_PKS1_PKT2_SA_S7_PKT4_PKT5_S5_PT6_21rocsparse_index_base_b.numbered_sgpr, 18
	.set _ZN9rocsparseL18bsrxmvn_4x4_kernelILj128ELj64EfliaafEEvT3_20rocsparse_direction_NS_24const_host_device_scalarIT1_EES1_PKS1_PKT2_SA_S7_PKT4_PKT5_S5_PT6_21rocsparse_index_base_b.num_named_barrier, 0
	.set _ZN9rocsparseL18bsrxmvn_4x4_kernelILj128ELj64EfliaafEEvT3_20rocsparse_direction_NS_24const_host_device_scalarIT1_EES1_PKS1_PKT2_SA_S7_PKT4_PKT5_S5_PT6_21rocsparse_index_base_b.private_seg_size, 0
	.set _ZN9rocsparseL18bsrxmvn_4x4_kernelILj128ELj64EfliaafEEvT3_20rocsparse_direction_NS_24const_host_device_scalarIT1_EES1_PKS1_PKT2_SA_S7_PKT4_PKT5_S5_PT6_21rocsparse_index_base_b.uses_vcc, 1
	.set _ZN9rocsparseL18bsrxmvn_4x4_kernelILj128ELj64EfliaafEEvT3_20rocsparse_direction_NS_24const_host_device_scalarIT1_EES1_PKS1_PKT2_SA_S7_PKT4_PKT5_S5_PT6_21rocsparse_index_base_b.uses_flat_scratch, 0
	.set _ZN9rocsparseL18bsrxmvn_4x4_kernelILj128ELj64EfliaafEEvT3_20rocsparse_direction_NS_24const_host_device_scalarIT1_EES1_PKS1_PKT2_SA_S7_PKT4_PKT5_S5_PT6_21rocsparse_index_base_b.has_dyn_sized_stack, 0
	.set _ZN9rocsparseL18bsrxmvn_4x4_kernelILj128ELj64EfliaafEEvT3_20rocsparse_direction_NS_24const_host_device_scalarIT1_EES1_PKS1_PKT2_SA_S7_PKT4_PKT5_S5_PT6_21rocsparse_index_base_b.has_recursion, 0
	.set _ZN9rocsparseL18bsrxmvn_4x4_kernelILj128ELj64EfliaafEEvT3_20rocsparse_direction_NS_24const_host_device_scalarIT1_EES1_PKS1_PKT2_SA_S7_PKT4_PKT5_S5_PT6_21rocsparse_index_base_b.has_indirect_call, 0
	.section	.AMDGPU.csdata,"",@progbits
; Kernel info:
; codeLenInByte = 6328
; TotalNumSgprs: 20
; NumVgprs: 99
; ScratchSize: 0
; MemoryBound: 0
; FloatMode: 240
; IeeeMode: 1
; LDSByteSize: 0 bytes/workgroup (compile time only)
; SGPRBlocks: 0
; VGPRBlocks: 12
; NumSGPRsForWavesPerEU: 20
; NumVGPRsForWavesPerEU: 99
; Occupancy: 12
; WaveLimiterHint : 1
; COMPUTE_PGM_RSRC2:SCRATCH_EN: 0
; COMPUTE_PGM_RSRC2:USER_SGPR: 2
; COMPUTE_PGM_RSRC2:TRAP_HANDLER: 0
; COMPUTE_PGM_RSRC2:TGID_X_EN: 1
; COMPUTE_PGM_RSRC2:TGID_Y_EN: 0
; COMPUTE_PGM_RSRC2:TGID_Z_EN: 0
; COMPUTE_PGM_RSRC2:TIDIG_COMP_CNT: 0
	.section	.text._ZN9rocsparseL18bsrxmvn_4x4_kernelILj128ELj4EfllaafEEvT3_20rocsparse_direction_NS_24const_host_device_scalarIT1_EES1_PKS1_PKT2_SA_S7_PKT4_PKT5_S5_PT6_21rocsparse_index_base_b,"axG",@progbits,_ZN9rocsparseL18bsrxmvn_4x4_kernelILj128ELj4EfllaafEEvT3_20rocsparse_direction_NS_24const_host_device_scalarIT1_EES1_PKS1_PKT2_SA_S7_PKT4_PKT5_S5_PT6_21rocsparse_index_base_b,comdat
	.globl	_ZN9rocsparseL18bsrxmvn_4x4_kernelILj128ELj4EfllaafEEvT3_20rocsparse_direction_NS_24const_host_device_scalarIT1_EES1_PKS1_PKT2_SA_S7_PKT4_PKT5_S5_PT6_21rocsparse_index_base_b ; -- Begin function _ZN9rocsparseL18bsrxmvn_4x4_kernelILj128ELj4EfllaafEEvT3_20rocsparse_direction_NS_24const_host_device_scalarIT1_EES1_PKS1_PKT2_SA_S7_PKT4_PKT5_S5_PT6_21rocsparse_index_base_b
	.p2align	8
	.type	_ZN9rocsparseL18bsrxmvn_4x4_kernelILj128ELj4EfllaafEEvT3_20rocsparse_direction_NS_24const_host_device_scalarIT1_EES1_PKS1_PKT2_SA_S7_PKT4_PKT5_S5_PT6_21rocsparse_index_base_b,@function
_ZN9rocsparseL18bsrxmvn_4x4_kernelILj128ELj4EfllaafEEvT3_20rocsparse_direction_NS_24const_host_device_scalarIT1_EES1_PKS1_PKT2_SA_S7_PKT4_PKT5_S5_PT6_21rocsparse_index_base_b: ; @_ZN9rocsparseL18bsrxmvn_4x4_kernelILj128ELj4EfllaafEEvT3_20rocsparse_direction_NS_24const_host_device_scalarIT1_EES1_PKS1_PKT2_SA_S7_PKT4_PKT5_S5_PT6_21rocsparse_index_base_b
; %bb.0:
	s_clause 0x2
	s_load_b64 s[2:3], s[0:1], 0x60
	s_load_b128 s[12:15], s[0:1], 0x10
	s_load_b64 s[16:17], s[0:1], 0x50
	s_wait_kmcnt 0x0
	s_bitcmp1_b32 s3, 0
	s_cselect_b32 s3, -1, 0
	s_delay_alu instid0(SALU_CYCLE_1)
	s_and_b32 vcc_lo, exec_lo, s3
	s_xor_b32 s3, s3, -1
	s_cbranch_vccnz .LBB85_2
; %bb.1:
	s_load_b32 s12, s[12:13], 0x0
.LBB85_2:
	s_and_not1_b32 vcc_lo, exec_lo, s3
	s_cbranch_vccnz .LBB85_4
; %bb.3:
	s_load_b32 s16, s[16:17], 0x0
.LBB85_4:
	s_wait_kmcnt 0x0
	s_cmp_neq_f32 s12, 0
	s_mov_b32 s6, 0
	s_cselect_b32 s3, -1, 0
	s_cmp_neq_f32 s16, 1.0
	s_cselect_b32 s4, -1, 0
	s_delay_alu instid0(SALU_CYCLE_1) | instskip(NEXT) | instid1(SALU_CYCLE_1)
	s_or_b32 s3, s3, s4
	s_and_not1_b32 vcc_lo, exec_lo, s3
	s_cbranch_vccnz .LBB85_10
; %bb.5:
	s_load_b64 s[4:5], s[0:1], 0x20
	v_lshrrev_b32_e32 v1, 2, v0
	v_mov_b32_e32 v6, 0
	s_delay_alu instid0(VALU_DEP_2)
	v_lshl_or_b32 v5, ttmp9, 5, v1
	s_wait_kmcnt 0x0
	s_cmp_lg_u64 s[4:5], 0
	s_cbranch_scc0 .LBB85_11
; %bb.6:
	s_mov_b32 s7, 0
                                        ; implicit-def: $vgpr3_vgpr4
                                        ; implicit-def: $vgpr1_vgpr2
	s_mov_b32 s3, exec_lo
	v_cmpx_gt_i64_e64 s[14:15], v[5:6]
	s_xor_b32 s8, exec_lo, s3
	s_cbranch_execz .LBB85_8
; %bb.7:
	v_lshlrev_b64_e32 v[1:2], 3, v[5:6]
	s_mov_b32 s3, 0
	s_mov_b32 s6, exec_lo
	s_delay_alu instid0(VALU_DEP_1) | instskip(NEXT) | instid1(VALU_DEP_1)
	v_add_co_u32 v1, vcc_lo, s4, v1
	v_add_co_ci_u32_e64 v2, null, s5, v2, vcc_lo
	global_load_b64 v[1:2], v[1:2], off
	s_wait_loadcnt 0x0
	v_sub_co_u32 v3, vcc_lo, v1, s2
	s_wait_alu 0xfffd
	v_subrev_co_ci_u32_e64 v4, null, 0, v2, vcc_lo
	v_dual_mov_b32 v1, s2 :: v_dual_mov_b32 v2, s3
.LBB85_8:
	s_or_b32 exec_lo, exec_lo, s8
	s_delay_alu instid0(SALU_CYCLE_1)
	s_and_b32 vcc_lo, exec_lo, s7
	s_wait_alu 0xfffe
	s_cbranch_vccnz .LBB85_12
.LBB85_9:
	s_and_saveexec_b32 s2, s6
	s_cbranch_execnz .LBB85_15
.LBB85_10:
	s_nop 0
	s_sendmsg sendmsg(MSG_DEALLOC_VGPRS)
	s_endpgm
.LBB85_11:
                                        ; implicit-def: $vgpr3_vgpr4
                                        ; implicit-def: $vgpr1_vgpr2
	s_cbranch_execz .LBB85_9
.LBB85_12:
	s_load_b64 s[4:5], s[0:1], 0x0
	s_wait_kmcnt 0x0
	v_cmp_gt_i64_e32 vcc_lo, s[4:5], v[5:6]
	s_and_saveexec_b32 s4, vcc_lo
; %bb.13:
	s_mov_b32 s3, 0
	s_or_b32 s6, s6, exec_lo
; %bb.14:
	s_wait_alu 0xfffe
	s_or_b32 exec_lo, exec_lo, s4
	v_dual_mov_b32 v1, s2 :: v_dual_mov_b32 v2, s3
	v_dual_mov_b32 v3, v5 :: v_dual_mov_b32 v4, v6
	s_and_saveexec_b32 s2, s6
	s_cbranch_execz .LBB85_10
.LBB85_15:
	s_load_b256 s[4:11], s[0:1], 0x28
	s_delay_alu instid0(VALU_DEP_1) | instskip(SKIP_3) | instid1(VALU_DEP_2)
	v_lshlrev_b64_e32 v[5:6], 3, v[3:4]
	v_dual_mov_b32 v25, 0 :: v_dual_and_b32 v0, 3, v0
	s_load_b32 s3, s[0:1], 0x8
	s_wait_kmcnt 0x0
	v_add_co_u32 v7, vcc_lo, s4, v5
	s_wait_alu 0xfffd
	v_add_co_ci_u32_e64 v8, null, s5, v6, vcc_lo
	v_add_co_u32 v5, vcc_lo, s6, v5
	s_wait_alu 0xfffd
	v_add_co_ci_u32_e64 v6, null, s7, v6, vcc_lo
	v_add_co_u32 v9, vcc_lo, v7, 8
	global_load_b64 v[13:14], v[7:8], off
	s_wait_alu 0xfffd
	v_add_co_ci_u32_e64 v10, null, 0, v8, vcc_lo
	s_cmp_eq_u64 s[6:7], 0
	s_load_b64 s[4:5], s[0:1], 0x48
	s_cselect_b32 vcc_lo, -1, 0
	s_cmp_eq_u32 s3, 1
	s_wait_alu 0xfffe
	v_dual_cndmask_b32 v6, v6, v10 :: v_dual_cndmask_b32 v5, v5, v9
	global_load_b64 v[7:8], v[5:6], off
	s_wait_loadcnt 0x1
	v_sub_co_u32 v5, vcc_lo, v13, v1
	s_wait_alu 0xfffd
	v_sub_co_ci_u32_e64 v6, null, v14, v2, vcc_lo
	s_delay_alu instid0(VALU_DEP_2) | instskip(SKIP_1) | instid1(VALU_DEP_2)
	v_add_co_u32 v5, vcc_lo, v5, v0
	s_wait_alu 0xfffd
	v_add_co_ci_u32_e64 v6, null, 0, v6, vcc_lo
	s_delay_alu instid0(VALU_DEP_1) | instskip(SKIP_4) | instid1(VALU_DEP_3)
	v_lshlrev_b64_e32 v[9:10], 4, v[5:6]
	s_wait_loadcnt 0x0
	v_sub_co_u32 v7, vcc_lo, v7, v1
	s_wait_alu 0xfffd
	v_sub_co_ci_u32_e64 v8, null, v8, v2, vcc_lo
	v_add_co_u32 v9, vcc_lo, s10, v9
	s_delay_alu instid0(VALU_DEP_2)
	v_cmp_lt_i64_e64 s2, v[5:6], v[7:8]
	s_wait_alu 0xfffd
	v_add_co_ci_u32_e64 v10, null, s11, v10, vcc_lo
	s_cbranch_scc1 .LBB85_27
; %bb.16:
	v_dual_mov_b32 v26, 0 :: v_dual_mov_b32 v27, 0
	v_mov_b32_e32 v12, 0
	s_and_saveexec_b32 s6, s2
	s_cbranch_execz .LBB85_26
; %bb.17:
	v_or_b32_e32 v11, 4, v0
	v_not_b32_e32 v16, v13
	v_sub_co_u32 v17, s3, v1, v0
	v_not_b32_e32 v15, v14
	s_delay_alu instid0(VALU_DEP_4)
	v_sub_co_u32 v11, vcc_lo, v11, v1
	s_wait_alu 0xfffd
	v_sub_co_ci_u32_e64 v12, null, 0, v2, vcc_lo
	s_wait_alu 0xf1ff
	v_subrev_co_ci_u32_e64 v18, null, 0, v2, s3
	v_add_co_u32 v11, vcc_lo, v11, v13
	s_wait_alu 0xfffd
	v_add_co_ci_u32_e64 v12, null, v12, v14, vcc_lo
	s_mov_b32 s3, exec_lo
	v_cmp_gt_i64_e32 vcc_lo, v[11:12], v[7:8]
	s_wait_alu 0xfffd
	v_dual_cndmask_b32 v20, v8, v12 :: v_dual_cndmask_b32 v11, v7, v11
	v_add_co_u32 v12, vcc_lo, v17, v16
	s_wait_alu 0xfffd
	v_add_co_ci_u32_e64 v15, null, v18, v15, vcc_lo
	v_mov_b32_e32 v18, v10
	s_delay_alu instid0(VALU_DEP_3) | instskip(SKIP_3) | instid1(VALU_DEP_3)
	v_add_co_u32 v19, vcc_lo, v12, v11
	v_mov_b32_e32 v12, 0
	s_wait_alu 0xfffd
	v_add_co_ci_u32_e64 v20, null, v15, v20, vcc_lo
	v_dual_mov_b32 v16, v6 :: v_dual_and_b32 v11, 12, v19
	s_delay_alu instid0(VALU_DEP_3)
	v_mov_b32_e32 v25, v12
	v_mov_b32_e32 v15, v5
	v_dual_mov_b32 v27, v12 :: v_dual_mov_b32 v26, v12
	v_mov_b32_e32 v17, v9
	v_cmpx_ne_u64_e32 12, v[11:12]
	s_cbranch_execz .LBB85_21
; %bb.18:
	v_lshrrev_b32_e32 v11, 2, v19
	v_dual_mov_b32 v25, 0 :: v_dual_mov_b32 v18, v10
	v_dual_mov_b32 v17, v9 :: v_dual_mov_b32 v26, 0
	s_delay_alu instid0(VALU_DEP_3) | instskip(SKIP_3) | instid1(VALU_DEP_4)
	v_dual_mov_b32 v16, v6 :: v_dual_add_nc_u32 v21, 1, v11
	v_lshlrev_b64_e32 v[11:12], 3, v[5:6]
	v_mov_b32_e32 v15, v5
	v_mov_b32_e32 v27, 0
	v_and_b32_e32 v23, 3, v21
	s_delay_alu instid0(VALU_DEP_4) | instskip(NEXT) | instid1(VALU_DEP_2)
	v_add_co_u32 v21, vcc_lo, s8, v11
	v_sub_co_u32 v23, s7, 0, v23
	s_wait_alu 0xfffd
	v_add_co_ci_u32_e64 v22, null, s9, v12, vcc_lo
	s_wait_alu 0xf1ff
	v_sub_co_ci_u32_e64 v24, null, 0, 0, s7
	v_mov_b32_e32 v12, 0
	s_mov_b32 s7, 0
.LBB85_19:                              ; =>This Inner Loop Header: Depth=1
	global_load_b64 v[28:29], v[21:22], off
	s_wait_loadcnt 0x0
	v_sub_co_u32 v28, vcc_lo, v28, v1
	s_wait_alu 0xfffd
	v_sub_co_ci_u32_e64 v29, null, v29, v2, vcc_lo
	s_delay_alu instid0(VALU_DEP_1) | instskip(SKIP_1) | instid1(VALU_DEP_1)
	v_lshlrev_b64_e32 v[28:29], 2, v[28:29]
	s_wait_kmcnt 0x0
	v_add_co_u32 v32, vcc_lo, s4, v28
	s_wait_alu 0xfffd
	s_delay_alu instid0(VALU_DEP_2)
	v_add_co_ci_u32_e64 v33, null, s5, v29, vcc_lo
	global_load_b128 v[28:31], v[17:18], off
	global_load_b32 v11, v[32:33], off
	v_add_co_u32 v17, vcc_lo, v17, 64
	s_wait_alu 0xfffd
	v_add_co_ci_u32_e64 v18, null, 0, v18, vcc_lo
	v_add_co_u32 v15, vcc_lo, v15, 4
	s_wait_alu 0xfffd
	v_add_co_ci_u32_e64 v16, null, 0, v16, vcc_lo
	;; [unrolled: 3-line block ×4, first 2 shown]
	s_delay_alu instid0(VALU_DEP_1)
	v_cmp_eq_u64_e32 vcc_lo, 0, v[23:24]
	s_wait_alu 0xfffe
	s_or_b32 s7, vcc_lo, s7
	s_wait_loadcnt 0x1
	v_bfe_i32 v32, v28, 0, 8
	v_bfe_i32 v41, v31, 0, 8
	s_wait_loadcnt 0x0
	v_bfe_i32 v44, v11, 0, 8
	v_bfe_i32 v33, v28, 8, 8
	;; [unrolled: 1-line block ×6, first 2 shown]
	v_cvt_f32_i32_e32 v32, v32
	v_cvt_f32_i32_e32 v41, v41
	v_bfe_i32 v45, v11, 8, 8
	v_cvt_f32_i32_e32 v44, v44
	v_bfe_i32 v36, v29, 8, 8
	v_cvt_f32_i32_e32 v33, v33
	v_cvt_f32_i32_e32 v35, v35
	;; [unrolled: 1-line block ×6, first 2 shown]
	v_fmac_f32_e32 v25, v41, v44
	v_fmac_f32_e32 v12, v32, v44
	v_bfe_i32 v34, v28, 16, 8
	v_bfe_i32 v37, v29, 16, 8
	;; [unrolled: 1-line block ×4, first 2 shown]
	v_cvt_f32_i32_e32 v36, v36
	v_bfe_i32 v46, v11, 16, 8
	v_fmac_f32_e32 v25, v42, v45
	v_dual_fmac_f32 v27, v35, v44 :: v_dual_fmac_f32 v12, v33, v45
	v_fmac_f32_e32 v26, v38, v44
	v_ashrrev_i32_e32 v28, 24, v28
	v_ashrrev_i32_e32 v29, 24, v29
	;; [unrolled: 1-line block ×4, first 2 shown]
	v_cvt_f32_i32_e32 v34, v34
	v_cvt_f32_i32_e32 v37, v37
	;; [unrolled: 1-line block ×4, first 2 shown]
	v_ashrrev_i32_e32 v11, 24, v11
	v_cvt_f32_i32_e32 v32, v46
	v_fmac_f32_e32 v27, v36, v45
	v_fmac_f32_e32 v26, v39, v45
	v_cvt_f32_i32_e32 v28, v28
	v_cvt_f32_i32_e32 v29, v29
	;; [unrolled: 1-line block ×5, first 2 shown]
	v_fmac_f32_e32 v27, v37, v32
	v_fmac_f32_e32 v12, v34, v32
	;; [unrolled: 1-line block ×3, first 2 shown]
	s_delay_alu instid0(VALU_DEP_3) | instskip(NEXT) | instid1(VALU_DEP_3)
	v_dual_fmac_f32 v26, v40, v32 :: v_dual_fmac_f32 v27, v29, v11
	v_fmac_f32_e32 v12, v28, v11
	s_delay_alu instid0(VALU_DEP_3) | instskip(NEXT) | instid1(VALU_DEP_3)
	v_fmac_f32_e32 v25, v31, v11
	v_fmac_f32_e32 v26, v30, v11
	s_wait_alu 0xfffe
	s_and_not1_b32 exec_lo, exec_lo, s7
	s_cbranch_execnz .LBB85_19
; %bb.20:
	s_or_b32 exec_lo, exec_lo, s7
.LBB85_21:
	s_wait_alu 0xfffe
	s_or_b32 exec_lo, exec_lo, s3
	s_delay_alu instid0(SALU_CYCLE_1)
	s_mov_b32 s3, exec_lo
	v_cmpx_lt_u64_e32 11, v[19:20]
	s_cbranch_execz .LBB85_25
; %bb.22:
	v_lshlrev_b64_e32 v[19:20], 3, v[15:16]
	s_mov_b32 s7, 0
	s_delay_alu instid0(VALU_DEP_1) | instskip(SKIP_1) | instid1(VALU_DEP_2)
	v_add_co_u32 v11, vcc_lo, s8, v19
	s_wait_alu 0xfffd
	v_add_co_ci_u32_e64 v20, null, s9, v20, vcc_lo
	s_delay_alu instid0(VALU_DEP_2) | instskip(SKIP_1) | instid1(VALU_DEP_2)
	v_add_co_u32 v19, vcc_lo, v11, 64
	s_wait_alu 0xfffd
	v_add_co_ci_u32_e64 v20, null, 0, v20, vcc_lo
.LBB85_23:                              ; =>This Inner Loop Header: Depth=1
	s_clause 0x3
	global_load_b64 v[40:41], v[19:20], off offset:-64
	global_load_b64 v[42:43], v[19:20], off offset:-32
	global_load_b64 v[44:45], v[19:20], off
	global_load_b64 v[46:47], v[19:20], off offset:32
	s_clause 0x3
	global_load_b128 v[21:24], v[17:18], off
	global_load_b128 v[28:31], v[17:18], off offset:64
	global_load_b128 v[32:35], v[17:18], off offset:128
	;; [unrolled: 1-line block ×3, first 2 shown]
	s_wait_loadcnt 0x7
	v_sub_co_u32 v40, vcc_lo, v40, v1
	s_wait_alu 0xfffd
	v_sub_co_ci_u32_e64 v41, null, v41, v2, vcc_lo
	s_wait_loadcnt 0x6
	v_sub_co_u32 v42, vcc_lo, v42, v1
	s_wait_alu 0xfffd
	v_sub_co_ci_u32_e64 v43, null, v43, v2, vcc_lo
	s_wait_loadcnt 0x5
	v_sub_co_u32 v44, vcc_lo, v44, v1
	s_wait_alu 0xfffd
	v_sub_co_ci_u32_e64 v45, null, v45, v2, vcc_lo
	s_wait_loadcnt 0x4
	v_sub_co_u32 v46, vcc_lo, v46, v1
	v_lshlrev_b64_e32 v[40:41], 2, v[40:41]
	s_wait_alu 0xfffd
	v_sub_co_ci_u32_e64 v47, null, v47, v2, vcc_lo
	v_lshlrev_b64_e32 v[42:43], 2, v[42:43]
	v_lshlrev_b64_e32 v[44:45], 2, v[44:45]
	s_wait_loadcnt 0x3
	v_bfe_i32 v52, v24, 0, 8
	v_lshlrev_b64_e32 v[46:47], 2, v[46:47]
	s_wait_kmcnt 0x0
	v_add_co_u32 v40, vcc_lo, s4, v40
	s_wait_alu 0xfffd
	v_add_co_ci_u32_e64 v41, null, s5, v41, vcc_lo
	v_add_co_u32 v42, vcc_lo, s4, v42
	s_wait_alu 0xfffd
	v_add_co_ci_u32_e64 v43, null, s5, v43, vcc_lo
	;; [unrolled: 3-line block ×4, first 2 shown]
	s_clause 0x3
	global_load_b32 v11, v[40:41], off
	global_load_b32 v40, v[42:43], off
	global_load_b32 v41, v[44:45], off
	global_load_b32 v42, v[46:47], off
	v_bfe_i32 v43, v21, 0, 8
	v_bfe_i32 v44, v21, 8, 8
	;; [unrolled: 1-line block ×6, first 2 shown]
	v_cvt_f32_i32_e32 v43, v43
	v_cvt_f32_i32_e32 v52, v52
	v_bfe_i32 v45, v21, 16, 8
	v_bfe_i32 v47, v22, 8, 8
	v_cvt_f32_i32_e32 v44, v44
	v_cvt_f32_i32_e32 v46, v46
	;; [unrolled: 1-line block ×5, first 2 shown]
	v_ashrrev_i32_e32 v21, 24, v21
	v_bfe_i32 v48, v22, 16, 8
	v_bfe_i32 v51, v23, 16, 8
	v_bfe_i32 v54, v24, 16, 8
	s_wait_loadcnt 0x6
	v_bfe_i32 v60, v29, 16, 8
	v_cvt_f32_i32_e32 v45, v45
	v_cvt_f32_i32_e32 v47, v47
	v_ashrrev_i32_e32 v22, 24, v22
	v_ashrrev_i32_e32 v23, 24, v23
	;; [unrolled: 1-line block ×3, first 2 shown]
	v_bfe_i32 v57, v28, 16, 8
	v_bfe_i32 v63, v30, 16, 8
	v_bfe_i32 v66, v31, 16, 8
	s_wait_loadcnt 0x5
	v_bfe_i32 v70, v33, 0, 8
	v_cvt_f32_i32_e32 v21, v21
	v_cvt_f32_i32_e32 v48, v48
	;; [unrolled: 1-line block ×5, first 2 shown]
	v_bfe_i32 v55, v28, 0, 8
	v_bfe_i32 v58, v29, 0, 8
	;; [unrolled: 1-line block ×7, first 2 shown]
	v_cvt_f32_i32_e32 v22, v22
	v_cvt_f32_i32_e32 v23, v23
	;; [unrolled: 1-line block ×7, first 2 shown]
	v_bfe_i32 v56, v28, 8, 8
	v_bfe_i32 v59, v29, 8, 8
	;; [unrolled: 1-line block ×8, first 2 shown]
	v_cvt_f32_i32_e32 v55, v55
	v_cvt_f32_i32_e32 v58, v58
	;; [unrolled: 1-line block ×7, first 2 shown]
	s_wait_loadcnt 0x4
	v_bfe_i32 v79, v36, 0, 8
	v_bfe_i32 v82, v37, 0, 8
	;; [unrolled: 1-line block ×4, first 2 shown]
	v_cvt_f32_i32_e32 v56, v56
	v_cvt_f32_i32_e32 v59, v59
	;; [unrolled: 1-line block ×8, first 2 shown]
	v_ashrrev_i32_e32 v28, 24, v28
	v_ashrrev_i32_e32 v29, 24, v29
	;; [unrolled: 1-line block ×4, first 2 shown]
	v_cvt_f32_i32_e32 v79, v79
	v_cvt_f32_i32_e32 v82, v82
	;; [unrolled: 1-line block ×4, first 2 shown]
	v_bfe_i32 v81, v36, 16, 8
	v_bfe_i32 v84, v37, 16, 8
	;; [unrolled: 1-line block ×4, first 2 shown]
	v_cvt_f32_i32_e32 v28, v28
	v_cvt_f32_i32_e32 v29, v29
	;; [unrolled: 1-line block ×4, first 2 shown]
	v_bfe_i32 v68, v32, 8, 8
	v_bfe_i32 v71, v33, 8, 8
	;; [unrolled: 1-line block ×4, first 2 shown]
	v_cvt_f32_i32_e32 v81, v81
	v_cvt_f32_i32_e32 v84, v84
	;; [unrolled: 1-line block ×8, first 2 shown]
	v_ashrrev_i32_e32 v32, 24, v32
	v_ashrrev_i32_e32 v33, 24, v33
	;; [unrolled: 1-line block ×4, first 2 shown]
	v_bfe_i32 v80, v36, 8, 8
	v_cvt_f32_i32_e32 v32, v32
	v_cvt_f32_i32_e32 v33, v33
	;; [unrolled: 1-line block ×4, first 2 shown]
	v_bfe_i32 v83, v37, 8, 8
	v_bfe_i32 v86, v38, 8, 8
	;; [unrolled: 1-line block ×3, first 2 shown]
	v_cvt_f32_i32_e32 v80, v80
	v_add_co_u32 v17, vcc_lo, 0x100, v17
	v_cvt_f32_i32_e32 v83, v83
	v_cvt_f32_i32_e32 v86, v86
	;; [unrolled: 1-line block ×3, first 2 shown]
	s_wait_alu 0xfffd
	v_add_co_ci_u32_e64 v18, null, 0, v18, vcc_lo
	v_add_co_u32 v15, vcc_lo, v15, 16
	v_ashrrev_i32_e32 v36, 24, v36
	v_ashrrev_i32_e32 v37, 24, v37
	;; [unrolled: 1-line block ×4, first 2 shown]
	s_wait_alu 0xfffd
	v_add_co_ci_u32_e64 v16, null, 0, v16, vcc_lo
	v_add_co_u32 v19, vcc_lo, 0x80, v19
	v_cvt_f32_i32_e32 v36, v36
	v_cvt_f32_i32_e32 v37, v37
	;; [unrolled: 1-line block ×4, first 2 shown]
	s_wait_alu 0xfffd
	v_add_co_ci_u32_e64 v20, null, 0, v20, vcc_lo
	v_cmp_ge_i64_e32 vcc_lo, v[15:16], v[7:8]
	s_wait_alu 0xfffe
	s_or_b32 s7, vcc_lo, s7
	s_wait_loadcnt 0x3
	v_bfe_i32 v91, v11, 0, 8
	v_bfe_i32 v92, v11, 8, 8
	;; [unrolled: 1-line block ×3, first 2 shown]
	v_ashrrev_i32_e32 v11, 24, v11
	s_wait_loadcnt 0x2
	v_bfe_i32 v96, v40, 16, 8
	v_cvt_f32_i32_e32 v91, v91
	v_cvt_f32_i32_e32 v92, v92
	v_bfe_i32 v94, v40, 0, 8
	v_cvt_f32_i32_e32 v11, v11
	v_bfe_i32 v95, v40, 8, 8
	v_fmac_f32_e32 v25, v52, v91
	v_fmac_f32_e32 v12, v43, v91
	v_cvt_f32_i32_e32 v43, v93
	v_ashrrev_i32_e32 v40, 24, v40
	s_wait_loadcnt 0x1
	v_bfe_i32 v97, v41, 0, 8
	v_fmac_f32_e32 v25, v53, v92
	v_dual_fmac_f32 v27, v46, v91 :: v_dual_fmac_f32 v12, v44, v92
	v_fmac_f32_e32 v26, v49, v91
	v_bfe_i32 v98, v41, 8, 8
	v_bfe_i32 v99, v41, 16, 8
	s_delay_alu instid0(VALU_DEP_4) | instskip(NEXT) | instid1(VALU_DEP_4)
	v_dual_fmac_f32 v27, v47, v92 :: v_dual_fmac_f32 v12, v45, v43
	v_fmac_f32_e32 v26, v50, v92
	v_ashrrev_i32_e32 v41, 24, v41
	s_wait_loadcnt 0x0
	v_bfe_i32 v100, v42, 0, 8
	v_bfe_i32 v101, v42, 8, 8
	v_fmac_f32_e32 v12, v21, v11
	v_cvt_f32_i32_e32 v21, v96
	v_fmac_f32_e32 v27, v48, v43
	v_fmac_f32_e32 v26, v51, v43
	;; [unrolled: 1-line block ×3, first 2 shown]
	v_cvt_f32_i32_e32 v43, v94
	v_bfe_i32 v102, v42, 16, 8
	v_fmac_f32_e32 v27, v22, v11
	v_fmac_f32_e32 v26, v23, v11
	;; [unrolled: 1-line block ×3, first 2 shown]
	v_cvt_f32_i32_e32 v11, v95
	v_fmac_f32_e32 v12, v55, v43
	v_fmac_f32_e32 v27, v58, v43
	;; [unrolled: 1-line block ×4, first 2 shown]
	v_ashrrev_i32_e32 v42, 24, v42
	v_fmac_f32_e32 v12, v56, v11
	v_fmac_f32_e32 v27, v59, v11
	v_fmac_f32_e32 v26, v62, v11
	v_fmac_f32_e32 v25, v65, v11
	v_cvt_f32_i32_e32 v11, v40
	v_fmac_f32_e32 v12, v57, v21
	v_fmac_f32_e32 v27, v60, v21
	v_fmac_f32_e32 v26, v63, v21
	v_fmac_f32_e32 v25, v66, v21
	v_cvt_f32_i32_e32 v21, v97
	;; [unrolled: 5-line block ×9, first 2 shown]
	v_fmac_f32_e32 v12, v81, v21
	v_fmac_f32_e32 v27, v84, v21
	;; [unrolled: 1-line block ×3, first 2 shown]
	s_delay_alu instid0(VALU_DEP_3) | instskip(NEXT) | instid1(VALU_DEP_3)
	v_dual_fmac_f32 v25, v90, v21 :: v_dual_fmac_f32 v12, v36, v11
	v_fmac_f32_e32 v27, v37, v11
	s_delay_alu instid0(VALU_DEP_3) | instskip(NEXT) | instid1(VALU_DEP_3)
	v_fmac_f32_e32 v26, v38, v11
	v_fmac_f32_e32 v25, v39, v11
	s_wait_alu 0xfffe
	s_and_not1_b32 exec_lo, exec_lo, s7
	s_cbranch_execnz .LBB85_23
; %bb.24:
	s_or_b32 exec_lo, exec_lo, s7
.LBB85_25:
	s_wait_alu 0xfffe
	s_or_b32 exec_lo, exec_lo, s3
.LBB85_26:
	s_wait_alu 0xfffe
	s_or_b32 exec_lo, exec_lo, s6
	s_cbranch_execz .LBB85_28
	s_branch .LBB85_39
.LBB85_27:
                                        ; implicit-def: $vgpr25
                                        ; implicit-def: $vgpr26
                                        ; implicit-def: $vgpr27
                                        ; implicit-def: $vgpr12
.LBB85_28:
	v_dual_mov_b32 v25, 0 :: v_dual_mov_b32 v26, 0
	v_dual_mov_b32 v27, 0 :: v_dual_mov_b32 v12, 0
	s_and_saveexec_b32 s3, s2
	s_cbranch_execz .LBB85_38
; %bb.29:
	v_or_b32_e32 v11, 4, v0
	v_sub_co_u32 v15, s2, v1, v0
	s_wait_alu 0xf1ff
	v_subrev_co_ci_u32_e64 v16, null, 0, v2, s2
	s_delay_alu instid0(VALU_DEP_3)
	v_sub_co_u32 v11, vcc_lo, v11, v1
	s_wait_alu 0xfffd
	v_sub_co_ci_u32_e64 v12, null, 0, v2, vcc_lo
	s_mov_b32 s2, exec_lo
	v_add_co_u32 v11, vcc_lo, v11, v13
	s_wait_alu 0xfffd
	v_add_co_ci_u32_e64 v12, null, v12, v14, vcc_lo
	v_not_b32_e32 v13, v13
	v_not_b32_e32 v14, v14
	s_delay_alu instid0(VALU_DEP_3)
	v_cmp_gt_i64_e32 vcc_lo, v[11:12], v[7:8]
	s_wait_alu 0xfffd
	v_cndmask_b32_e32 v17, v8, v12, vcc_lo
	v_cndmask_b32_e32 v11, v7, v11, vcc_lo
	v_add_co_u32 v12, vcc_lo, v15, v13
	s_wait_alu 0xfffd
	v_add_co_ci_u32_e64 v14, null, v16, v14, vcc_lo
	s_delay_alu instid0(VALU_DEP_2) | instskip(SKIP_2) | instid1(VALU_DEP_3)
	v_add_co_u32 v13, vcc_lo, v12, v11
	v_mov_b32_e32 v12, 0
	s_wait_alu 0xfffd
	v_add_co_ci_u32_e64 v14, null, v14, v17, vcc_lo
	s_delay_alu instid0(VALU_DEP_3) | instskip(NEXT) | instid1(VALU_DEP_3)
	v_and_b32_e32 v11, 12, v13
	v_dual_mov_b32 v27, v12 :: v_dual_mov_b32 v26, v12
	v_mov_b32_e32 v25, v12
	s_delay_alu instid0(VALU_DEP_3)
	v_cmpx_ne_u64_e32 12, v[11:12]
	s_cbranch_execz .LBB85_33
; %bb.30:
	v_lshrrev_b32_e32 v11, 2, v13
	v_mov_b32_e32 v25, 0
	v_dual_mov_b32 v27, 0 :: v_dual_mov_b32 v26, 0
	s_delay_alu instid0(VALU_DEP_3) | instskip(SKIP_1) | instid1(VALU_DEP_2)
	v_add_nc_u32_e32 v15, 1, v11
	v_lshlrev_b64_e32 v[11:12], 3, v[5:6]
	v_and_b32_e32 v17, 3, v15
	s_delay_alu instid0(VALU_DEP_2) | instskip(SKIP_1) | instid1(VALU_DEP_3)
	v_add_co_u32 v15, vcc_lo, s8, v11
	s_wait_alu 0xfffd
	v_add_co_ci_u32_e64 v16, null, s9, v12, vcc_lo
	s_delay_alu instid0(VALU_DEP_3)
	v_sub_co_u32 v17, s6, 0, v17
	s_wait_alu 0xf1ff
	v_sub_co_ci_u32_e64 v18, null, 0, 0, s6
	v_mov_b32_e32 v12, 0
	s_mov_b32 s6, 0
.LBB85_31:                              ; =>This Inner Loop Header: Depth=1
	global_load_b64 v[19:20], v[15:16], off
	s_wait_loadcnt 0x0
	v_sub_co_u32 v19, vcc_lo, v19, v1
	s_wait_alu 0xfffd
	v_sub_co_ci_u32_e64 v20, null, v20, v2, vcc_lo
	s_delay_alu instid0(VALU_DEP_1) | instskip(SKIP_1) | instid1(VALU_DEP_1)
	v_lshlrev_b64_e32 v[19:20], 2, v[19:20]
	s_wait_kmcnt 0x0
	v_add_co_u32 v23, vcc_lo, s4, v19
	s_wait_alu 0xfffd
	s_delay_alu instid0(VALU_DEP_2)
	v_add_co_ci_u32_e64 v24, null, s5, v20, vcc_lo
	global_load_b128 v[19:22], v[9:10], off
	global_load_b32 v11, v[23:24], off
	v_add_co_u32 v9, vcc_lo, v9, 64
	s_wait_alu 0xfffd
	v_add_co_ci_u32_e64 v10, null, 0, v10, vcc_lo
	v_add_co_u32 v5, vcc_lo, v5, 4
	s_wait_alu 0xfffd
	v_add_co_ci_u32_e64 v6, null, 0, v6, vcc_lo
	;; [unrolled: 3-line block ×4, first 2 shown]
	s_delay_alu instid0(VALU_DEP_1)
	v_cmp_eq_u64_e32 vcc_lo, 0, v[17:18]
	s_wait_alu 0xfffe
	s_or_b32 s6, vcc_lo, s6
	s_wait_loadcnt 0x1
	v_bfe_i32 v23, v19, 0, 8
	v_bfe_i32 v24, v19, 8, 8
	s_wait_loadcnt 0x0
	v_bfe_i32 v38, v11, 0, 8
	v_bfe_i32 v28, v19, 16, 8
	v_ashrrev_i32_e32 v19, 24, v19
	v_bfe_i32 v29, v20, 0, 8
	v_bfe_i32 v30, v20, 8, 8
	v_cvt_f32_i32_e32 v23, v23
	v_cvt_f32_i32_e32 v24, v24
	v_bfe_i32 v39, v11, 8, 8
	v_cvt_f32_i32_e32 v38, v38
	v_bfe_i32 v31, v20, 16, 8
	v_ashrrev_i32_e32 v20, 24, v20
	v_bfe_i32 v32, v21, 0, 8
	v_bfe_i32 v33, v21, 8, 8
	v_cvt_f32_i32_e32 v28, v28
	v_cvt_f32_i32_e32 v19, v19
	;; [unrolled: 1-line block ×4, first 2 shown]
	v_bfe_i32 v40, v11, 16, 8
	v_cvt_f32_i32_e32 v39, v39
	v_fmac_f32_e32 v27, v24, v38
	v_fmac_f32_e32 v12, v23, v38
	v_bfe_i32 v34, v21, 16, 8
	v_ashrrev_i32_e32 v21, 24, v21
	v_cvt_f32_i32_e32 v31, v31
	v_cvt_f32_i32_e32 v20, v20
	;; [unrolled: 1-line block ×4, first 2 shown]
	v_fmac_f32_e32 v27, v30, v39
	v_dual_fmac_f32 v12, v29, v39 :: v_dual_fmac_f32 v25, v19, v38
	v_cvt_f32_i32_e32 v19, v40
	v_fmac_f32_e32 v26, v28, v38
	v_bfe_i32 v35, v22, 0, 8
	v_bfe_i32 v36, v22, 8, 8
	;; [unrolled: 1-line block ×3, first 2 shown]
	v_ashrrev_i32_e32 v22, 24, v22
	v_cvt_f32_i32_e32 v34, v34
	v_cvt_f32_i32_e32 v21, v21
	v_ashrrev_i32_e32 v11, 24, v11
	v_fmac_f32_e32 v12, v32, v19
	v_fmac_f32_e32 v25, v20, v39
	;; [unrolled: 1-line block ×4, first 2 shown]
	v_cvt_f32_i32_e32 v35, v35
	v_cvt_f32_i32_e32 v36, v36
	;; [unrolled: 1-line block ×5, first 2 shown]
	v_fmac_f32_e32 v26, v34, v19
	v_fmac_f32_e32 v25, v21, v19
	s_delay_alu instid0(VALU_DEP_3) | instskip(SKIP_1) | instid1(VALU_DEP_4)
	v_fmac_f32_e32 v12, v35, v11
	v_fmac_f32_e32 v27, v36, v11
	v_fmac_f32_e32 v26, v37, v11
	s_delay_alu instid0(VALU_DEP_4)
	v_fmac_f32_e32 v25, v22, v11
	s_wait_alu 0xfffe
	s_and_not1_b32 exec_lo, exec_lo, s6
	s_cbranch_execnz .LBB85_31
; %bb.32:
	s_or_b32 exec_lo, exec_lo, s6
.LBB85_33:
	s_wait_alu 0xfffe
	s_or_b32 exec_lo, exec_lo, s2
	s_delay_alu instid0(SALU_CYCLE_1)
	s_mov_b32 s2, exec_lo
	v_cmpx_lt_u64_e32 11, v[13:14]
	s_cbranch_execz .LBB85_37
; %bb.34:
	v_lshlrev_b64_e32 v[13:14], 3, v[5:6]
	s_mov_b32 s6, 0
	s_delay_alu instid0(VALU_DEP_1) | instskip(SKIP_1) | instid1(VALU_DEP_2)
	v_add_co_u32 v11, vcc_lo, s8, v13
	s_wait_alu 0xfffd
	v_add_co_ci_u32_e64 v14, null, s9, v14, vcc_lo
	s_delay_alu instid0(VALU_DEP_2) | instskip(SKIP_1) | instid1(VALU_DEP_2)
	v_add_co_u32 v13, vcc_lo, v11, 64
	s_wait_alu 0xfffd
	v_add_co_ci_u32_e64 v14, null, 0, v14, vcc_lo
.LBB85_35:                              ; =>This Inner Loop Header: Depth=1
	s_clause 0x3
	global_load_b64 v[23:24], v[13:14], off offset:-64
	global_load_b64 v[36:37], v[13:14], off offset:-32
	global_load_b64 v[38:39], v[13:14], off
	global_load_b64 v[40:41], v[13:14], off offset:32
	s_clause 0x3
	global_load_b128 v[15:18], v[9:10], off
	global_load_b128 v[19:22], v[9:10], off offset:64
	global_load_b128 v[28:31], v[9:10], off offset:128
	;; [unrolled: 1-line block ×3, first 2 shown]
	s_wait_loadcnt 0x7
	v_sub_co_u32 v23, vcc_lo, v23, v1
	s_wait_alu 0xfffd
	v_sub_co_ci_u32_e64 v24, null, v24, v2, vcc_lo
	s_wait_loadcnt 0x6
	v_sub_co_u32 v36, vcc_lo, v36, v1
	s_wait_alu 0xfffd
	v_sub_co_ci_u32_e64 v37, null, v37, v2, vcc_lo
	;; [unrolled: 4-line block ×3, first 2 shown]
	s_wait_loadcnt 0x4
	v_sub_co_u32 v40, vcc_lo, v40, v1
	v_lshlrev_b64_e32 v[23:24], 2, v[23:24]
	s_wait_alu 0xfffd
	v_sub_co_ci_u32_e64 v41, null, v41, v2, vcc_lo
	v_lshlrev_b64_e32 v[36:37], 2, v[36:37]
	v_lshlrev_b64_e32 v[38:39], 2, v[38:39]
	s_wait_loadcnt 0x3
	v_bfe_i32 v42, v16, 16, 8
	v_lshlrev_b64_e32 v[40:41], 2, v[40:41]
	s_wait_kmcnt 0x0
	v_add_co_u32 v23, vcc_lo, s4, v23
	s_wait_alu 0xfffd
	v_add_co_ci_u32_e64 v24, null, s5, v24, vcc_lo
	v_add_co_u32 v36, vcc_lo, s4, v36
	s_wait_alu 0xfffd
	v_add_co_ci_u32_e64 v37, null, s5, v37, vcc_lo
	;; [unrolled: 3-line block ×4, first 2 shown]
	s_clause 0x3
	global_load_b32 v11, v[23:24], off
	global_load_b32 v23, v[36:37], off
	;; [unrolled: 1-line block ×4, first 2 shown]
	v_bfe_i32 v37, v15, 0, 8
	v_bfe_i32 v38, v15, 8, 8
	;; [unrolled: 1-line block ×3, first 2 shown]
	v_ashrrev_i32_e32 v15, 24, v15
	v_bfe_i32 v40, v16, 0, 8
	v_bfe_i32 v41, v16, 8, 8
	v_ashrrev_i32_e32 v16, 24, v16
	v_cvt_f32_i32_e32 v37, v37
	v_cvt_f32_i32_e32 v15, v15
	;; [unrolled: 1-line block ×7, first 2 shown]
	v_bfe_i32 v43, v17, 0, 8
	v_bfe_i32 v44, v17, 8, 8
	;; [unrolled: 1-line block ×3, first 2 shown]
	v_ashrrev_i32_e32 v17, 24, v17
	v_cvt_f32_i32_e32 v41, v41
	v_bfe_i32 v46, v18, 0, 8
	v_bfe_i32 v47, v18, 8, 8
	v_bfe_i32 v48, v18, 16, 8
	v_ashrrev_i32_e32 v18, 24, v18
	v_cvt_f32_i32_e32 v43, v43
	v_cvt_f32_i32_e32 v44, v44
	v_cvt_f32_i32_e32 v45, v45
	v_cvt_f32_i32_e32 v17, v17
	s_wait_loadcnt 0x6
	v_bfe_i32 v49, v19, 0, 8
	v_bfe_i32 v50, v19, 8, 8
	v_bfe_i32 v51, v19, 16, 8
	v_ashrrev_i32_e32 v19, 24, v19
	v_cvt_f32_i32_e32 v46, v46
	v_cvt_f32_i32_e32 v47, v47
	v_cvt_f32_i32_e32 v48, v48
	v_cvt_f32_i32_e32 v18, v18
	v_bfe_i32 v52, v20, 0, 8
	v_bfe_i32 v53, v20, 8, 8
	v_bfe_i32 v54, v20, 16, 8
	v_ashrrev_i32_e32 v20, 24, v20
	v_cvt_f32_i32_e32 v49, v49
	v_cvt_f32_i32_e32 v50, v50
	v_cvt_f32_i32_e32 v51, v51
	v_cvt_f32_i32_e32 v19, v19
	v_bfe_i32 v55, v21, 0, 8
	v_bfe_i32 v56, v21, 8, 8
	v_bfe_i32 v57, v21, 16, 8
	v_ashrrev_i32_e32 v21, 24, v21
	v_cvt_f32_i32_e32 v52, v52
	v_cvt_f32_i32_e32 v53, v53
	v_cvt_f32_i32_e32 v54, v54
	v_cvt_f32_i32_e32 v20, v20
	v_bfe_i32 v58, v22, 0, 8
	v_bfe_i32 v59, v22, 8, 8
	v_bfe_i32 v60, v22, 16, 8
	v_ashrrev_i32_e32 v22, 24, v22
	v_cvt_f32_i32_e32 v55, v55
	v_cvt_f32_i32_e32 v56, v56
	v_cvt_f32_i32_e32 v57, v57
	v_cvt_f32_i32_e32 v21, v21
	s_wait_loadcnt 0x5
	v_bfe_i32 v61, v28, 0, 8
	v_bfe_i32 v62, v28, 8, 8
	v_bfe_i32 v63, v28, 16, 8
	v_ashrrev_i32_e32 v28, 24, v28
	v_cvt_f32_i32_e32 v58, v58
	v_cvt_f32_i32_e32 v59, v59
	v_cvt_f32_i32_e32 v60, v60
	v_cvt_f32_i32_e32 v22, v22
	v_bfe_i32 v64, v29, 0, 8
	v_bfe_i32 v65, v29, 8, 8
	v_bfe_i32 v66, v29, 16, 8
	v_ashrrev_i32_e32 v29, 24, v29
	v_cvt_f32_i32_e32 v61, v61
	v_cvt_f32_i32_e32 v62, v62
	v_cvt_f32_i32_e32 v63, v63
	v_cvt_f32_i32_e32 v28, v28
	v_bfe_i32 v67, v30, 0, 8
	v_bfe_i32 v68, v30, 8, 8
	v_bfe_i32 v69, v30, 16, 8
	v_ashrrev_i32_e32 v30, 24, v30
	v_cvt_f32_i32_e32 v64, v64
	v_cvt_f32_i32_e32 v65, v65
	v_cvt_f32_i32_e32 v66, v66
	;; [unrolled: 33-line block ×3, first 2 shown]
	v_cvt_f32_i32_e32 v33, v33
	v_add_co_u32 v9, vcc_lo, 0x100, v9
	s_wait_alu 0xfffd
	v_add_co_ci_u32_e64 v10, null, 0, v10, vcc_lo
	v_add_co_u32 v5, vcc_lo, v5, 16
	v_bfe_i32 v82, v35, 0, 8
	v_bfe_i32 v83, v35, 8, 8
	;; [unrolled: 1-line block ×3, first 2 shown]
	v_ashrrev_i32_e32 v35, 24, v35
	v_cvt_f32_i32_e32 v79, v79
	v_cvt_f32_i32_e32 v80, v80
	;; [unrolled: 1-line block ×4, first 2 shown]
	s_wait_alu 0xfffd
	v_add_co_ci_u32_e64 v6, null, 0, v6, vcc_lo
	v_add_co_u32 v13, vcc_lo, 0x80, v13
	v_cvt_f32_i32_e32 v82, v82
	v_cvt_f32_i32_e32 v83, v83
	;; [unrolled: 1-line block ×4, first 2 shown]
	s_wait_alu 0xfffd
	v_add_co_ci_u32_e64 v14, null, 0, v14, vcc_lo
	v_cmp_ge_i64_e32 vcc_lo, v[5:6], v[7:8]
	s_wait_alu 0xfffe
	s_or_b32 s6, vcc_lo, s6
	s_wait_loadcnt 0x3
	v_bfe_i32 v85, v11, 0, 8
	v_bfe_i32 v86, v11, 8, 8
	;; [unrolled: 1-line block ×3, first 2 shown]
	v_ashrrev_i32_e32 v11, 24, v11
	s_wait_loadcnt 0x2
	v_bfe_i32 v88, v23, 0, 8
	v_cvt_f32_i32_e32 v85, v85
	v_cvt_f32_i32_e32 v86, v86
	v_bfe_i32 v89, v23, 8, 8
	v_cvt_f32_i32_e32 v11, v11
	v_bfe_i32 v90, v23, 16, 8
	v_fmac_f32_e32 v25, v15, v85
	v_fmac_f32_e32 v12, v37, v85
	v_cvt_f32_i32_e32 v15, v87
	v_ashrrev_i32_e32 v23, 24, v23
	s_wait_loadcnt 0x1
	v_bfe_i32 v91, v24, 0, 8
	v_fmac_f32_e32 v25, v16, v86
	v_dual_fmac_f32 v27, v38, v85 :: v_dual_fmac_f32 v12, v40, v86
	v_fmac_f32_e32 v26, v39, v85
	v_bfe_i32 v92, v24, 8, 8
	s_delay_alu instid0(VALU_DEP_4) | instskip(NEXT) | instid1(VALU_DEP_4)
	v_fmac_f32_e32 v25, v17, v15
	v_dual_fmac_f32 v27, v41, v86 :: v_dual_fmac_f32 v12, v43, v15
	s_delay_alu instid0(VALU_DEP_4) | instskip(SKIP_1) | instid1(VALU_DEP_4)
	v_fmac_f32_e32 v26, v42, v86
	v_bfe_i32 v93, v24, 16, 8
	v_fmac_f32_e32 v25, v18, v11
	s_delay_alu instid0(VALU_DEP_4)
	v_fmac_f32_e32 v27, v44, v15
	v_fmac_f32_e32 v12, v46, v11
	;; [unrolled: 1-line block ×3, first 2 shown]
	v_cvt_f32_i32_e32 v15, v88
	v_ashrrev_i32_e32 v24, 24, v24
	v_fmac_f32_e32 v27, v47, v11
	s_wait_loadcnt 0x0
	v_bfe_i32 v94, v36, 0, 8
	v_fmac_f32_e32 v26, v48, v11
	v_cvt_f32_i32_e32 v11, v89
	v_fmac_f32_e32 v12, v49, v15
	v_fmac_f32_e32 v27, v50, v15
	v_fmac_f32_e32 v25, v19, v15
	v_fmac_f32_e32 v26, v51, v15
	v_cvt_f32_i32_e32 v15, v90
	v_fmac_f32_e32 v12, v52, v11
	v_fmac_f32_e32 v27, v53, v11
	v_fmac_f32_e32 v25, v20, v11
	;; [unrolled: 5-line block ×7, first 2 shown]
	v_fmac_f32_e32 v26, v69, v15
	v_bfe_i32 v95, v36, 8, 8
	v_cvt_f32_i32_e32 v15, v94
	v_fmac_f32_e32 v12, v70, v11
	v_fmac_f32_e32 v27, v71, v11
	;; [unrolled: 1-line block ×4, first 2 shown]
	v_bfe_i32 v96, v36, 16, 8
	v_cvt_f32_i32_e32 v11, v95
	v_fmac_f32_e32 v12, v73, v15
	v_fmac_f32_e32 v27, v74, v15
	;; [unrolled: 1-line block ×4, first 2 shown]
	v_ashrrev_i32_e32 v36, 24, v36
	v_cvt_f32_i32_e32 v15, v96
	v_fmac_f32_e32 v12, v76, v11
	v_fmac_f32_e32 v27, v77, v11
	;; [unrolled: 1-line block ×4, first 2 shown]
	v_cvt_f32_i32_e32 v11, v36
	v_fmac_f32_e32 v12, v79, v15
	v_fmac_f32_e32 v27, v80, v15
	;; [unrolled: 1-line block ×4, first 2 shown]
	s_delay_alu instid0(VALU_DEP_4) | instskip(NEXT) | instid1(VALU_DEP_4)
	v_fmac_f32_e32 v12, v82, v11
	v_fmac_f32_e32 v27, v83, v11
	s_delay_alu instid0(VALU_DEP_4) | instskip(NEXT) | instid1(VALU_DEP_4)
	v_fmac_f32_e32 v26, v84, v11
	v_fmac_f32_e32 v25, v35, v11
	s_wait_alu 0xfffe
	s_and_not1_b32 exec_lo, exec_lo, s6
	s_cbranch_execnz .LBB85_35
; %bb.36:
	s_or_b32 exec_lo, exec_lo, s6
.LBB85_37:
	s_wait_alu 0xfffe
	s_or_b32 exec_lo, exec_lo, s2
.LBB85_38:
	s_wait_alu 0xfffe
	s_or_b32 exec_lo, exec_lo, s3
.LBB85_39:
	v_mbcnt_lo_u32_b32 v1, -1, 0
	s_mov_b32 s2, -1
	s_delay_alu instid0(VALU_DEP_1) | instskip(NEXT) | instid1(VALU_DEP_1)
	v_xor_b32_e32 v2, 2, v1
	v_cmp_gt_i32_e32 vcc_lo, 32, v2
	s_wait_alu 0xfffd
	v_cndmask_b32_e32 v2, v1, v2, vcc_lo
	s_delay_alu instid0(VALU_DEP_1)
	v_lshlrev_b32_e32 v2, 2, v2
	ds_bpermute_b32 v5, v2, v12
	ds_bpermute_b32 v6, v2, v27
	;; [unrolled: 1-line block ×4, first 2 shown]
	v_xor_b32_e32 v2, 1, v1
	s_delay_alu instid0(VALU_DEP_1) | instskip(SKIP_3) | instid1(VALU_DEP_2)
	v_cmp_gt_i32_e32 vcc_lo, 32, v2
	s_wait_alu 0xfffd
	v_cndmask_b32_e32 v1, v1, v2, vcc_lo
	v_cmp_eq_u32_e32 vcc_lo, 3, v0
	v_lshlrev_b32_e32 v10, 2, v1
	s_wait_dscnt 0x2
	v_dual_add_f32 v1, v12, v5 :: v_dual_add_f32 v2, v27, v6
	s_wait_dscnt 0x0
	v_dual_add_f32 v5, v26, v7 :: v_dual_add_f32 v6, v25, v8
	ds_bpermute_b32 v7, v10, v1
	ds_bpermute_b32 v8, v10, v2
	;; [unrolled: 1-line block ×4, first 2 shown]
	s_and_b32 exec_lo, exec_lo, vcc_lo
	s_cbranch_execz .LBB85_10
; %bb.40:
	s_load_b64 s[0:1], s[0:1], 0x58
	s_wait_dscnt 0x2
	v_dual_add_f32 v0, v1, v7 :: v_dual_add_f32 v1, v2, v8
	s_wait_dscnt 0x0
	v_add_f32_e32 v6, v6, v10
	s_cmp_eq_f32 s16, 0
	s_delay_alu instid0(VALU_DEP_2) | instskip(SKIP_3) | instid1(VALU_DEP_3)
	v_dual_mul_f32 v0, s12, v0 :: v_dual_mul_f32 v1, s12, v1
	v_add_f32_e32 v2, v5, v9
	v_lshlrev_b64_e32 v[4:5], 4, v[3:4]
	v_mul_f32_e32 v3, s12, v6
	v_mul_f32_e32 v2, s12, v2
	s_cbranch_scc0 .LBB85_42
; %bb.41:
	s_wait_kmcnt 0x0
	s_delay_alu instid0(VALU_DEP_3)
	v_add_co_u32 v6, vcc_lo, s0, v4
	s_wait_alu 0xfffd
	v_add_co_ci_u32_e64 v7, null, s1, v5, vcc_lo
	s_mov_b32 s2, 0
	global_store_b128 v[6:7], v[0:3], off
.LBB85_42:
	s_wait_alu 0xfffe
	s_and_not1_b32 vcc_lo, exec_lo, s2
	s_wait_alu 0xfffe
	s_cbranch_vccnz .LBB85_10
; %bb.43:
	s_wait_kmcnt 0x0
	v_add_co_u32 v8, vcc_lo, s0, v4
	s_wait_alu 0xfffd
	v_add_co_ci_u32_e64 v9, null, s1, v5, vcc_lo
	global_load_b128 v[4:7], v[8:9], off
	s_wait_loadcnt 0x0
	v_dual_fmac_f32 v0, s16, v4 :: v_dual_fmac_f32 v1, s16, v5
	v_dual_fmac_f32 v2, s16, v6 :: v_dual_fmac_f32 v3, s16, v7
	global_store_b128 v[8:9], v[0:3], off
	s_nop 0
	s_sendmsg sendmsg(MSG_DEALLOC_VGPRS)
	s_endpgm
	.section	.rodata,"a",@progbits
	.p2align	6, 0x0
	.amdhsa_kernel _ZN9rocsparseL18bsrxmvn_4x4_kernelILj128ELj4EfllaafEEvT3_20rocsparse_direction_NS_24const_host_device_scalarIT1_EES1_PKS1_PKT2_SA_S7_PKT4_PKT5_S5_PT6_21rocsparse_index_base_b
		.amdhsa_group_segment_fixed_size 0
		.amdhsa_private_segment_fixed_size 0
		.amdhsa_kernarg_size 104
		.amdhsa_user_sgpr_count 2
		.amdhsa_user_sgpr_dispatch_ptr 0
		.amdhsa_user_sgpr_queue_ptr 0
		.amdhsa_user_sgpr_kernarg_segment_ptr 1
		.amdhsa_user_sgpr_dispatch_id 0
		.amdhsa_user_sgpr_private_segment_size 0
		.amdhsa_wavefront_size32 1
		.amdhsa_uses_dynamic_stack 0
		.amdhsa_enable_private_segment 0
		.amdhsa_system_sgpr_workgroup_id_x 1
		.amdhsa_system_sgpr_workgroup_id_y 0
		.amdhsa_system_sgpr_workgroup_id_z 0
		.amdhsa_system_sgpr_workgroup_info 0
		.amdhsa_system_vgpr_workitem_id 0
		.amdhsa_next_free_vgpr 103
		.amdhsa_next_free_sgpr 18
		.amdhsa_reserve_vcc 1
		.amdhsa_float_round_mode_32 0
		.amdhsa_float_round_mode_16_64 0
		.amdhsa_float_denorm_mode_32 3
		.amdhsa_float_denorm_mode_16_64 3
		.amdhsa_fp16_overflow 0
		.amdhsa_workgroup_processor_mode 1
		.amdhsa_memory_ordered 1
		.amdhsa_forward_progress 1
		.amdhsa_inst_pref_size 48
		.amdhsa_round_robin_scheduling 0
		.amdhsa_exception_fp_ieee_invalid_op 0
		.amdhsa_exception_fp_denorm_src 0
		.amdhsa_exception_fp_ieee_div_zero 0
		.amdhsa_exception_fp_ieee_overflow 0
		.amdhsa_exception_fp_ieee_underflow 0
		.amdhsa_exception_fp_ieee_inexact 0
		.amdhsa_exception_int_div_zero 0
	.end_amdhsa_kernel
	.section	.text._ZN9rocsparseL18bsrxmvn_4x4_kernelILj128ELj4EfllaafEEvT3_20rocsparse_direction_NS_24const_host_device_scalarIT1_EES1_PKS1_PKT2_SA_S7_PKT4_PKT5_S5_PT6_21rocsparse_index_base_b,"axG",@progbits,_ZN9rocsparseL18bsrxmvn_4x4_kernelILj128ELj4EfllaafEEvT3_20rocsparse_direction_NS_24const_host_device_scalarIT1_EES1_PKS1_PKT2_SA_S7_PKT4_PKT5_S5_PT6_21rocsparse_index_base_b,comdat
.Lfunc_end85:
	.size	_ZN9rocsparseL18bsrxmvn_4x4_kernelILj128ELj4EfllaafEEvT3_20rocsparse_direction_NS_24const_host_device_scalarIT1_EES1_PKS1_PKT2_SA_S7_PKT4_PKT5_S5_PT6_21rocsparse_index_base_b, .Lfunc_end85-_ZN9rocsparseL18bsrxmvn_4x4_kernelILj128ELj4EfllaafEEvT3_20rocsparse_direction_NS_24const_host_device_scalarIT1_EES1_PKS1_PKT2_SA_S7_PKT4_PKT5_S5_PT6_21rocsparse_index_base_b
                                        ; -- End function
	.set _ZN9rocsparseL18bsrxmvn_4x4_kernelILj128ELj4EfllaafEEvT3_20rocsparse_direction_NS_24const_host_device_scalarIT1_EES1_PKS1_PKT2_SA_S7_PKT4_PKT5_S5_PT6_21rocsparse_index_base_b.num_vgpr, 103
	.set _ZN9rocsparseL18bsrxmvn_4x4_kernelILj128ELj4EfllaafEEvT3_20rocsparse_direction_NS_24const_host_device_scalarIT1_EES1_PKS1_PKT2_SA_S7_PKT4_PKT5_S5_PT6_21rocsparse_index_base_b.num_agpr, 0
	.set _ZN9rocsparseL18bsrxmvn_4x4_kernelILj128ELj4EfllaafEEvT3_20rocsparse_direction_NS_24const_host_device_scalarIT1_EES1_PKS1_PKT2_SA_S7_PKT4_PKT5_S5_PT6_21rocsparse_index_base_b.numbered_sgpr, 18
	.set _ZN9rocsparseL18bsrxmvn_4x4_kernelILj128ELj4EfllaafEEvT3_20rocsparse_direction_NS_24const_host_device_scalarIT1_EES1_PKS1_PKT2_SA_S7_PKT4_PKT5_S5_PT6_21rocsparse_index_base_b.num_named_barrier, 0
	.set _ZN9rocsparseL18bsrxmvn_4x4_kernelILj128ELj4EfllaafEEvT3_20rocsparse_direction_NS_24const_host_device_scalarIT1_EES1_PKS1_PKT2_SA_S7_PKT4_PKT5_S5_PT6_21rocsparse_index_base_b.private_seg_size, 0
	.set _ZN9rocsparseL18bsrxmvn_4x4_kernelILj128ELj4EfllaafEEvT3_20rocsparse_direction_NS_24const_host_device_scalarIT1_EES1_PKS1_PKT2_SA_S7_PKT4_PKT5_S5_PT6_21rocsparse_index_base_b.uses_vcc, 1
	.set _ZN9rocsparseL18bsrxmvn_4x4_kernelILj128ELj4EfllaafEEvT3_20rocsparse_direction_NS_24const_host_device_scalarIT1_EES1_PKS1_PKT2_SA_S7_PKT4_PKT5_S5_PT6_21rocsparse_index_base_b.uses_flat_scratch, 0
	.set _ZN9rocsparseL18bsrxmvn_4x4_kernelILj128ELj4EfllaafEEvT3_20rocsparse_direction_NS_24const_host_device_scalarIT1_EES1_PKS1_PKT2_SA_S7_PKT4_PKT5_S5_PT6_21rocsparse_index_base_b.has_dyn_sized_stack, 0
	.set _ZN9rocsparseL18bsrxmvn_4x4_kernelILj128ELj4EfllaafEEvT3_20rocsparse_direction_NS_24const_host_device_scalarIT1_EES1_PKS1_PKT2_SA_S7_PKT4_PKT5_S5_PT6_21rocsparse_index_base_b.has_recursion, 0
	.set _ZN9rocsparseL18bsrxmvn_4x4_kernelILj128ELj4EfllaafEEvT3_20rocsparse_direction_NS_24const_host_device_scalarIT1_EES1_PKS1_PKT2_SA_S7_PKT4_PKT5_S5_PT6_21rocsparse_index_base_b.has_indirect_call, 0
	.section	.AMDGPU.csdata,"",@progbits
; Kernel info:
; codeLenInByte = 6080
; TotalNumSgprs: 20
; NumVgprs: 103
; ScratchSize: 0
; MemoryBound: 0
; FloatMode: 240
; IeeeMode: 1
; LDSByteSize: 0 bytes/workgroup (compile time only)
; SGPRBlocks: 0
; VGPRBlocks: 12
; NumSGPRsForWavesPerEU: 20
; NumVGPRsForWavesPerEU: 103
; Occupancy: 12
; WaveLimiterHint : 1
; COMPUTE_PGM_RSRC2:SCRATCH_EN: 0
; COMPUTE_PGM_RSRC2:USER_SGPR: 2
; COMPUTE_PGM_RSRC2:TRAP_HANDLER: 0
; COMPUTE_PGM_RSRC2:TGID_X_EN: 1
; COMPUTE_PGM_RSRC2:TGID_Y_EN: 0
; COMPUTE_PGM_RSRC2:TGID_Z_EN: 0
; COMPUTE_PGM_RSRC2:TIDIG_COMP_CNT: 0
	.section	.text._ZN9rocsparseL18bsrxmvn_4x4_kernelILj128ELj8EfllaafEEvT3_20rocsparse_direction_NS_24const_host_device_scalarIT1_EES1_PKS1_PKT2_SA_S7_PKT4_PKT5_S5_PT6_21rocsparse_index_base_b,"axG",@progbits,_ZN9rocsparseL18bsrxmvn_4x4_kernelILj128ELj8EfllaafEEvT3_20rocsparse_direction_NS_24const_host_device_scalarIT1_EES1_PKS1_PKT2_SA_S7_PKT4_PKT5_S5_PT6_21rocsparse_index_base_b,comdat
	.globl	_ZN9rocsparseL18bsrxmvn_4x4_kernelILj128ELj8EfllaafEEvT3_20rocsparse_direction_NS_24const_host_device_scalarIT1_EES1_PKS1_PKT2_SA_S7_PKT4_PKT5_S5_PT6_21rocsparse_index_base_b ; -- Begin function _ZN9rocsparseL18bsrxmvn_4x4_kernelILj128ELj8EfllaafEEvT3_20rocsparse_direction_NS_24const_host_device_scalarIT1_EES1_PKS1_PKT2_SA_S7_PKT4_PKT5_S5_PT6_21rocsparse_index_base_b
	.p2align	8
	.type	_ZN9rocsparseL18bsrxmvn_4x4_kernelILj128ELj8EfllaafEEvT3_20rocsparse_direction_NS_24const_host_device_scalarIT1_EES1_PKS1_PKT2_SA_S7_PKT4_PKT5_S5_PT6_21rocsparse_index_base_b,@function
_ZN9rocsparseL18bsrxmvn_4x4_kernelILj128ELj8EfllaafEEvT3_20rocsparse_direction_NS_24const_host_device_scalarIT1_EES1_PKS1_PKT2_SA_S7_PKT4_PKT5_S5_PT6_21rocsparse_index_base_b: ; @_ZN9rocsparseL18bsrxmvn_4x4_kernelILj128ELj8EfllaafEEvT3_20rocsparse_direction_NS_24const_host_device_scalarIT1_EES1_PKS1_PKT2_SA_S7_PKT4_PKT5_S5_PT6_21rocsparse_index_base_b
; %bb.0:
	s_clause 0x2
	s_load_b64 s[2:3], s[0:1], 0x60
	s_load_b128 s[12:15], s[0:1], 0x10
	s_load_b64 s[16:17], s[0:1], 0x50
	s_wait_kmcnt 0x0
	s_bitcmp1_b32 s3, 0
	s_cselect_b32 s3, -1, 0
	s_delay_alu instid0(SALU_CYCLE_1)
	s_and_b32 vcc_lo, exec_lo, s3
	s_xor_b32 s3, s3, -1
	s_cbranch_vccnz .LBB86_2
; %bb.1:
	s_load_b32 s12, s[12:13], 0x0
.LBB86_2:
	s_and_not1_b32 vcc_lo, exec_lo, s3
	s_cbranch_vccnz .LBB86_4
; %bb.3:
	s_load_b32 s16, s[16:17], 0x0
.LBB86_4:
	s_wait_kmcnt 0x0
	s_cmp_neq_f32 s12, 0
	s_mov_b32 s6, 0
	s_cselect_b32 s3, -1, 0
	s_cmp_neq_f32 s16, 1.0
	s_cselect_b32 s4, -1, 0
	s_delay_alu instid0(SALU_CYCLE_1) | instskip(NEXT) | instid1(SALU_CYCLE_1)
	s_or_b32 s3, s3, s4
	s_and_not1_b32 vcc_lo, exec_lo, s3
	s_cbranch_vccnz .LBB86_10
; %bb.5:
	s_load_b64 s[4:5], s[0:1], 0x20
	v_lshrrev_b32_e32 v1, 3, v0
	v_mov_b32_e32 v6, 0
	s_delay_alu instid0(VALU_DEP_2)
	v_lshl_or_b32 v5, ttmp9, 4, v1
	s_wait_kmcnt 0x0
	s_cmp_lg_u64 s[4:5], 0
	s_cbranch_scc0 .LBB86_11
; %bb.6:
	s_mov_b32 s7, 0
                                        ; implicit-def: $vgpr3_vgpr4
                                        ; implicit-def: $vgpr1_vgpr2
	s_mov_b32 s3, exec_lo
	v_cmpx_gt_i64_e64 s[14:15], v[5:6]
	s_xor_b32 s8, exec_lo, s3
	s_cbranch_execz .LBB86_8
; %bb.7:
	v_lshlrev_b64_e32 v[1:2], 3, v[5:6]
	s_mov_b32 s3, 0
	s_mov_b32 s6, exec_lo
	s_delay_alu instid0(VALU_DEP_1) | instskip(NEXT) | instid1(VALU_DEP_1)
	v_add_co_u32 v1, vcc_lo, s4, v1
	v_add_co_ci_u32_e64 v2, null, s5, v2, vcc_lo
	global_load_b64 v[1:2], v[1:2], off
	s_wait_loadcnt 0x0
	v_sub_co_u32 v3, vcc_lo, v1, s2
	s_wait_alu 0xfffd
	v_subrev_co_ci_u32_e64 v4, null, 0, v2, vcc_lo
	v_dual_mov_b32 v1, s2 :: v_dual_mov_b32 v2, s3
.LBB86_8:
	s_or_b32 exec_lo, exec_lo, s8
	s_delay_alu instid0(SALU_CYCLE_1)
	s_and_b32 vcc_lo, exec_lo, s7
	s_wait_alu 0xfffe
	s_cbranch_vccnz .LBB86_12
.LBB86_9:
	s_and_saveexec_b32 s2, s6
	s_cbranch_execnz .LBB86_15
.LBB86_10:
	s_nop 0
	s_sendmsg sendmsg(MSG_DEALLOC_VGPRS)
	s_endpgm
.LBB86_11:
                                        ; implicit-def: $vgpr3_vgpr4
                                        ; implicit-def: $vgpr1_vgpr2
	s_cbranch_execz .LBB86_9
.LBB86_12:
	s_load_b64 s[4:5], s[0:1], 0x0
	s_wait_kmcnt 0x0
	v_cmp_gt_i64_e32 vcc_lo, s[4:5], v[5:6]
	s_and_saveexec_b32 s4, vcc_lo
; %bb.13:
	s_mov_b32 s3, 0
	s_or_b32 s6, s6, exec_lo
; %bb.14:
	s_wait_alu 0xfffe
	s_or_b32 exec_lo, exec_lo, s4
	v_dual_mov_b32 v1, s2 :: v_dual_mov_b32 v2, s3
	v_dual_mov_b32 v3, v5 :: v_dual_mov_b32 v4, v6
	s_and_saveexec_b32 s2, s6
	s_cbranch_execz .LBB86_10
.LBB86_15:
	s_load_b256 s[4:11], s[0:1], 0x28
	s_delay_alu instid0(VALU_DEP_1) | instskip(SKIP_3) | instid1(VALU_DEP_2)
	v_lshlrev_b64_e32 v[5:6], 3, v[3:4]
	v_dual_mov_b32 v25, 0 :: v_dual_and_b32 v0, 7, v0
	s_load_b32 s3, s[0:1], 0x8
	s_wait_kmcnt 0x0
	v_add_co_u32 v7, vcc_lo, s4, v5
	s_wait_alu 0xfffd
	v_add_co_ci_u32_e64 v8, null, s5, v6, vcc_lo
	v_add_co_u32 v5, vcc_lo, s6, v5
	s_wait_alu 0xfffd
	v_add_co_ci_u32_e64 v6, null, s7, v6, vcc_lo
	v_add_co_u32 v9, vcc_lo, v7, 8
	global_load_b64 v[13:14], v[7:8], off
	s_wait_alu 0xfffd
	v_add_co_ci_u32_e64 v10, null, 0, v8, vcc_lo
	s_cmp_eq_u64 s[6:7], 0
	s_load_b64 s[4:5], s[0:1], 0x48
	s_cselect_b32 vcc_lo, -1, 0
	s_cmp_eq_u32 s3, 1
	s_wait_alu 0xfffe
	v_dual_cndmask_b32 v6, v6, v10 :: v_dual_cndmask_b32 v5, v5, v9
	global_load_b64 v[7:8], v[5:6], off
	s_wait_loadcnt 0x1
	v_sub_co_u32 v5, vcc_lo, v13, v1
	s_wait_alu 0xfffd
	v_sub_co_ci_u32_e64 v6, null, v14, v2, vcc_lo
	s_delay_alu instid0(VALU_DEP_2) | instskip(SKIP_1) | instid1(VALU_DEP_2)
	v_add_co_u32 v5, vcc_lo, v5, v0
	s_wait_alu 0xfffd
	v_add_co_ci_u32_e64 v6, null, 0, v6, vcc_lo
	s_delay_alu instid0(VALU_DEP_1) | instskip(SKIP_4) | instid1(VALU_DEP_3)
	v_lshlrev_b64_e32 v[9:10], 4, v[5:6]
	s_wait_loadcnt 0x0
	v_sub_co_u32 v7, vcc_lo, v7, v1
	s_wait_alu 0xfffd
	v_sub_co_ci_u32_e64 v8, null, v8, v2, vcc_lo
	v_add_co_u32 v9, vcc_lo, s10, v9
	s_delay_alu instid0(VALU_DEP_2)
	v_cmp_lt_i64_e64 s2, v[5:6], v[7:8]
	s_wait_alu 0xfffd
	v_add_co_ci_u32_e64 v10, null, s11, v10, vcc_lo
	s_cbranch_scc1 .LBB86_27
; %bb.16:
	v_dual_mov_b32 v26, 0 :: v_dual_mov_b32 v27, 0
	v_mov_b32_e32 v12, 0
	s_and_saveexec_b32 s6, s2
	s_cbranch_execz .LBB86_26
; %bb.17:
	v_or_b32_e32 v11, 8, v0
	v_not_b32_e32 v16, v13
	v_sub_co_u32 v17, s3, v1, v0
	v_not_b32_e32 v15, v14
	s_delay_alu instid0(VALU_DEP_4)
	v_sub_co_u32 v11, vcc_lo, v11, v1
	s_wait_alu 0xfffd
	v_sub_co_ci_u32_e64 v12, null, 0, v2, vcc_lo
	s_wait_alu 0xf1ff
	v_subrev_co_ci_u32_e64 v18, null, 0, v2, s3
	v_add_co_u32 v11, vcc_lo, v11, v13
	s_wait_alu 0xfffd
	v_add_co_ci_u32_e64 v12, null, v12, v14, vcc_lo
	s_mov_b32 s3, exec_lo
	v_cmp_gt_i64_e32 vcc_lo, v[11:12], v[7:8]
	s_wait_alu 0xfffd
	v_dual_cndmask_b32 v20, v8, v12 :: v_dual_cndmask_b32 v11, v7, v11
	v_add_co_u32 v12, vcc_lo, v17, v16
	s_wait_alu 0xfffd
	v_add_co_ci_u32_e64 v15, null, v18, v15, vcc_lo
	v_mov_b32_e32 v18, v10
	s_delay_alu instid0(VALU_DEP_3) | instskip(SKIP_3) | instid1(VALU_DEP_3)
	v_add_co_u32 v19, vcc_lo, v12, v11
	v_mov_b32_e32 v12, 0
	s_wait_alu 0xfffd
	v_add_co_ci_u32_e64 v20, null, v15, v20, vcc_lo
	v_dual_mov_b32 v16, v6 :: v_dual_and_b32 v11, 24, v19
	s_delay_alu instid0(VALU_DEP_3)
	v_mov_b32_e32 v25, v12
	v_mov_b32_e32 v15, v5
	v_dual_mov_b32 v27, v12 :: v_dual_mov_b32 v26, v12
	v_mov_b32_e32 v17, v9
	v_cmpx_ne_u64_e32 24, v[11:12]
	s_cbranch_execz .LBB86_21
; %bb.18:
	v_lshrrev_b32_e32 v11, 3, v19
	v_dual_mov_b32 v25, 0 :: v_dual_mov_b32 v18, v10
	v_dual_mov_b32 v17, v9 :: v_dual_mov_b32 v26, 0
	s_delay_alu instid0(VALU_DEP_3) | instskip(SKIP_3) | instid1(VALU_DEP_4)
	v_dual_mov_b32 v16, v6 :: v_dual_add_nc_u32 v21, 1, v11
	v_lshlrev_b64_e32 v[11:12], 3, v[5:6]
	v_mov_b32_e32 v15, v5
	v_mov_b32_e32 v27, 0
	v_and_b32_e32 v23, 3, v21
	s_delay_alu instid0(VALU_DEP_4) | instskip(NEXT) | instid1(VALU_DEP_2)
	v_add_co_u32 v21, vcc_lo, s8, v11
	v_sub_co_u32 v23, s7, 0, v23
	s_wait_alu 0xfffd
	v_add_co_ci_u32_e64 v22, null, s9, v12, vcc_lo
	s_wait_alu 0xf1ff
	v_sub_co_ci_u32_e64 v24, null, 0, 0, s7
	v_mov_b32_e32 v12, 0
	s_mov_b32 s7, 0
.LBB86_19:                              ; =>This Inner Loop Header: Depth=1
	global_load_b64 v[28:29], v[21:22], off
	s_wait_loadcnt 0x0
	v_sub_co_u32 v28, vcc_lo, v28, v1
	s_wait_alu 0xfffd
	v_sub_co_ci_u32_e64 v29, null, v29, v2, vcc_lo
	s_delay_alu instid0(VALU_DEP_1) | instskip(SKIP_1) | instid1(VALU_DEP_1)
	v_lshlrev_b64_e32 v[28:29], 2, v[28:29]
	s_wait_kmcnt 0x0
	v_add_co_u32 v32, vcc_lo, s4, v28
	s_wait_alu 0xfffd
	s_delay_alu instid0(VALU_DEP_2)
	v_add_co_ci_u32_e64 v33, null, s5, v29, vcc_lo
	global_load_b128 v[28:31], v[17:18], off
	global_load_b32 v11, v[32:33], off
	v_add_co_u32 v17, vcc_lo, 0x80, v17
	s_wait_alu 0xfffd
	v_add_co_ci_u32_e64 v18, null, 0, v18, vcc_lo
	v_add_co_u32 v15, vcc_lo, v15, 8
	s_wait_alu 0xfffd
	v_add_co_ci_u32_e64 v16, null, 0, v16, vcc_lo
	;; [unrolled: 3-line block ×4, first 2 shown]
	s_delay_alu instid0(VALU_DEP_1)
	v_cmp_eq_u64_e32 vcc_lo, 0, v[23:24]
	s_wait_alu 0xfffe
	s_or_b32 s7, vcc_lo, s7
	s_wait_loadcnt 0x1
	v_bfe_i32 v32, v28, 0, 8
	v_bfe_i32 v41, v31, 0, 8
	s_wait_loadcnt 0x0
	v_bfe_i32 v44, v11, 0, 8
	v_bfe_i32 v33, v28, 8, 8
	;; [unrolled: 1-line block ×6, first 2 shown]
	v_cvt_f32_i32_e32 v32, v32
	v_cvt_f32_i32_e32 v41, v41
	v_bfe_i32 v45, v11, 8, 8
	v_cvt_f32_i32_e32 v44, v44
	v_bfe_i32 v36, v29, 8, 8
	v_cvt_f32_i32_e32 v33, v33
	v_cvt_f32_i32_e32 v35, v35
	;; [unrolled: 1-line block ×6, first 2 shown]
	v_fmac_f32_e32 v25, v41, v44
	v_fmac_f32_e32 v12, v32, v44
	v_bfe_i32 v34, v28, 16, 8
	v_bfe_i32 v37, v29, 16, 8
	;; [unrolled: 1-line block ×4, first 2 shown]
	v_cvt_f32_i32_e32 v36, v36
	v_bfe_i32 v46, v11, 16, 8
	v_fmac_f32_e32 v25, v42, v45
	v_dual_fmac_f32 v27, v35, v44 :: v_dual_fmac_f32 v12, v33, v45
	v_fmac_f32_e32 v26, v38, v44
	v_ashrrev_i32_e32 v28, 24, v28
	v_ashrrev_i32_e32 v29, 24, v29
	;; [unrolled: 1-line block ×4, first 2 shown]
	v_cvt_f32_i32_e32 v34, v34
	v_cvt_f32_i32_e32 v37, v37
	;; [unrolled: 1-line block ×4, first 2 shown]
	v_ashrrev_i32_e32 v11, 24, v11
	v_cvt_f32_i32_e32 v32, v46
	v_fmac_f32_e32 v27, v36, v45
	v_fmac_f32_e32 v26, v39, v45
	v_cvt_f32_i32_e32 v28, v28
	v_cvt_f32_i32_e32 v29, v29
	;; [unrolled: 1-line block ×5, first 2 shown]
	v_fmac_f32_e32 v27, v37, v32
	v_fmac_f32_e32 v12, v34, v32
	v_fmac_f32_e32 v25, v43, v32
	s_delay_alu instid0(VALU_DEP_3) | instskip(NEXT) | instid1(VALU_DEP_3)
	v_dual_fmac_f32 v26, v40, v32 :: v_dual_fmac_f32 v27, v29, v11
	v_fmac_f32_e32 v12, v28, v11
	s_delay_alu instid0(VALU_DEP_3) | instskip(NEXT) | instid1(VALU_DEP_3)
	v_fmac_f32_e32 v25, v31, v11
	v_fmac_f32_e32 v26, v30, v11
	s_wait_alu 0xfffe
	s_and_not1_b32 exec_lo, exec_lo, s7
	s_cbranch_execnz .LBB86_19
; %bb.20:
	s_or_b32 exec_lo, exec_lo, s7
.LBB86_21:
	s_wait_alu 0xfffe
	s_or_b32 exec_lo, exec_lo, s3
	s_delay_alu instid0(SALU_CYCLE_1)
	s_mov_b32 s3, exec_lo
	v_cmpx_lt_u64_e32 23, v[19:20]
	s_cbranch_execz .LBB86_25
; %bb.22:
	v_lshlrev_b64_e32 v[19:20], 3, v[15:16]
	s_mov_b32 s7, 0
	s_delay_alu instid0(VALU_DEP_1) | instskip(SKIP_1) | instid1(VALU_DEP_2)
	v_add_co_u32 v11, vcc_lo, s8, v19
	s_wait_alu 0xfffd
	v_add_co_ci_u32_e64 v20, null, s9, v20, vcc_lo
	s_delay_alu instid0(VALU_DEP_2) | instskip(SKIP_1) | instid1(VALU_DEP_2)
	v_add_co_u32 v19, vcc_lo, 0x80, v11
	s_wait_alu 0xfffd
	v_add_co_ci_u32_e64 v20, null, 0, v20, vcc_lo
.LBB86_23:                              ; =>This Inner Loop Header: Depth=1
	s_clause 0x3
	global_load_b64 v[40:41], v[19:20], off offset:-128
	global_load_b64 v[42:43], v[19:20], off offset:-64
	global_load_b64 v[44:45], v[19:20], off
	global_load_b64 v[46:47], v[19:20], off offset:64
	s_clause 0x3
	global_load_b128 v[21:24], v[17:18], off
	global_load_b128 v[28:31], v[17:18], off offset:128
	global_load_b128 v[32:35], v[17:18], off offset:256
	;; [unrolled: 1-line block ×3, first 2 shown]
	s_wait_loadcnt 0x7
	v_sub_co_u32 v40, vcc_lo, v40, v1
	s_wait_alu 0xfffd
	v_sub_co_ci_u32_e64 v41, null, v41, v2, vcc_lo
	s_wait_loadcnt 0x6
	v_sub_co_u32 v42, vcc_lo, v42, v1
	s_wait_alu 0xfffd
	v_sub_co_ci_u32_e64 v43, null, v43, v2, vcc_lo
	;; [unrolled: 4-line block ×3, first 2 shown]
	s_wait_loadcnt 0x4
	v_sub_co_u32 v46, vcc_lo, v46, v1
	v_lshlrev_b64_e32 v[40:41], 2, v[40:41]
	s_wait_alu 0xfffd
	v_sub_co_ci_u32_e64 v47, null, v47, v2, vcc_lo
	v_lshlrev_b64_e32 v[42:43], 2, v[42:43]
	v_lshlrev_b64_e32 v[44:45], 2, v[44:45]
	s_wait_loadcnt 0x3
	v_bfe_i32 v52, v24, 0, 8
	v_lshlrev_b64_e32 v[46:47], 2, v[46:47]
	s_wait_kmcnt 0x0
	v_add_co_u32 v40, vcc_lo, s4, v40
	s_wait_alu 0xfffd
	v_add_co_ci_u32_e64 v41, null, s5, v41, vcc_lo
	v_add_co_u32 v42, vcc_lo, s4, v42
	s_wait_alu 0xfffd
	v_add_co_ci_u32_e64 v43, null, s5, v43, vcc_lo
	;; [unrolled: 3-line block ×4, first 2 shown]
	s_clause 0x3
	global_load_b32 v11, v[40:41], off
	global_load_b32 v40, v[42:43], off
	;; [unrolled: 1-line block ×4, first 2 shown]
	v_bfe_i32 v43, v21, 0, 8
	v_bfe_i32 v44, v21, 8, 8
	;; [unrolled: 1-line block ×6, first 2 shown]
	v_cvt_f32_i32_e32 v43, v43
	v_cvt_f32_i32_e32 v52, v52
	v_bfe_i32 v45, v21, 16, 8
	v_bfe_i32 v47, v22, 8, 8
	v_cvt_f32_i32_e32 v44, v44
	v_cvt_f32_i32_e32 v46, v46
	v_cvt_f32_i32_e32 v49, v49
	v_cvt_f32_i32_e32 v50, v50
	v_cvt_f32_i32_e32 v53, v53
	v_ashrrev_i32_e32 v21, 24, v21
	v_bfe_i32 v48, v22, 16, 8
	v_bfe_i32 v51, v23, 16, 8
	;; [unrolled: 1-line block ×3, first 2 shown]
	s_wait_loadcnt 0x6
	v_bfe_i32 v60, v29, 16, 8
	v_cvt_f32_i32_e32 v45, v45
	v_cvt_f32_i32_e32 v47, v47
	v_ashrrev_i32_e32 v22, 24, v22
	v_ashrrev_i32_e32 v23, 24, v23
	;; [unrolled: 1-line block ×3, first 2 shown]
	v_bfe_i32 v57, v28, 16, 8
	v_bfe_i32 v63, v30, 16, 8
	;; [unrolled: 1-line block ×3, first 2 shown]
	s_wait_loadcnt 0x5
	v_bfe_i32 v70, v33, 0, 8
	v_cvt_f32_i32_e32 v21, v21
	v_cvt_f32_i32_e32 v48, v48
	;; [unrolled: 1-line block ×5, first 2 shown]
	v_bfe_i32 v55, v28, 0, 8
	v_bfe_i32 v58, v29, 0, 8
	;; [unrolled: 1-line block ×7, first 2 shown]
	v_cvt_f32_i32_e32 v22, v22
	v_cvt_f32_i32_e32 v23, v23
	;; [unrolled: 1-line block ×7, first 2 shown]
	v_bfe_i32 v56, v28, 8, 8
	v_bfe_i32 v59, v29, 8, 8
	v_bfe_i32 v62, v30, 8, 8
	v_bfe_i32 v65, v31, 8, 8
	v_bfe_i32 v69, v32, 16, 8
	v_bfe_i32 v72, v33, 16, 8
	v_bfe_i32 v75, v34, 16, 8
	v_bfe_i32 v78, v35, 16, 8
	v_cvt_f32_i32_e32 v55, v55
	v_cvt_f32_i32_e32 v58, v58
	;; [unrolled: 1-line block ×7, first 2 shown]
	s_wait_loadcnt 0x4
	v_bfe_i32 v79, v36, 0, 8
	v_bfe_i32 v82, v37, 0, 8
	v_bfe_i32 v85, v38, 0, 8
	v_bfe_i32 v88, v39, 0, 8
	v_cvt_f32_i32_e32 v56, v56
	v_cvt_f32_i32_e32 v59, v59
	;; [unrolled: 1-line block ×8, first 2 shown]
	v_ashrrev_i32_e32 v28, 24, v28
	v_ashrrev_i32_e32 v29, 24, v29
	;; [unrolled: 1-line block ×4, first 2 shown]
	v_cvt_f32_i32_e32 v79, v79
	v_cvt_f32_i32_e32 v82, v82
	;; [unrolled: 1-line block ×4, first 2 shown]
	v_bfe_i32 v81, v36, 16, 8
	v_bfe_i32 v84, v37, 16, 8
	;; [unrolled: 1-line block ×4, first 2 shown]
	v_cvt_f32_i32_e32 v28, v28
	v_cvt_f32_i32_e32 v29, v29
	;; [unrolled: 1-line block ×4, first 2 shown]
	v_bfe_i32 v68, v32, 8, 8
	v_bfe_i32 v71, v33, 8, 8
	;; [unrolled: 1-line block ×4, first 2 shown]
	v_cvt_f32_i32_e32 v81, v81
	v_cvt_f32_i32_e32 v84, v84
	;; [unrolled: 1-line block ×8, first 2 shown]
	v_ashrrev_i32_e32 v32, 24, v32
	v_ashrrev_i32_e32 v33, 24, v33
	;; [unrolled: 1-line block ×4, first 2 shown]
	v_bfe_i32 v80, v36, 8, 8
	v_cvt_f32_i32_e32 v32, v32
	v_cvt_f32_i32_e32 v33, v33
	;; [unrolled: 1-line block ×4, first 2 shown]
	v_bfe_i32 v83, v37, 8, 8
	v_bfe_i32 v86, v38, 8, 8
	;; [unrolled: 1-line block ×3, first 2 shown]
	v_cvt_f32_i32_e32 v80, v80
	v_add_co_u32 v17, vcc_lo, 0x200, v17
	v_cvt_f32_i32_e32 v83, v83
	v_cvt_f32_i32_e32 v86, v86
	;; [unrolled: 1-line block ×3, first 2 shown]
	s_wait_alu 0xfffd
	v_add_co_ci_u32_e64 v18, null, 0, v18, vcc_lo
	v_add_co_u32 v15, vcc_lo, v15, 32
	v_ashrrev_i32_e32 v36, 24, v36
	v_ashrrev_i32_e32 v37, 24, v37
	;; [unrolled: 1-line block ×4, first 2 shown]
	s_wait_alu 0xfffd
	v_add_co_ci_u32_e64 v16, null, 0, v16, vcc_lo
	v_add_co_u32 v19, vcc_lo, 0x100, v19
	v_cvt_f32_i32_e32 v36, v36
	v_cvt_f32_i32_e32 v37, v37
	;; [unrolled: 1-line block ×4, first 2 shown]
	s_wait_alu 0xfffd
	v_add_co_ci_u32_e64 v20, null, 0, v20, vcc_lo
	v_cmp_ge_i64_e32 vcc_lo, v[15:16], v[7:8]
	s_wait_alu 0xfffe
	s_or_b32 s7, vcc_lo, s7
	s_wait_loadcnt 0x3
	v_bfe_i32 v91, v11, 0, 8
	v_bfe_i32 v92, v11, 8, 8
	;; [unrolled: 1-line block ×3, first 2 shown]
	v_ashrrev_i32_e32 v11, 24, v11
	s_wait_loadcnt 0x2
	v_bfe_i32 v96, v40, 16, 8
	v_cvt_f32_i32_e32 v91, v91
	v_cvt_f32_i32_e32 v92, v92
	v_bfe_i32 v94, v40, 0, 8
	v_cvt_f32_i32_e32 v11, v11
	v_bfe_i32 v95, v40, 8, 8
	v_fmac_f32_e32 v25, v52, v91
	v_fmac_f32_e32 v12, v43, v91
	v_cvt_f32_i32_e32 v43, v93
	v_ashrrev_i32_e32 v40, 24, v40
	s_wait_loadcnt 0x1
	v_bfe_i32 v97, v41, 0, 8
	v_fmac_f32_e32 v25, v53, v92
	v_dual_fmac_f32 v27, v46, v91 :: v_dual_fmac_f32 v12, v44, v92
	v_fmac_f32_e32 v26, v49, v91
	v_bfe_i32 v98, v41, 8, 8
	v_bfe_i32 v99, v41, 16, 8
	s_delay_alu instid0(VALU_DEP_4) | instskip(NEXT) | instid1(VALU_DEP_4)
	v_dual_fmac_f32 v27, v47, v92 :: v_dual_fmac_f32 v12, v45, v43
	v_fmac_f32_e32 v26, v50, v92
	v_ashrrev_i32_e32 v41, 24, v41
	s_wait_loadcnt 0x0
	v_bfe_i32 v100, v42, 0, 8
	v_bfe_i32 v101, v42, 8, 8
	v_fmac_f32_e32 v12, v21, v11
	v_cvt_f32_i32_e32 v21, v96
	v_fmac_f32_e32 v27, v48, v43
	v_fmac_f32_e32 v26, v51, v43
	;; [unrolled: 1-line block ×3, first 2 shown]
	v_cvt_f32_i32_e32 v43, v94
	v_bfe_i32 v102, v42, 16, 8
	v_fmac_f32_e32 v27, v22, v11
	v_fmac_f32_e32 v26, v23, v11
	;; [unrolled: 1-line block ×3, first 2 shown]
	v_cvt_f32_i32_e32 v11, v95
	v_fmac_f32_e32 v12, v55, v43
	v_fmac_f32_e32 v27, v58, v43
	;; [unrolled: 1-line block ×4, first 2 shown]
	v_ashrrev_i32_e32 v42, 24, v42
	v_fmac_f32_e32 v12, v56, v11
	v_fmac_f32_e32 v27, v59, v11
	v_fmac_f32_e32 v26, v62, v11
	v_fmac_f32_e32 v25, v65, v11
	v_cvt_f32_i32_e32 v11, v40
	v_fmac_f32_e32 v12, v57, v21
	v_fmac_f32_e32 v27, v60, v21
	v_fmac_f32_e32 v26, v63, v21
	v_fmac_f32_e32 v25, v66, v21
	v_cvt_f32_i32_e32 v21, v97
	;; [unrolled: 5-line block ×9, first 2 shown]
	v_fmac_f32_e32 v12, v81, v21
	v_fmac_f32_e32 v27, v84, v21
	;; [unrolled: 1-line block ×3, first 2 shown]
	s_delay_alu instid0(VALU_DEP_3) | instskip(NEXT) | instid1(VALU_DEP_3)
	v_dual_fmac_f32 v25, v90, v21 :: v_dual_fmac_f32 v12, v36, v11
	v_fmac_f32_e32 v27, v37, v11
	s_delay_alu instid0(VALU_DEP_3) | instskip(NEXT) | instid1(VALU_DEP_3)
	v_fmac_f32_e32 v26, v38, v11
	v_fmac_f32_e32 v25, v39, v11
	s_wait_alu 0xfffe
	s_and_not1_b32 exec_lo, exec_lo, s7
	s_cbranch_execnz .LBB86_23
; %bb.24:
	s_or_b32 exec_lo, exec_lo, s7
.LBB86_25:
	s_wait_alu 0xfffe
	s_or_b32 exec_lo, exec_lo, s3
.LBB86_26:
	s_wait_alu 0xfffe
	s_or_b32 exec_lo, exec_lo, s6
	s_cbranch_execz .LBB86_28
	s_branch .LBB86_39
.LBB86_27:
                                        ; implicit-def: $vgpr25
                                        ; implicit-def: $vgpr26
                                        ; implicit-def: $vgpr27
                                        ; implicit-def: $vgpr12
.LBB86_28:
	v_dual_mov_b32 v25, 0 :: v_dual_mov_b32 v26, 0
	v_dual_mov_b32 v27, 0 :: v_dual_mov_b32 v12, 0
	s_and_saveexec_b32 s3, s2
	s_cbranch_execz .LBB86_38
; %bb.29:
	v_or_b32_e32 v11, 8, v0
	v_sub_co_u32 v15, s2, v1, v0
	s_wait_alu 0xf1ff
	v_subrev_co_ci_u32_e64 v16, null, 0, v2, s2
	s_delay_alu instid0(VALU_DEP_3)
	v_sub_co_u32 v11, vcc_lo, v11, v1
	s_wait_alu 0xfffd
	v_sub_co_ci_u32_e64 v12, null, 0, v2, vcc_lo
	s_mov_b32 s2, exec_lo
	v_add_co_u32 v11, vcc_lo, v11, v13
	s_wait_alu 0xfffd
	v_add_co_ci_u32_e64 v12, null, v12, v14, vcc_lo
	v_not_b32_e32 v13, v13
	v_not_b32_e32 v14, v14
	s_delay_alu instid0(VALU_DEP_3)
	v_cmp_gt_i64_e32 vcc_lo, v[11:12], v[7:8]
	s_wait_alu 0xfffd
	v_cndmask_b32_e32 v17, v8, v12, vcc_lo
	v_cndmask_b32_e32 v11, v7, v11, vcc_lo
	v_add_co_u32 v12, vcc_lo, v15, v13
	s_wait_alu 0xfffd
	v_add_co_ci_u32_e64 v14, null, v16, v14, vcc_lo
	s_delay_alu instid0(VALU_DEP_2) | instskip(SKIP_2) | instid1(VALU_DEP_3)
	v_add_co_u32 v13, vcc_lo, v12, v11
	v_mov_b32_e32 v12, 0
	s_wait_alu 0xfffd
	v_add_co_ci_u32_e64 v14, null, v14, v17, vcc_lo
	s_delay_alu instid0(VALU_DEP_3) | instskip(NEXT) | instid1(VALU_DEP_3)
	v_and_b32_e32 v11, 24, v13
	v_dual_mov_b32 v27, v12 :: v_dual_mov_b32 v26, v12
	v_mov_b32_e32 v25, v12
	s_delay_alu instid0(VALU_DEP_3)
	v_cmpx_ne_u64_e32 24, v[11:12]
	s_cbranch_execz .LBB86_33
; %bb.30:
	v_lshrrev_b32_e32 v11, 3, v13
	v_mov_b32_e32 v25, 0
	v_dual_mov_b32 v27, 0 :: v_dual_mov_b32 v26, 0
	s_delay_alu instid0(VALU_DEP_3) | instskip(SKIP_1) | instid1(VALU_DEP_2)
	v_add_nc_u32_e32 v15, 1, v11
	v_lshlrev_b64_e32 v[11:12], 3, v[5:6]
	v_and_b32_e32 v17, 3, v15
	s_delay_alu instid0(VALU_DEP_2) | instskip(SKIP_1) | instid1(VALU_DEP_3)
	v_add_co_u32 v15, vcc_lo, s8, v11
	s_wait_alu 0xfffd
	v_add_co_ci_u32_e64 v16, null, s9, v12, vcc_lo
	s_delay_alu instid0(VALU_DEP_3)
	v_sub_co_u32 v17, s6, 0, v17
	s_wait_alu 0xf1ff
	v_sub_co_ci_u32_e64 v18, null, 0, 0, s6
	v_mov_b32_e32 v12, 0
	s_mov_b32 s6, 0
.LBB86_31:                              ; =>This Inner Loop Header: Depth=1
	global_load_b64 v[19:20], v[15:16], off
	s_wait_loadcnt 0x0
	v_sub_co_u32 v19, vcc_lo, v19, v1
	s_wait_alu 0xfffd
	v_sub_co_ci_u32_e64 v20, null, v20, v2, vcc_lo
	s_delay_alu instid0(VALU_DEP_1) | instskip(SKIP_1) | instid1(VALU_DEP_1)
	v_lshlrev_b64_e32 v[19:20], 2, v[19:20]
	s_wait_kmcnt 0x0
	v_add_co_u32 v23, vcc_lo, s4, v19
	s_wait_alu 0xfffd
	s_delay_alu instid0(VALU_DEP_2)
	v_add_co_ci_u32_e64 v24, null, s5, v20, vcc_lo
	global_load_b128 v[19:22], v[9:10], off
	global_load_b32 v11, v[23:24], off
	v_add_co_u32 v9, vcc_lo, 0x80, v9
	s_wait_alu 0xfffd
	v_add_co_ci_u32_e64 v10, null, 0, v10, vcc_lo
	v_add_co_u32 v5, vcc_lo, v5, 8
	s_wait_alu 0xfffd
	v_add_co_ci_u32_e64 v6, null, 0, v6, vcc_lo
	;; [unrolled: 3-line block ×4, first 2 shown]
	s_delay_alu instid0(VALU_DEP_1)
	v_cmp_eq_u64_e32 vcc_lo, 0, v[17:18]
	s_wait_alu 0xfffe
	s_or_b32 s6, vcc_lo, s6
	s_wait_loadcnt 0x1
	v_bfe_i32 v23, v19, 0, 8
	v_bfe_i32 v24, v19, 8, 8
	s_wait_loadcnt 0x0
	v_bfe_i32 v38, v11, 0, 8
	v_bfe_i32 v28, v19, 16, 8
	v_ashrrev_i32_e32 v19, 24, v19
	v_bfe_i32 v29, v20, 0, 8
	v_bfe_i32 v30, v20, 8, 8
	v_cvt_f32_i32_e32 v23, v23
	v_cvt_f32_i32_e32 v24, v24
	v_bfe_i32 v39, v11, 8, 8
	v_cvt_f32_i32_e32 v38, v38
	v_bfe_i32 v31, v20, 16, 8
	v_ashrrev_i32_e32 v20, 24, v20
	v_bfe_i32 v32, v21, 0, 8
	v_bfe_i32 v33, v21, 8, 8
	v_cvt_f32_i32_e32 v28, v28
	v_cvt_f32_i32_e32 v19, v19
	;; [unrolled: 1-line block ×4, first 2 shown]
	v_bfe_i32 v40, v11, 16, 8
	v_cvt_f32_i32_e32 v39, v39
	v_fmac_f32_e32 v27, v24, v38
	v_fmac_f32_e32 v12, v23, v38
	v_bfe_i32 v34, v21, 16, 8
	v_ashrrev_i32_e32 v21, 24, v21
	v_cvt_f32_i32_e32 v31, v31
	v_cvt_f32_i32_e32 v20, v20
	;; [unrolled: 1-line block ×4, first 2 shown]
	v_fmac_f32_e32 v27, v30, v39
	v_dual_fmac_f32 v12, v29, v39 :: v_dual_fmac_f32 v25, v19, v38
	v_cvt_f32_i32_e32 v19, v40
	v_fmac_f32_e32 v26, v28, v38
	v_bfe_i32 v35, v22, 0, 8
	v_bfe_i32 v36, v22, 8, 8
	;; [unrolled: 1-line block ×3, first 2 shown]
	v_ashrrev_i32_e32 v22, 24, v22
	v_cvt_f32_i32_e32 v34, v34
	v_cvt_f32_i32_e32 v21, v21
	v_ashrrev_i32_e32 v11, 24, v11
	v_fmac_f32_e32 v12, v32, v19
	v_fmac_f32_e32 v25, v20, v39
	;; [unrolled: 1-line block ×4, first 2 shown]
	v_cvt_f32_i32_e32 v35, v35
	v_cvt_f32_i32_e32 v36, v36
	;; [unrolled: 1-line block ×5, first 2 shown]
	v_fmac_f32_e32 v26, v34, v19
	v_fmac_f32_e32 v25, v21, v19
	s_delay_alu instid0(VALU_DEP_3) | instskip(SKIP_1) | instid1(VALU_DEP_4)
	v_fmac_f32_e32 v12, v35, v11
	v_fmac_f32_e32 v27, v36, v11
	;; [unrolled: 1-line block ×3, first 2 shown]
	s_delay_alu instid0(VALU_DEP_4)
	v_fmac_f32_e32 v25, v22, v11
	s_wait_alu 0xfffe
	s_and_not1_b32 exec_lo, exec_lo, s6
	s_cbranch_execnz .LBB86_31
; %bb.32:
	s_or_b32 exec_lo, exec_lo, s6
.LBB86_33:
	s_wait_alu 0xfffe
	s_or_b32 exec_lo, exec_lo, s2
	s_delay_alu instid0(SALU_CYCLE_1)
	s_mov_b32 s2, exec_lo
	v_cmpx_lt_u64_e32 23, v[13:14]
	s_cbranch_execz .LBB86_37
; %bb.34:
	v_lshlrev_b64_e32 v[13:14], 3, v[5:6]
	s_mov_b32 s6, 0
	s_delay_alu instid0(VALU_DEP_1) | instskip(SKIP_1) | instid1(VALU_DEP_2)
	v_add_co_u32 v11, vcc_lo, s8, v13
	s_wait_alu 0xfffd
	v_add_co_ci_u32_e64 v14, null, s9, v14, vcc_lo
	s_delay_alu instid0(VALU_DEP_2) | instskip(SKIP_1) | instid1(VALU_DEP_2)
	v_add_co_u32 v13, vcc_lo, 0x80, v11
	s_wait_alu 0xfffd
	v_add_co_ci_u32_e64 v14, null, 0, v14, vcc_lo
.LBB86_35:                              ; =>This Inner Loop Header: Depth=1
	s_clause 0x3
	global_load_b64 v[23:24], v[13:14], off offset:-128
	global_load_b64 v[36:37], v[13:14], off offset:-64
	global_load_b64 v[38:39], v[13:14], off
	global_load_b64 v[40:41], v[13:14], off offset:64
	s_clause 0x3
	global_load_b128 v[15:18], v[9:10], off
	global_load_b128 v[19:22], v[9:10], off offset:128
	global_load_b128 v[28:31], v[9:10], off offset:256
	;; [unrolled: 1-line block ×3, first 2 shown]
	s_wait_loadcnt 0x7
	v_sub_co_u32 v23, vcc_lo, v23, v1
	s_wait_alu 0xfffd
	v_sub_co_ci_u32_e64 v24, null, v24, v2, vcc_lo
	s_wait_loadcnt 0x6
	v_sub_co_u32 v36, vcc_lo, v36, v1
	s_wait_alu 0xfffd
	v_sub_co_ci_u32_e64 v37, null, v37, v2, vcc_lo
	s_wait_loadcnt 0x5
	v_sub_co_u32 v38, vcc_lo, v38, v1
	s_wait_alu 0xfffd
	v_sub_co_ci_u32_e64 v39, null, v39, v2, vcc_lo
	s_wait_loadcnt 0x4
	v_sub_co_u32 v40, vcc_lo, v40, v1
	v_lshlrev_b64_e32 v[23:24], 2, v[23:24]
	s_wait_alu 0xfffd
	v_sub_co_ci_u32_e64 v41, null, v41, v2, vcc_lo
	v_lshlrev_b64_e32 v[36:37], 2, v[36:37]
	v_lshlrev_b64_e32 v[38:39], 2, v[38:39]
	s_wait_loadcnt 0x3
	v_bfe_i32 v42, v16, 16, 8
	v_lshlrev_b64_e32 v[40:41], 2, v[40:41]
	s_wait_kmcnt 0x0
	v_add_co_u32 v23, vcc_lo, s4, v23
	s_wait_alu 0xfffd
	v_add_co_ci_u32_e64 v24, null, s5, v24, vcc_lo
	v_add_co_u32 v36, vcc_lo, s4, v36
	s_wait_alu 0xfffd
	v_add_co_ci_u32_e64 v37, null, s5, v37, vcc_lo
	;; [unrolled: 3-line block ×4, first 2 shown]
	s_clause 0x3
	global_load_b32 v11, v[23:24], off
	global_load_b32 v23, v[36:37], off
	;; [unrolled: 1-line block ×4, first 2 shown]
	v_bfe_i32 v37, v15, 0, 8
	v_bfe_i32 v38, v15, 8, 8
	;; [unrolled: 1-line block ×3, first 2 shown]
	v_ashrrev_i32_e32 v15, 24, v15
	v_bfe_i32 v40, v16, 0, 8
	v_bfe_i32 v41, v16, 8, 8
	v_ashrrev_i32_e32 v16, 24, v16
	v_cvt_f32_i32_e32 v37, v37
	v_cvt_f32_i32_e32 v15, v15
	;; [unrolled: 1-line block ×7, first 2 shown]
	v_bfe_i32 v43, v17, 0, 8
	v_bfe_i32 v44, v17, 8, 8
	;; [unrolled: 1-line block ×3, first 2 shown]
	v_ashrrev_i32_e32 v17, 24, v17
	v_cvt_f32_i32_e32 v41, v41
	v_bfe_i32 v46, v18, 0, 8
	v_bfe_i32 v47, v18, 8, 8
	v_bfe_i32 v48, v18, 16, 8
	v_ashrrev_i32_e32 v18, 24, v18
	v_cvt_f32_i32_e32 v43, v43
	v_cvt_f32_i32_e32 v44, v44
	v_cvt_f32_i32_e32 v45, v45
	v_cvt_f32_i32_e32 v17, v17
	s_wait_loadcnt 0x6
	v_bfe_i32 v49, v19, 0, 8
	v_bfe_i32 v50, v19, 8, 8
	v_bfe_i32 v51, v19, 16, 8
	v_ashrrev_i32_e32 v19, 24, v19
	v_cvt_f32_i32_e32 v46, v46
	v_cvt_f32_i32_e32 v47, v47
	v_cvt_f32_i32_e32 v48, v48
	v_cvt_f32_i32_e32 v18, v18
	v_bfe_i32 v52, v20, 0, 8
	v_bfe_i32 v53, v20, 8, 8
	v_bfe_i32 v54, v20, 16, 8
	v_ashrrev_i32_e32 v20, 24, v20
	v_cvt_f32_i32_e32 v49, v49
	v_cvt_f32_i32_e32 v50, v50
	v_cvt_f32_i32_e32 v51, v51
	v_cvt_f32_i32_e32 v19, v19
	v_bfe_i32 v55, v21, 0, 8
	v_bfe_i32 v56, v21, 8, 8
	v_bfe_i32 v57, v21, 16, 8
	v_ashrrev_i32_e32 v21, 24, v21
	v_cvt_f32_i32_e32 v52, v52
	v_cvt_f32_i32_e32 v53, v53
	v_cvt_f32_i32_e32 v54, v54
	v_cvt_f32_i32_e32 v20, v20
	v_bfe_i32 v58, v22, 0, 8
	v_bfe_i32 v59, v22, 8, 8
	v_bfe_i32 v60, v22, 16, 8
	v_ashrrev_i32_e32 v22, 24, v22
	v_cvt_f32_i32_e32 v55, v55
	v_cvt_f32_i32_e32 v56, v56
	v_cvt_f32_i32_e32 v57, v57
	v_cvt_f32_i32_e32 v21, v21
	s_wait_loadcnt 0x5
	v_bfe_i32 v61, v28, 0, 8
	v_bfe_i32 v62, v28, 8, 8
	v_bfe_i32 v63, v28, 16, 8
	v_ashrrev_i32_e32 v28, 24, v28
	v_cvt_f32_i32_e32 v58, v58
	v_cvt_f32_i32_e32 v59, v59
	v_cvt_f32_i32_e32 v60, v60
	v_cvt_f32_i32_e32 v22, v22
	v_bfe_i32 v64, v29, 0, 8
	v_bfe_i32 v65, v29, 8, 8
	v_bfe_i32 v66, v29, 16, 8
	v_ashrrev_i32_e32 v29, 24, v29
	v_cvt_f32_i32_e32 v61, v61
	v_cvt_f32_i32_e32 v62, v62
	v_cvt_f32_i32_e32 v63, v63
	v_cvt_f32_i32_e32 v28, v28
	v_bfe_i32 v67, v30, 0, 8
	v_bfe_i32 v68, v30, 8, 8
	v_bfe_i32 v69, v30, 16, 8
	v_ashrrev_i32_e32 v30, 24, v30
	v_cvt_f32_i32_e32 v64, v64
	v_cvt_f32_i32_e32 v65, v65
	v_cvt_f32_i32_e32 v66, v66
	;; [unrolled: 33-line block ×3, first 2 shown]
	v_cvt_f32_i32_e32 v33, v33
	v_add_co_u32 v9, vcc_lo, 0x200, v9
	s_wait_alu 0xfffd
	v_add_co_ci_u32_e64 v10, null, 0, v10, vcc_lo
	v_add_co_u32 v5, vcc_lo, v5, 32
	v_bfe_i32 v82, v35, 0, 8
	v_bfe_i32 v83, v35, 8, 8
	;; [unrolled: 1-line block ×3, first 2 shown]
	v_ashrrev_i32_e32 v35, 24, v35
	v_cvt_f32_i32_e32 v79, v79
	v_cvt_f32_i32_e32 v80, v80
	;; [unrolled: 1-line block ×4, first 2 shown]
	s_wait_alu 0xfffd
	v_add_co_ci_u32_e64 v6, null, 0, v6, vcc_lo
	v_add_co_u32 v13, vcc_lo, 0x100, v13
	v_cvt_f32_i32_e32 v82, v82
	v_cvt_f32_i32_e32 v83, v83
	v_cvt_f32_i32_e32 v84, v84
	v_cvt_f32_i32_e32 v35, v35
	s_wait_alu 0xfffd
	v_add_co_ci_u32_e64 v14, null, 0, v14, vcc_lo
	v_cmp_ge_i64_e32 vcc_lo, v[5:6], v[7:8]
	s_wait_alu 0xfffe
	s_or_b32 s6, vcc_lo, s6
	s_wait_loadcnt 0x3
	v_bfe_i32 v85, v11, 0, 8
	v_bfe_i32 v86, v11, 8, 8
	;; [unrolled: 1-line block ×3, first 2 shown]
	v_ashrrev_i32_e32 v11, 24, v11
	s_wait_loadcnt 0x2
	v_bfe_i32 v88, v23, 0, 8
	v_cvt_f32_i32_e32 v85, v85
	v_cvt_f32_i32_e32 v86, v86
	v_bfe_i32 v89, v23, 8, 8
	v_cvt_f32_i32_e32 v11, v11
	v_bfe_i32 v90, v23, 16, 8
	v_fmac_f32_e32 v25, v15, v85
	v_fmac_f32_e32 v12, v37, v85
	v_cvt_f32_i32_e32 v15, v87
	v_ashrrev_i32_e32 v23, 24, v23
	s_wait_loadcnt 0x1
	v_bfe_i32 v91, v24, 0, 8
	v_fmac_f32_e32 v25, v16, v86
	v_dual_fmac_f32 v27, v38, v85 :: v_dual_fmac_f32 v12, v40, v86
	v_fmac_f32_e32 v26, v39, v85
	v_bfe_i32 v92, v24, 8, 8
	s_delay_alu instid0(VALU_DEP_4) | instskip(NEXT) | instid1(VALU_DEP_4)
	v_fmac_f32_e32 v25, v17, v15
	v_dual_fmac_f32 v27, v41, v86 :: v_dual_fmac_f32 v12, v43, v15
	s_delay_alu instid0(VALU_DEP_4) | instskip(SKIP_1) | instid1(VALU_DEP_4)
	v_fmac_f32_e32 v26, v42, v86
	v_bfe_i32 v93, v24, 16, 8
	v_fmac_f32_e32 v25, v18, v11
	s_delay_alu instid0(VALU_DEP_4)
	v_fmac_f32_e32 v27, v44, v15
	v_fmac_f32_e32 v12, v46, v11
	;; [unrolled: 1-line block ×3, first 2 shown]
	v_cvt_f32_i32_e32 v15, v88
	v_ashrrev_i32_e32 v24, 24, v24
	v_fmac_f32_e32 v27, v47, v11
	s_wait_loadcnt 0x0
	v_bfe_i32 v94, v36, 0, 8
	v_fmac_f32_e32 v26, v48, v11
	v_cvt_f32_i32_e32 v11, v89
	v_fmac_f32_e32 v12, v49, v15
	v_fmac_f32_e32 v27, v50, v15
	v_fmac_f32_e32 v25, v19, v15
	v_fmac_f32_e32 v26, v51, v15
	v_cvt_f32_i32_e32 v15, v90
	v_fmac_f32_e32 v12, v52, v11
	v_fmac_f32_e32 v27, v53, v11
	v_fmac_f32_e32 v25, v20, v11
	;; [unrolled: 5-line block ×7, first 2 shown]
	v_fmac_f32_e32 v26, v69, v15
	v_bfe_i32 v95, v36, 8, 8
	v_cvt_f32_i32_e32 v15, v94
	v_fmac_f32_e32 v12, v70, v11
	v_fmac_f32_e32 v27, v71, v11
	v_fmac_f32_e32 v26, v72, v11
	v_fmac_f32_e32 v25, v31, v11
	v_bfe_i32 v96, v36, 16, 8
	v_cvt_f32_i32_e32 v11, v95
	v_fmac_f32_e32 v12, v73, v15
	v_fmac_f32_e32 v27, v74, v15
	;; [unrolled: 1-line block ×4, first 2 shown]
	v_ashrrev_i32_e32 v36, 24, v36
	v_cvt_f32_i32_e32 v15, v96
	v_fmac_f32_e32 v12, v76, v11
	v_fmac_f32_e32 v27, v77, v11
	;; [unrolled: 1-line block ×4, first 2 shown]
	v_cvt_f32_i32_e32 v11, v36
	v_fmac_f32_e32 v12, v79, v15
	v_fmac_f32_e32 v27, v80, v15
	;; [unrolled: 1-line block ×4, first 2 shown]
	s_delay_alu instid0(VALU_DEP_4) | instskip(NEXT) | instid1(VALU_DEP_4)
	v_fmac_f32_e32 v12, v82, v11
	v_fmac_f32_e32 v27, v83, v11
	s_delay_alu instid0(VALU_DEP_4) | instskip(NEXT) | instid1(VALU_DEP_4)
	v_fmac_f32_e32 v26, v84, v11
	v_fmac_f32_e32 v25, v35, v11
	s_wait_alu 0xfffe
	s_and_not1_b32 exec_lo, exec_lo, s6
	s_cbranch_execnz .LBB86_35
; %bb.36:
	s_or_b32 exec_lo, exec_lo, s6
.LBB86_37:
	s_wait_alu 0xfffe
	s_or_b32 exec_lo, exec_lo, s2
.LBB86_38:
	s_wait_alu 0xfffe
	s_or_b32 exec_lo, exec_lo, s3
.LBB86_39:
	v_mbcnt_lo_u32_b32 v1, -1, 0
	s_mov_b32 s2, -1
	s_delay_alu instid0(VALU_DEP_1) | instskip(SKIP_1) | instid1(VALU_DEP_2)
	v_xor_b32_e32 v2, 4, v1
	v_xor_b32_e32 v8, 2, v1
	v_cmp_gt_i32_e32 vcc_lo, 32, v2
	s_wait_alu 0xfffd
	v_cndmask_b32_e32 v2, v1, v2, vcc_lo
	s_delay_alu instid0(VALU_DEP_3) | instskip(NEXT) | instid1(VALU_DEP_2)
	v_cmp_gt_i32_e32 vcc_lo, 32, v8
	v_lshlrev_b32_e32 v2, 2, v2
	ds_bpermute_b32 v7, v2, v26
	s_wait_dscnt 0x0
	v_add_f32_e32 v7, v26, v7
	ds_bpermute_b32 v5, v2, v12
	ds_bpermute_b32 v6, v2, v27
	;; [unrolled: 1-line block ×3, first 2 shown]
	s_wait_alu 0xfffd
	v_cndmask_b32_e32 v8, v1, v8, vcc_lo
	s_wait_dscnt 0x2
	s_delay_alu instid0(VALU_DEP_1)
	v_dual_add_f32 v5, v12, v5 :: v_dual_lshlrev_b32 v8, 2, v8
	v_xor_b32_e32 v12, 1, v1
	s_wait_dscnt 0x0
	v_add_f32_e32 v9, v25, v2
	ds_bpermute_b32 v11, v8, v7
	ds_bpermute_b32 v2, v8, v5
	v_cmp_gt_i32_e32 vcc_lo, 32, v12
	s_wait_alu 0xfffd
	v_dual_add_f32 v6, v27, v6 :: v_dual_cndmask_b32 v1, v1, v12
	ds_bpermute_b32 v10, v8, v6
	ds_bpermute_b32 v8, v8, v9
	v_cmp_eq_u32_e32 vcc_lo, 7, v0
	s_wait_dscnt 0x2
	v_dual_add_f32 v1, v5, v2 :: v_dual_lshlrev_b32 v12, 2, v1
	v_add_f32_e32 v5, v7, v11
	ds_bpermute_b32 v7, v12, v1
	s_wait_dscnt 0x2
	v_add_f32_e32 v2, v6, v10
	s_wait_dscnt 0x1
	v_add_f32_e32 v6, v9, v8
	ds_bpermute_b32 v9, v12, v5
	ds_bpermute_b32 v8, v12, v2
	;; [unrolled: 1-line block ×3, first 2 shown]
	s_and_b32 exec_lo, exec_lo, vcc_lo
	s_cbranch_execz .LBB86_10
; %bb.40:
	s_load_b64 s[0:1], s[0:1], 0x58
	s_wait_dscnt 0x1
	v_dual_add_f32 v0, v1, v7 :: v_dual_add_f32 v1, v2, v8
	s_wait_dscnt 0x0
	v_add_f32_e32 v6, v6, v10
	s_cmp_eq_f32 s16, 0
	s_delay_alu instid0(VALU_DEP_2) | instskip(SKIP_3) | instid1(VALU_DEP_3)
	v_dual_mul_f32 v0, s12, v0 :: v_dual_mul_f32 v1, s12, v1
	v_add_f32_e32 v2, v5, v9
	v_lshlrev_b64_e32 v[4:5], 4, v[3:4]
	v_mul_f32_e32 v3, s12, v6
	v_mul_f32_e32 v2, s12, v2
	s_cbranch_scc0 .LBB86_42
; %bb.41:
	s_wait_kmcnt 0x0
	s_delay_alu instid0(VALU_DEP_3)
	v_add_co_u32 v6, vcc_lo, s0, v4
	s_wait_alu 0xfffd
	v_add_co_ci_u32_e64 v7, null, s1, v5, vcc_lo
	s_mov_b32 s2, 0
	global_store_b128 v[6:7], v[0:3], off
.LBB86_42:
	s_wait_alu 0xfffe
	s_and_not1_b32 vcc_lo, exec_lo, s2
	s_wait_alu 0xfffe
	s_cbranch_vccnz .LBB86_10
; %bb.43:
	s_wait_kmcnt 0x0
	v_add_co_u32 v8, vcc_lo, s0, v4
	s_wait_alu 0xfffd
	v_add_co_ci_u32_e64 v9, null, s1, v5, vcc_lo
	global_load_b128 v[4:7], v[8:9], off
	s_wait_loadcnt 0x0
	v_dual_fmac_f32 v0, s16, v4 :: v_dual_fmac_f32 v1, s16, v5
	v_dual_fmac_f32 v2, s16, v6 :: v_dual_fmac_f32 v3, s16, v7
	global_store_b128 v[8:9], v[0:3], off
	s_nop 0
	s_sendmsg sendmsg(MSG_DEALLOC_VGPRS)
	s_endpgm
	.section	.rodata,"a",@progbits
	.p2align	6, 0x0
	.amdhsa_kernel _ZN9rocsparseL18bsrxmvn_4x4_kernelILj128ELj8EfllaafEEvT3_20rocsparse_direction_NS_24const_host_device_scalarIT1_EES1_PKS1_PKT2_SA_S7_PKT4_PKT5_S5_PT6_21rocsparse_index_base_b
		.amdhsa_group_segment_fixed_size 0
		.amdhsa_private_segment_fixed_size 0
		.amdhsa_kernarg_size 104
		.amdhsa_user_sgpr_count 2
		.amdhsa_user_sgpr_dispatch_ptr 0
		.amdhsa_user_sgpr_queue_ptr 0
		.amdhsa_user_sgpr_kernarg_segment_ptr 1
		.amdhsa_user_sgpr_dispatch_id 0
		.amdhsa_user_sgpr_private_segment_size 0
		.amdhsa_wavefront_size32 1
		.amdhsa_uses_dynamic_stack 0
		.amdhsa_enable_private_segment 0
		.amdhsa_system_sgpr_workgroup_id_x 1
		.amdhsa_system_sgpr_workgroup_id_y 0
		.amdhsa_system_sgpr_workgroup_id_z 0
		.amdhsa_system_sgpr_workgroup_info 0
		.amdhsa_system_vgpr_workitem_id 0
		.amdhsa_next_free_vgpr 103
		.amdhsa_next_free_sgpr 18
		.amdhsa_reserve_vcc 1
		.amdhsa_float_round_mode_32 0
		.amdhsa_float_round_mode_16_64 0
		.amdhsa_float_denorm_mode_32 3
		.amdhsa_float_denorm_mode_16_64 3
		.amdhsa_fp16_overflow 0
		.amdhsa_workgroup_processor_mode 1
		.amdhsa_memory_ordered 1
		.amdhsa_forward_progress 1
		.amdhsa_inst_pref_size 49
		.amdhsa_round_robin_scheduling 0
		.amdhsa_exception_fp_ieee_invalid_op 0
		.amdhsa_exception_fp_denorm_src 0
		.amdhsa_exception_fp_ieee_div_zero 0
		.amdhsa_exception_fp_ieee_overflow 0
		.amdhsa_exception_fp_ieee_underflow 0
		.amdhsa_exception_fp_ieee_inexact 0
		.amdhsa_exception_int_div_zero 0
	.end_amdhsa_kernel
	.section	.text._ZN9rocsparseL18bsrxmvn_4x4_kernelILj128ELj8EfllaafEEvT3_20rocsparse_direction_NS_24const_host_device_scalarIT1_EES1_PKS1_PKT2_SA_S7_PKT4_PKT5_S5_PT6_21rocsparse_index_base_b,"axG",@progbits,_ZN9rocsparseL18bsrxmvn_4x4_kernelILj128ELj8EfllaafEEvT3_20rocsparse_direction_NS_24const_host_device_scalarIT1_EES1_PKS1_PKT2_SA_S7_PKT4_PKT5_S5_PT6_21rocsparse_index_base_b,comdat
.Lfunc_end86:
	.size	_ZN9rocsparseL18bsrxmvn_4x4_kernelILj128ELj8EfllaafEEvT3_20rocsparse_direction_NS_24const_host_device_scalarIT1_EES1_PKS1_PKT2_SA_S7_PKT4_PKT5_S5_PT6_21rocsparse_index_base_b, .Lfunc_end86-_ZN9rocsparseL18bsrxmvn_4x4_kernelILj128ELj8EfllaafEEvT3_20rocsparse_direction_NS_24const_host_device_scalarIT1_EES1_PKS1_PKT2_SA_S7_PKT4_PKT5_S5_PT6_21rocsparse_index_base_b
                                        ; -- End function
	.set _ZN9rocsparseL18bsrxmvn_4x4_kernelILj128ELj8EfllaafEEvT3_20rocsparse_direction_NS_24const_host_device_scalarIT1_EES1_PKS1_PKT2_SA_S7_PKT4_PKT5_S5_PT6_21rocsparse_index_base_b.num_vgpr, 103
	.set _ZN9rocsparseL18bsrxmvn_4x4_kernelILj128ELj8EfllaafEEvT3_20rocsparse_direction_NS_24const_host_device_scalarIT1_EES1_PKS1_PKT2_SA_S7_PKT4_PKT5_S5_PT6_21rocsparse_index_base_b.num_agpr, 0
	.set _ZN9rocsparseL18bsrxmvn_4x4_kernelILj128ELj8EfllaafEEvT3_20rocsparse_direction_NS_24const_host_device_scalarIT1_EES1_PKS1_PKT2_SA_S7_PKT4_PKT5_S5_PT6_21rocsparse_index_base_b.numbered_sgpr, 18
	.set _ZN9rocsparseL18bsrxmvn_4x4_kernelILj128ELj8EfllaafEEvT3_20rocsparse_direction_NS_24const_host_device_scalarIT1_EES1_PKS1_PKT2_SA_S7_PKT4_PKT5_S5_PT6_21rocsparse_index_base_b.num_named_barrier, 0
	.set _ZN9rocsparseL18bsrxmvn_4x4_kernelILj128ELj8EfllaafEEvT3_20rocsparse_direction_NS_24const_host_device_scalarIT1_EES1_PKS1_PKT2_SA_S7_PKT4_PKT5_S5_PT6_21rocsparse_index_base_b.private_seg_size, 0
	.set _ZN9rocsparseL18bsrxmvn_4x4_kernelILj128ELj8EfllaafEEvT3_20rocsparse_direction_NS_24const_host_device_scalarIT1_EES1_PKS1_PKT2_SA_S7_PKT4_PKT5_S5_PT6_21rocsparse_index_base_b.uses_vcc, 1
	.set _ZN9rocsparseL18bsrxmvn_4x4_kernelILj128ELj8EfllaafEEvT3_20rocsparse_direction_NS_24const_host_device_scalarIT1_EES1_PKS1_PKT2_SA_S7_PKT4_PKT5_S5_PT6_21rocsparse_index_base_b.uses_flat_scratch, 0
	.set _ZN9rocsparseL18bsrxmvn_4x4_kernelILj128ELj8EfllaafEEvT3_20rocsparse_direction_NS_24const_host_device_scalarIT1_EES1_PKS1_PKT2_SA_S7_PKT4_PKT5_S5_PT6_21rocsparse_index_base_b.has_dyn_sized_stack, 0
	.set _ZN9rocsparseL18bsrxmvn_4x4_kernelILj128ELj8EfllaafEEvT3_20rocsparse_direction_NS_24const_host_device_scalarIT1_EES1_PKS1_PKT2_SA_S7_PKT4_PKT5_S5_PT6_21rocsparse_index_base_b.has_recursion, 0
	.set _ZN9rocsparseL18bsrxmvn_4x4_kernelILj128ELj8EfllaafEEvT3_20rocsparse_direction_NS_24const_host_device_scalarIT1_EES1_PKS1_PKT2_SA_S7_PKT4_PKT5_S5_PT6_21rocsparse_index_base_b.has_indirect_call, 0
	.section	.AMDGPU.csdata,"",@progbits
; Kernel info:
; codeLenInByte = 6180
; TotalNumSgprs: 20
; NumVgprs: 103
; ScratchSize: 0
; MemoryBound: 0
; FloatMode: 240
; IeeeMode: 1
; LDSByteSize: 0 bytes/workgroup (compile time only)
; SGPRBlocks: 0
; VGPRBlocks: 12
; NumSGPRsForWavesPerEU: 20
; NumVGPRsForWavesPerEU: 103
; Occupancy: 12
; WaveLimiterHint : 1
; COMPUTE_PGM_RSRC2:SCRATCH_EN: 0
; COMPUTE_PGM_RSRC2:USER_SGPR: 2
; COMPUTE_PGM_RSRC2:TRAP_HANDLER: 0
; COMPUTE_PGM_RSRC2:TGID_X_EN: 1
; COMPUTE_PGM_RSRC2:TGID_Y_EN: 0
; COMPUTE_PGM_RSRC2:TGID_Z_EN: 0
; COMPUTE_PGM_RSRC2:TIDIG_COMP_CNT: 0
	.section	.text._ZN9rocsparseL18bsrxmvn_4x4_kernelILj128ELj16EfllaafEEvT3_20rocsparse_direction_NS_24const_host_device_scalarIT1_EES1_PKS1_PKT2_SA_S7_PKT4_PKT5_S5_PT6_21rocsparse_index_base_b,"axG",@progbits,_ZN9rocsparseL18bsrxmvn_4x4_kernelILj128ELj16EfllaafEEvT3_20rocsparse_direction_NS_24const_host_device_scalarIT1_EES1_PKS1_PKT2_SA_S7_PKT4_PKT5_S5_PT6_21rocsparse_index_base_b,comdat
	.globl	_ZN9rocsparseL18bsrxmvn_4x4_kernelILj128ELj16EfllaafEEvT3_20rocsparse_direction_NS_24const_host_device_scalarIT1_EES1_PKS1_PKT2_SA_S7_PKT4_PKT5_S5_PT6_21rocsparse_index_base_b ; -- Begin function _ZN9rocsparseL18bsrxmvn_4x4_kernelILj128ELj16EfllaafEEvT3_20rocsparse_direction_NS_24const_host_device_scalarIT1_EES1_PKS1_PKT2_SA_S7_PKT4_PKT5_S5_PT6_21rocsparse_index_base_b
	.p2align	8
	.type	_ZN9rocsparseL18bsrxmvn_4x4_kernelILj128ELj16EfllaafEEvT3_20rocsparse_direction_NS_24const_host_device_scalarIT1_EES1_PKS1_PKT2_SA_S7_PKT4_PKT5_S5_PT6_21rocsparse_index_base_b,@function
_ZN9rocsparseL18bsrxmvn_4x4_kernelILj128ELj16EfllaafEEvT3_20rocsparse_direction_NS_24const_host_device_scalarIT1_EES1_PKS1_PKT2_SA_S7_PKT4_PKT5_S5_PT6_21rocsparse_index_base_b: ; @_ZN9rocsparseL18bsrxmvn_4x4_kernelILj128ELj16EfllaafEEvT3_20rocsparse_direction_NS_24const_host_device_scalarIT1_EES1_PKS1_PKT2_SA_S7_PKT4_PKT5_S5_PT6_21rocsparse_index_base_b
; %bb.0:
	s_clause 0x2
	s_load_b64 s[2:3], s[0:1], 0x60
	s_load_b128 s[12:15], s[0:1], 0x10
	s_load_b64 s[16:17], s[0:1], 0x50
	s_wait_kmcnt 0x0
	s_bitcmp1_b32 s3, 0
	s_cselect_b32 s3, -1, 0
	s_delay_alu instid0(SALU_CYCLE_1)
	s_and_b32 vcc_lo, exec_lo, s3
	s_xor_b32 s3, s3, -1
	s_cbranch_vccnz .LBB87_2
; %bb.1:
	s_load_b32 s12, s[12:13], 0x0
.LBB87_2:
	s_and_not1_b32 vcc_lo, exec_lo, s3
	s_cbranch_vccnz .LBB87_4
; %bb.3:
	s_load_b32 s16, s[16:17], 0x0
.LBB87_4:
	s_wait_kmcnt 0x0
	s_cmp_neq_f32 s12, 0
	s_mov_b32 s6, 0
	s_cselect_b32 s3, -1, 0
	s_cmp_neq_f32 s16, 1.0
	s_cselect_b32 s4, -1, 0
	s_delay_alu instid0(SALU_CYCLE_1) | instskip(NEXT) | instid1(SALU_CYCLE_1)
	s_or_b32 s3, s3, s4
	s_and_not1_b32 vcc_lo, exec_lo, s3
	s_cbranch_vccnz .LBB87_10
; %bb.5:
	s_load_b64 s[4:5], s[0:1], 0x20
	v_lshrrev_b32_e32 v1, 4, v0
	v_mov_b32_e32 v6, 0
	s_delay_alu instid0(VALU_DEP_2)
	v_lshl_or_b32 v5, ttmp9, 3, v1
	s_wait_kmcnt 0x0
	s_cmp_lg_u64 s[4:5], 0
	s_cbranch_scc0 .LBB87_11
; %bb.6:
	s_mov_b32 s7, 0
                                        ; implicit-def: $vgpr3_vgpr4
                                        ; implicit-def: $vgpr1_vgpr2
	s_mov_b32 s3, exec_lo
	v_cmpx_gt_i64_e64 s[14:15], v[5:6]
	s_xor_b32 s8, exec_lo, s3
	s_cbranch_execz .LBB87_8
; %bb.7:
	v_lshlrev_b64_e32 v[1:2], 3, v[5:6]
	s_mov_b32 s3, 0
	s_mov_b32 s6, exec_lo
	s_delay_alu instid0(VALU_DEP_1) | instskip(NEXT) | instid1(VALU_DEP_1)
	v_add_co_u32 v1, vcc_lo, s4, v1
	v_add_co_ci_u32_e64 v2, null, s5, v2, vcc_lo
	global_load_b64 v[1:2], v[1:2], off
	s_wait_loadcnt 0x0
	v_sub_co_u32 v3, vcc_lo, v1, s2
	s_wait_alu 0xfffd
	v_subrev_co_ci_u32_e64 v4, null, 0, v2, vcc_lo
	v_dual_mov_b32 v1, s2 :: v_dual_mov_b32 v2, s3
.LBB87_8:
	s_or_b32 exec_lo, exec_lo, s8
	s_delay_alu instid0(SALU_CYCLE_1)
	s_and_b32 vcc_lo, exec_lo, s7
	s_wait_alu 0xfffe
	s_cbranch_vccnz .LBB87_12
.LBB87_9:
	s_and_saveexec_b32 s2, s6
	s_cbranch_execnz .LBB87_15
.LBB87_10:
	s_nop 0
	s_sendmsg sendmsg(MSG_DEALLOC_VGPRS)
	s_endpgm
.LBB87_11:
                                        ; implicit-def: $vgpr3_vgpr4
                                        ; implicit-def: $vgpr1_vgpr2
	s_cbranch_execz .LBB87_9
.LBB87_12:
	s_load_b64 s[4:5], s[0:1], 0x0
	s_wait_kmcnt 0x0
	v_cmp_gt_i64_e32 vcc_lo, s[4:5], v[5:6]
	s_and_saveexec_b32 s4, vcc_lo
; %bb.13:
	s_mov_b32 s3, 0
	s_or_b32 s6, s6, exec_lo
; %bb.14:
	s_wait_alu 0xfffe
	s_or_b32 exec_lo, exec_lo, s4
	v_dual_mov_b32 v1, s2 :: v_dual_mov_b32 v2, s3
	v_dual_mov_b32 v3, v5 :: v_dual_mov_b32 v4, v6
	s_and_saveexec_b32 s2, s6
	s_cbranch_execz .LBB87_10
.LBB87_15:
	s_load_b256 s[4:11], s[0:1], 0x28
	s_delay_alu instid0(VALU_DEP_1) | instskip(SKIP_3) | instid1(VALU_DEP_2)
	v_lshlrev_b64_e32 v[5:6], 3, v[3:4]
	v_dual_mov_b32 v25, 0 :: v_dual_and_b32 v0, 15, v0
	s_load_b32 s3, s[0:1], 0x8
	s_wait_kmcnt 0x0
	v_add_co_u32 v7, vcc_lo, s4, v5
	s_wait_alu 0xfffd
	v_add_co_ci_u32_e64 v8, null, s5, v6, vcc_lo
	v_add_co_u32 v5, vcc_lo, s6, v5
	s_wait_alu 0xfffd
	v_add_co_ci_u32_e64 v6, null, s7, v6, vcc_lo
	v_add_co_u32 v9, vcc_lo, v7, 8
	global_load_b64 v[13:14], v[7:8], off
	s_wait_alu 0xfffd
	v_add_co_ci_u32_e64 v10, null, 0, v8, vcc_lo
	s_cmp_eq_u64 s[6:7], 0
	s_load_b64 s[4:5], s[0:1], 0x48
	s_cselect_b32 vcc_lo, -1, 0
	s_cmp_eq_u32 s3, 1
	s_wait_alu 0xfffe
	v_dual_cndmask_b32 v6, v6, v10 :: v_dual_cndmask_b32 v5, v5, v9
	global_load_b64 v[7:8], v[5:6], off
	s_wait_loadcnt 0x1
	v_sub_co_u32 v5, vcc_lo, v13, v1
	s_wait_alu 0xfffd
	v_sub_co_ci_u32_e64 v6, null, v14, v2, vcc_lo
	s_delay_alu instid0(VALU_DEP_2) | instskip(SKIP_1) | instid1(VALU_DEP_2)
	v_add_co_u32 v5, vcc_lo, v5, v0
	s_wait_alu 0xfffd
	v_add_co_ci_u32_e64 v6, null, 0, v6, vcc_lo
	s_delay_alu instid0(VALU_DEP_1) | instskip(SKIP_4) | instid1(VALU_DEP_3)
	v_lshlrev_b64_e32 v[9:10], 4, v[5:6]
	s_wait_loadcnt 0x0
	v_sub_co_u32 v7, vcc_lo, v7, v1
	s_wait_alu 0xfffd
	v_sub_co_ci_u32_e64 v8, null, v8, v2, vcc_lo
	v_add_co_u32 v9, vcc_lo, s10, v9
	s_delay_alu instid0(VALU_DEP_2)
	v_cmp_lt_i64_e64 s2, v[5:6], v[7:8]
	s_wait_alu 0xfffd
	v_add_co_ci_u32_e64 v10, null, s11, v10, vcc_lo
	s_cbranch_scc1 .LBB87_27
; %bb.16:
	v_dual_mov_b32 v26, 0 :: v_dual_mov_b32 v27, 0
	v_mov_b32_e32 v12, 0
	s_and_saveexec_b32 s6, s2
	s_cbranch_execz .LBB87_26
; %bb.17:
	v_or_b32_e32 v11, 16, v0
	v_not_b32_e32 v16, v13
	v_sub_co_u32 v17, s3, v1, v0
	v_not_b32_e32 v15, v14
	s_delay_alu instid0(VALU_DEP_4)
	v_sub_co_u32 v11, vcc_lo, v11, v1
	s_wait_alu 0xfffd
	v_sub_co_ci_u32_e64 v12, null, 0, v2, vcc_lo
	s_wait_alu 0xf1ff
	v_subrev_co_ci_u32_e64 v18, null, 0, v2, s3
	v_add_co_u32 v11, vcc_lo, v11, v13
	s_wait_alu 0xfffd
	v_add_co_ci_u32_e64 v12, null, v12, v14, vcc_lo
	s_mov_b32 s3, exec_lo
	v_cmp_gt_i64_e32 vcc_lo, v[11:12], v[7:8]
	s_wait_alu 0xfffd
	v_dual_cndmask_b32 v20, v8, v12 :: v_dual_cndmask_b32 v11, v7, v11
	v_add_co_u32 v12, vcc_lo, v17, v16
	s_wait_alu 0xfffd
	v_add_co_ci_u32_e64 v15, null, v18, v15, vcc_lo
	v_mov_b32_e32 v18, v10
	s_delay_alu instid0(VALU_DEP_3) | instskip(SKIP_3) | instid1(VALU_DEP_3)
	v_add_co_u32 v19, vcc_lo, v12, v11
	v_mov_b32_e32 v12, 0
	s_wait_alu 0xfffd
	v_add_co_ci_u32_e64 v20, null, v15, v20, vcc_lo
	v_dual_mov_b32 v16, v6 :: v_dual_and_b32 v11, 48, v19
	s_delay_alu instid0(VALU_DEP_3)
	v_mov_b32_e32 v25, v12
	v_mov_b32_e32 v15, v5
	v_dual_mov_b32 v27, v12 :: v_dual_mov_b32 v26, v12
	v_mov_b32_e32 v17, v9
	v_cmpx_ne_u64_e32 48, v[11:12]
	s_cbranch_execz .LBB87_21
; %bb.18:
	v_lshrrev_b32_e32 v11, 4, v19
	v_dual_mov_b32 v25, 0 :: v_dual_mov_b32 v18, v10
	v_dual_mov_b32 v17, v9 :: v_dual_mov_b32 v26, 0
	s_delay_alu instid0(VALU_DEP_3) | instskip(SKIP_3) | instid1(VALU_DEP_4)
	v_dual_mov_b32 v16, v6 :: v_dual_add_nc_u32 v21, 1, v11
	v_lshlrev_b64_e32 v[11:12], 3, v[5:6]
	v_mov_b32_e32 v15, v5
	v_mov_b32_e32 v27, 0
	v_and_b32_e32 v23, 3, v21
	s_delay_alu instid0(VALU_DEP_4) | instskip(NEXT) | instid1(VALU_DEP_2)
	v_add_co_u32 v21, vcc_lo, s8, v11
	v_sub_co_u32 v23, s7, 0, v23
	s_wait_alu 0xfffd
	v_add_co_ci_u32_e64 v22, null, s9, v12, vcc_lo
	s_wait_alu 0xf1ff
	v_sub_co_ci_u32_e64 v24, null, 0, 0, s7
	v_mov_b32_e32 v12, 0
	s_mov_b32 s7, 0
.LBB87_19:                              ; =>This Inner Loop Header: Depth=1
	global_load_b64 v[28:29], v[21:22], off
	s_wait_loadcnt 0x0
	v_sub_co_u32 v28, vcc_lo, v28, v1
	s_wait_alu 0xfffd
	v_sub_co_ci_u32_e64 v29, null, v29, v2, vcc_lo
	s_delay_alu instid0(VALU_DEP_1) | instskip(SKIP_1) | instid1(VALU_DEP_1)
	v_lshlrev_b64_e32 v[28:29], 2, v[28:29]
	s_wait_kmcnt 0x0
	v_add_co_u32 v32, vcc_lo, s4, v28
	s_wait_alu 0xfffd
	s_delay_alu instid0(VALU_DEP_2)
	v_add_co_ci_u32_e64 v33, null, s5, v29, vcc_lo
	global_load_b128 v[28:31], v[17:18], off
	global_load_b32 v11, v[32:33], off
	v_add_co_u32 v17, vcc_lo, 0x100, v17
	s_wait_alu 0xfffd
	v_add_co_ci_u32_e64 v18, null, 0, v18, vcc_lo
	v_add_co_u32 v15, vcc_lo, v15, 16
	s_wait_alu 0xfffd
	v_add_co_ci_u32_e64 v16, null, 0, v16, vcc_lo
	;; [unrolled: 3-line block ×4, first 2 shown]
	s_delay_alu instid0(VALU_DEP_1)
	v_cmp_eq_u64_e32 vcc_lo, 0, v[23:24]
	s_wait_alu 0xfffe
	s_or_b32 s7, vcc_lo, s7
	s_wait_loadcnt 0x1
	v_bfe_i32 v32, v28, 0, 8
	v_bfe_i32 v41, v31, 0, 8
	s_wait_loadcnt 0x0
	v_bfe_i32 v44, v11, 0, 8
	v_bfe_i32 v33, v28, 8, 8
	v_bfe_i32 v35, v29, 0, 8
	v_bfe_i32 v38, v30, 0, 8
	v_bfe_i32 v39, v30, 8, 8
	v_bfe_i32 v42, v31, 8, 8
	v_cvt_f32_i32_e32 v32, v32
	v_cvt_f32_i32_e32 v41, v41
	v_bfe_i32 v45, v11, 8, 8
	v_cvt_f32_i32_e32 v44, v44
	v_bfe_i32 v36, v29, 8, 8
	v_cvt_f32_i32_e32 v33, v33
	v_cvt_f32_i32_e32 v35, v35
	;; [unrolled: 1-line block ×6, first 2 shown]
	v_fmac_f32_e32 v25, v41, v44
	v_fmac_f32_e32 v12, v32, v44
	v_bfe_i32 v34, v28, 16, 8
	v_bfe_i32 v37, v29, 16, 8
	v_bfe_i32 v40, v30, 16, 8
	v_bfe_i32 v43, v31, 16, 8
	v_cvt_f32_i32_e32 v36, v36
	v_bfe_i32 v46, v11, 16, 8
	v_fmac_f32_e32 v25, v42, v45
	v_dual_fmac_f32 v27, v35, v44 :: v_dual_fmac_f32 v12, v33, v45
	v_fmac_f32_e32 v26, v38, v44
	v_ashrrev_i32_e32 v28, 24, v28
	v_ashrrev_i32_e32 v29, 24, v29
	;; [unrolled: 1-line block ×4, first 2 shown]
	v_cvt_f32_i32_e32 v34, v34
	v_cvt_f32_i32_e32 v37, v37
	;; [unrolled: 1-line block ×4, first 2 shown]
	v_ashrrev_i32_e32 v11, 24, v11
	v_cvt_f32_i32_e32 v32, v46
	v_fmac_f32_e32 v27, v36, v45
	v_fmac_f32_e32 v26, v39, v45
	v_cvt_f32_i32_e32 v28, v28
	v_cvt_f32_i32_e32 v29, v29
	;; [unrolled: 1-line block ×5, first 2 shown]
	v_fmac_f32_e32 v27, v37, v32
	v_fmac_f32_e32 v12, v34, v32
	;; [unrolled: 1-line block ×3, first 2 shown]
	s_delay_alu instid0(VALU_DEP_3) | instskip(NEXT) | instid1(VALU_DEP_3)
	v_dual_fmac_f32 v26, v40, v32 :: v_dual_fmac_f32 v27, v29, v11
	v_fmac_f32_e32 v12, v28, v11
	s_delay_alu instid0(VALU_DEP_3) | instskip(NEXT) | instid1(VALU_DEP_3)
	v_fmac_f32_e32 v25, v31, v11
	v_fmac_f32_e32 v26, v30, v11
	s_wait_alu 0xfffe
	s_and_not1_b32 exec_lo, exec_lo, s7
	s_cbranch_execnz .LBB87_19
; %bb.20:
	s_or_b32 exec_lo, exec_lo, s7
.LBB87_21:
	s_wait_alu 0xfffe
	s_or_b32 exec_lo, exec_lo, s3
	s_delay_alu instid0(SALU_CYCLE_1)
	s_mov_b32 s3, exec_lo
	v_cmpx_lt_u64_e32 47, v[19:20]
	s_cbranch_execz .LBB87_25
; %bb.22:
	v_lshlrev_b64_e32 v[19:20], 3, v[15:16]
	s_mov_b32 s7, 0
	s_delay_alu instid0(VALU_DEP_1) | instskip(SKIP_1) | instid1(VALU_DEP_2)
	v_add_co_u32 v11, vcc_lo, s8, v19
	s_wait_alu 0xfffd
	v_add_co_ci_u32_e64 v20, null, s9, v20, vcc_lo
	s_delay_alu instid0(VALU_DEP_2) | instskip(SKIP_1) | instid1(VALU_DEP_2)
	v_add_co_u32 v19, vcc_lo, 0x100, v11
	s_wait_alu 0xfffd
	v_add_co_ci_u32_e64 v20, null, 0, v20, vcc_lo
.LBB87_23:                              ; =>This Inner Loop Header: Depth=1
	s_clause 0x3
	global_load_b64 v[40:41], v[19:20], off offset:-256
	global_load_b64 v[42:43], v[19:20], off offset:-128
	global_load_b64 v[44:45], v[19:20], off
	global_load_b64 v[46:47], v[19:20], off offset:128
	s_clause 0x3
	global_load_b128 v[21:24], v[17:18], off
	global_load_b128 v[28:31], v[17:18], off offset:256
	global_load_b128 v[32:35], v[17:18], off offset:512
	;; [unrolled: 1-line block ×3, first 2 shown]
	s_wait_loadcnt 0x7
	v_sub_co_u32 v40, vcc_lo, v40, v1
	s_wait_alu 0xfffd
	v_sub_co_ci_u32_e64 v41, null, v41, v2, vcc_lo
	s_wait_loadcnt 0x6
	v_sub_co_u32 v42, vcc_lo, v42, v1
	s_wait_alu 0xfffd
	v_sub_co_ci_u32_e64 v43, null, v43, v2, vcc_lo
	s_wait_loadcnt 0x5
	v_sub_co_u32 v44, vcc_lo, v44, v1
	s_wait_alu 0xfffd
	v_sub_co_ci_u32_e64 v45, null, v45, v2, vcc_lo
	s_wait_loadcnt 0x4
	v_sub_co_u32 v46, vcc_lo, v46, v1
	v_lshlrev_b64_e32 v[40:41], 2, v[40:41]
	s_wait_alu 0xfffd
	v_sub_co_ci_u32_e64 v47, null, v47, v2, vcc_lo
	v_lshlrev_b64_e32 v[42:43], 2, v[42:43]
	v_lshlrev_b64_e32 v[44:45], 2, v[44:45]
	s_wait_loadcnt 0x3
	v_bfe_i32 v52, v24, 0, 8
	v_lshlrev_b64_e32 v[46:47], 2, v[46:47]
	s_wait_kmcnt 0x0
	v_add_co_u32 v40, vcc_lo, s4, v40
	s_wait_alu 0xfffd
	v_add_co_ci_u32_e64 v41, null, s5, v41, vcc_lo
	v_add_co_u32 v42, vcc_lo, s4, v42
	s_wait_alu 0xfffd
	v_add_co_ci_u32_e64 v43, null, s5, v43, vcc_lo
	;; [unrolled: 3-line block ×4, first 2 shown]
	s_clause 0x3
	global_load_b32 v11, v[40:41], off
	global_load_b32 v40, v[42:43], off
	;; [unrolled: 1-line block ×4, first 2 shown]
	v_bfe_i32 v43, v21, 0, 8
	v_bfe_i32 v44, v21, 8, 8
	;; [unrolled: 1-line block ×6, first 2 shown]
	v_cvt_f32_i32_e32 v43, v43
	v_cvt_f32_i32_e32 v52, v52
	v_bfe_i32 v45, v21, 16, 8
	v_bfe_i32 v47, v22, 8, 8
	v_cvt_f32_i32_e32 v44, v44
	v_cvt_f32_i32_e32 v46, v46
	;; [unrolled: 1-line block ×5, first 2 shown]
	v_ashrrev_i32_e32 v21, 24, v21
	v_bfe_i32 v48, v22, 16, 8
	v_bfe_i32 v51, v23, 16, 8
	;; [unrolled: 1-line block ×3, first 2 shown]
	s_wait_loadcnt 0x6
	v_bfe_i32 v60, v29, 16, 8
	v_cvt_f32_i32_e32 v45, v45
	v_cvt_f32_i32_e32 v47, v47
	v_ashrrev_i32_e32 v22, 24, v22
	v_ashrrev_i32_e32 v23, 24, v23
	;; [unrolled: 1-line block ×3, first 2 shown]
	v_bfe_i32 v57, v28, 16, 8
	v_bfe_i32 v63, v30, 16, 8
	;; [unrolled: 1-line block ×3, first 2 shown]
	s_wait_loadcnt 0x5
	v_bfe_i32 v70, v33, 0, 8
	v_cvt_f32_i32_e32 v21, v21
	v_cvt_f32_i32_e32 v48, v48
	;; [unrolled: 1-line block ×5, first 2 shown]
	v_bfe_i32 v55, v28, 0, 8
	v_bfe_i32 v58, v29, 0, 8
	;; [unrolled: 1-line block ×7, first 2 shown]
	v_cvt_f32_i32_e32 v22, v22
	v_cvt_f32_i32_e32 v23, v23
	;; [unrolled: 1-line block ×7, first 2 shown]
	v_bfe_i32 v56, v28, 8, 8
	v_bfe_i32 v59, v29, 8, 8
	;; [unrolled: 1-line block ×8, first 2 shown]
	v_cvt_f32_i32_e32 v55, v55
	v_cvt_f32_i32_e32 v58, v58
	;; [unrolled: 1-line block ×7, first 2 shown]
	s_wait_loadcnt 0x4
	v_bfe_i32 v79, v36, 0, 8
	v_bfe_i32 v82, v37, 0, 8
	;; [unrolled: 1-line block ×4, first 2 shown]
	v_cvt_f32_i32_e32 v56, v56
	v_cvt_f32_i32_e32 v59, v59
	;; [unrolled: 1-line block ×8, first 2 shown]
	v_ashrrev_i32_e32 v28, 24, v28
	v_ashrrev_i32_e32 v29, 24, v29
	;; [unrolled: 1-line block ×4, first 2 shown]
	v_cvt_f32_i32_e32 v79, v79
	v_cvt_f32_i32_e32 v82, v82
	;; [unrolled: 1-line block ×4, first 2 shown]
	v_bfe_i32 v81, v36, 16, 8
	v_bfe_i32 v84, v37, 16, 8
	;; [unrolled: 1-line block ×4, first 2 shown]
	v_cvt_f32_i32_e32 v28, v28
	v_cvt_f32_i32_e32 v29, v29
	;; [unrolled: 1-line block ×4, first 2 shown]
	v_bfe_i32 v68, v32, 8, 8
	v_bfe_i32 v71, v33, 8, 8
	v_bfe_i32 v74, v34, 8, 8
	v_bfe_i32 v77, v35, 8, 8
	v_cvt_f32_i32_e32 v81, v81
	v_cvt_f32_i32_e32 v84, v84
	;; [unrolled: 1-line block ×8, first 2 shown]
	v_ashrrev_i32_e32 v32, 24, v32
	v_ashrrev_i32_e32 v33, 24, v33
	;; [unrolled: 1-line block ×4, first 2 shown]
	v_bfe_i32 v80, v36, 8, 8
	v_cvt_f32_i32_e32 v32, v32
	v_cvt_f32_i32_e32 v33, v33
	;; [unrolled: 1-line block ×4, first 2 shown]
	v_bfe_i32 v83, v37, 8, 8
	v_bfe_i32 v86, v38, 8, 8
	;; [unrolled: 1-line block ×3, first 2 shown]
	v_cvt_f32_i32_e32 v80, v80
	v_add_co_u32 v17, vcc_lo, 0x400, v17
	v_cvt_f32_i32_e32 v83, v83
	v_cvt_f32_i32_e32 v86, v86
	;; [unrolled: 1-line block ×3, first 2 shown]
	s_wait_alu 0xfffd
	v_add_co_ci_u32_e64 v18, null, 0, v18, vcc_lo
	v_add_co_u32 v15, vcc_lo, v15, 64
	v_ashrrev_i32_e32 v36, 24, v36
	v_ashrrev_i32_e32 v37, 24, v37
	;; [unrolled: 1-line block ×4, first 2 shown]
	s_wait_alu 0xfffd
	v_add_co_ci_u32_e64 v16, null, 0, v16, vcc_lo
	v_add_co_u32 v19, vcc_lo, 0x200, v19
	v_cvt_f32_i32_e32 v36, v36
	v_cvt_f32_i32_e32 v37, v37
	;; [unrolled: 1-line block ×4, first 2 shown]
	s_wait_alu 0xfffd
	v_add_co_ci_u32_e64 v20, null, 0, v20, vcc_lo
	v_cmp_ge_i64_e32 vcc_lo, v[15:16], v[7:8]
	s_wait_alu 0xfffe
	s_or_b32 s7, vcc_lo, s7
	s_wait_loadcnt 0x3
	v_bfe_i32 v91, v11, 0, 8
	v_bfe_i32 v92, v11, 8, 8
	;; [unrolled: 1-line block ×3, first 2 shown]
	v_ashrrev_i32_e32 v11, 24, v11
	s_wait_loadcnt 0x2
	v_bfe_i32 v96, v40, 16, 8
	v_cvt_f32_i32_e32 v91, v91
	v_cvt_f32_i32_e32 v92, v92
	v_bfe_i32 v94, v40, 0, 8
	v_cvt_f32_i32_e32 v11, v11
	v_bfe_i32 v95, v40, 8, 8
	v_fmac_f32_e32 v25, v52, v91
	v_fmac_f32_e32 v12, v43, v91
	v_cvt_f32_i32_e32 v43, v93
	v_ashrrev_i32_e32 v40, 24, v40
	s_wait_loadcnt 0x1
	v_bfe_i32 v97, v41, 0, 8
	v_fmac_f32_e32 v25, v53, v92
	v_dual_fmac_f32 v27, v46, v91 :: v_dual_fmac_f32 v12, v44, v92
	v_fmac_f32_e32 v26, v49, v91
	v_bfe_i32 v98, v41, 8, 8
	v_bfe_i32 v99, v41, 16, 8
	s_delay_alu instid0(VALU_DEP_4) | instskip(NEXT) | instid1(VALU_DEP_4)
	v_dual_fmac_f32 v27, v47, v92 :: v_dual_fmac_f32 v12, v45, v43
	v_fmac_f32_e32 v26, v50, v92
	v_ashrrev_i32_e32 v41, 24, v41
	s_wait_loadcnt 0x0
	v_bfe_i32 v100, v42, 0, 8
	v_bfe_i32 v101, v42, 8, 8
	v_fmac_f32_e32 v12, v21, v11
	v_cvt_f32_i32_e32 v21, v96
	v_fmac_f32_e32 v27, v48, v43
	v_fmac_f32_e32 v26, v51, v43
	;; [unrolled: 1-line block ×3, first 2 shown]
	v_cvt_f32_i32_e32 v43, v94
	v_bfe_i32 v102, v42, 16, 8
	v_fmac_f32_e32 v27, v22, v11
	v_fmac_f32_e32 v26, v23, v11
	v_fmac_f32_e32 v25, v24, v11
	v_cvt_f32_i32_e32 v11, v95
	v_fmac_f32_e32 v12, v55, v43
	v_fmac_f32_e32 v27, v58, v43
	;; [unrolled: 1-line block ×4, first 2 shown]
	v_ashrrev_i32_e32 v42, 24, v42
	v_fmac_f32_e32 v12, v56, v11
	v_fmac_f32_e32 v27, v59, v11
	v_fmac_f32_e32 v26, v62, v11
	v_fmac_f32_e32 v25, v65, v11
	v_cvt_f32_i32_e32 v11, v40
	v_fmac_f32_e32 v12, v57, v21
	v_fmac_f32_e32 v27, v60, v21
	v_fmac_f32_e32 v26, v63, v21
	v_fmac_f32_e32 v25, v66, v21
	v_cvt_f32_i32_e32 v21, v97
	;; [unrolled: 5-line block ×9, first 2 shown]
	v_fmac_f32_e32 v12, v81, v21
	v_fmac_f32_e32 v27, v84, v21
	;; [unrolled: 1-line block ×3, first 2 shown]
	s_delay_alu instid0(VALU_DEP_3) | instskip(NEXT) | instid1(VALU_DEP_3)
	v_dual_fmac_f32 v25, v90, v21 :: v_dual_fmac_f32 v12, v36, v11
	v_fmac_f32_e32 v27, v37, v11
	s_delay_alu instid0(VALU_DEP_3) | instskip(NEXT) | instid1(VALU_DEP_3)
	v_fmac_f32_e32 v26, v38, v11
	v_fmac_f32_e32 v25, v39, v11
	s_wait_alu 0xfffe
	s_and_not1_b32 exec_lo, exec_lo, s7
	s_cbranch_execnz .LBB87_23
; %bb.24:
	s_or_b32 exec_lo, exec_lo, s7
.LBB87_25:
	s_wait_alu 0xfffe
	s_or_b32 exec_lo, exec_lo, s3
.LBB87_26:
	s_wait_alu 0xfffe
	s_or_b32 exec_lo, exec_lo, s6
	s_cbranch_execz .LBB87_28
	s_branch .LBB87_39
.LBB87_27:
                                        ; implicit-def: $vgpr25
                                        ; implicit-def: $vgpr26
                                        ; implicit-def: $vgpr27
                                        ; implicit-def: $vgpr12
.LBB87_28:
	v_dual_mov_b32 v25, 0 :: v_dual_mov_b32 v26, 0
	v_dual_mov_b32 v27, 0 :: v_dual_mov_b32 v12, 0
	s_and_saveexec_b32 s3, s2
	s_cbranch_execz .LBB87_38
; %bb.29:
	v_or_b32_e32 v11, 16, v0
	v_sub_co_u32 v15, s2, v1, v0
	s_wait_alu 0xf1ff
	v_subrev_co_ci_u32_e64 v16, null, 0, v2, s2
	s_delay_alu instid0(VALU_DEP_3)
	v_sub_co_u32 v11, vcc_lo, v11, v1
	s_wait_alu 0xfffd
	v_sub_co_ci_u32_e64 v12, null, 0, v2, vcc_lo
	s_mov_b32 s2, exec_lo
	v_add_co_u32 v11, vcc_lo, v11, v13
	s_wait_alu 0xfffd
	v_add_co_ci_u32_e64 v12, null, v12, v14, vcc_lo
	v_not_b32_e32 v13, v13
	v_not_b32_e32 v14, v14
	s_delay_alu instid0(VALU_DEP_3)
	v_cmp_gt_i64_e32 vcc_lo, v[11:12], v[7:8]
	s_wait_alu 0xfffd
	v_cndmask_b32_e32 v17, v8, v12, vcc_lo
	v_cndmask_b32_e32 v11, v7, v11, vcc_lo
	v_add_co_u32 v12, vcc_lo, v15, v13
	s_wait_alu 0xfffd
	v_add_co_ci_u32_e64 v14, null, v16, v14, vcc_lo
	s_delay_alu instid0(VALU_DEP_2) | instskip(SKIP_2) | instid1(VALU_DEP_3)
	v_add_co_u32 v13, vcc_lo, v12, v11
	v_mov_b32_e32 v12, 0
	s_wait_alu 0xfffd
	v_add_co_ci_u32_e64 v14, null, v14, v17, vcc_lo
	s_delay_alu instid0(VALU_DEP_3) | instskip(NEXT) | instid1(VALU_DEP_3)
	v_and_b32_e32 v11, 48, v13
	v_dual_mov_b32 v27, v12 :: v_dual_mov_b32 v26, v12
	v_mov_b32_e32 v25, v12
	s_delay_alu instid0(VALU_DEP_3)
	v_cmpx_ne_u64_e32 48, v[11:12]
	s_cbranch_execz .LBB87_33
; %bb.30:
	v_lshrrev_b32_e32 v11, 4, v13
	v_mov_b32_e32 v25, 0
	v_dual_mov_b32 v27, 0 :: v_dual_mov_b32 v26, 0
	s_delay_alu instid0(VALU_DEP_3) | instskip(SKIP_1) | instid1(VALU_DEP_2)
	v_add_nc_u32_e32 v15, 1, v11
	v_lshlrev_b64_e32 v[11:12], 3, v[5:6]
	v_and_b32_e32 v17, 3, v15
	s_delay_alu instid0(VALU_DEP_2) | instskip(SKIP_1) | instid1(VALU_DEP_3)
	v_add_co_u32 v15, vcc_lo, s8, v11
	s_wait_alu 0xfffd
	v_add_co_ci_u32_e64 v16, null, s9, v12, vcc_lo
	s_delay_alu instid0(VALU_DEP_3)
	v_sub_co_u32 v17, s6, 0, v17
	s_wait_alu 0xf1ff
	v_sub_co_ci_u32_e64 v18, null, 0, 0, s6
	v_mov_b32_e32 v12, 0
	s_mov_b32 s6, 0
.LBB87_31:                              ; =>This Inner Loop Header: Depth=1
	global_load_b64 v[19:20], v[15:16], off
	s_wait_loadcnt 0x0
	v_sub_co_u32 v19, vcc_lo, v19, v1
	s_wait_alu 0xfffd
	v_sub_co_ci_u32_e64 v20, null, v20, v2, vcc_lo
	s_delay_alu instid0(VALU_DEP_1) | instskip(SKIP_1) | instid1(VALU_DEP_1)
	v_lshlrev_b64_e32 v[19:20], 2, v[19:20]
	s_wait_kmcnt 0x0
	v_add_co_u32 v23, vcc_lo, s4, v19
	s_wait_alu 0xfffd
	s_delay_alu instid0(VALU_DEP_2)
	v_add_co_ci_u32_e64 v24, null, s5, v20, vcc_lo
	global_load_b128 v[19:22], v[9:10], off
	global_load_b32 v11, v[23:24], off
	v_add_co_u32 v9, vcc_lo, 0x100, v9
	s_wait_alu 0xfffd
	v_add_co_ci_u32_e64 v10, null, 0, v10, vcc_lo
	v_add_co_u32 v5, vcc_lo, v5, 16
	s_wait_alu 0xfffd
	v_add_co_ci_u32_e64 v6, null, 0, v6, vcc_lo
	v_add_co_u32 v15, vcc_lo, 0x80, v15
	s_wait_alu 0xfffd
	v_add_co_ci_u32_e64 v16, null, 0, v16, vcc_lo
	v_add_co_u32 v17, vcc_lo, v17, 1
	s_wait_alu 0xfffd
	v_add_co_ci_u32_e64 v18, null, 0, v18, vcc_lo
	s_delay_alu instid0(VALU_DEP_1)
	v_cmp_eq_u64_e32 vcc_lo, 0, v[17:18]
	s_wait_alu 0xfffe
	s_or_b32 s6, vcc_lo, s6
	s_wait_loadcnt 0x1
	v_bfe_i32 v23, v19, 0, 8
	v_bfe_i32 v24, v19, 8, 8
	s_wait_loadcnt 0x0
	v_bfe_i32 v38, v11, 0, 8
	v_bfe_i32 v28, v19, 16, 8
	v_ashrrev_i32_e32 v19, 24, v19
	v_bfe_i32 v29, v20, 0, 8
	v_bfe_i32 v30, v20, 8, 8
	v_cvt_f32_i32_e32 v23, v23
	v_cvt_f32_i32_e32 v24, v24
	v_bfe_i32 v39, v11, 8, 8
	v_cvt_f32_i32_e32 v38, v38
	v_bfe_i32 v31, v20, 16, 8
	v_ashrrev_i32_e32 v20, 24, v20
	v_bfe_i32 v32, v21, 0, 8
	v_bfe_i32 v33, v21, 8, 8
	v_cvt_f32_i32_e32 v28, v28
	v_cvt_f32_i32_e32 v19, v19
	;; [unrolled: 1-line block ×4, first 2 shown]
	v_bfe_i32 v40, v11, 16, 8
	v_cvt_f32_i32_e32 v39, v39
	v_fmac_f32_e32 v27, v24, v38
	v_fmac_f32_e32 v12, v23, v38
	v_bfe_i32 v34, v21, 16, 8
	v_ashrrev_i32_e32 v21, 24, v21
	v_cvt_f32_i32_e32 v31, v31
	v_cvt_f32_i32_e32 v20, v20
	;; [unrolled: 1-line block ×4, first 2 shown]
	v_fmac_f32_e32 v27, v30, v39
	v_dual_fmac_f32 v12, v29, v39 :: v_dual_fmac_f32 v25, v19, v38
	v_cvt_f32_i32_e32 v19, v40
	v_fmac_f32_e32 v26, v28, v38
	v_bfe_i32 v35, v22, 0, 8
	v_bfe_i32 v36, v22, 8, 8
	;; [unrolled: 1-line block ×3, first 2 shown]
	v_ashrrev_i32_e32 v22, 24, v22
	v_cvt_f32_i32_e32 v34, v34
	v_cvt_f32_i32_e32 v21, v21
	v_ashrrev_i32_e32 v11, 24, v11
	v_fmac_f32_e32 v12, v32, v19
	v_fmac_f32_e32 v25, v20, v39
	;; [unrolled: 1-line block ×4, first 2 shown]
	v_cvt_f32_i32_e32 v35, v35
	v_cvt_f32_i32_e32 v36, v36
	;; [unrolled: 1-line block ×5, first 2 shown]
	v_fmac_f32_e32 v26, v34, v19
	v_fmac_f32_e32 v25, v21, v19
	s_delay_alu instid0(VALU_DEP_3) | instskip(SKIP_1) | instid1(VALU_DEP_4)
	v_fmac_f32_e32 v12, v35, v11
	v_fmac_f32_e32 v27, v36, v11
	;; [unrolled: 1-line block ×3, first 2 shown]
	s_delay_alu instid0(VALU_DEP_4)
	v_fmac_f32_e32 v25, v22, v11
	s_wait_alu 0xfffe
	s_and_not1_b32 exec_lo, exec_lo, s6
	s_cbranch_execnz .LBB87_31
; %bb.32:
	s_or_b32 exec_lo, exec_lo, s6
.LBB87_33:
	s_wait_alu 0xfffe
	s_or_b32 exec_lo, exec_lo, s2
	s_delay_alu instid0(SALU_CYCLE_1)
	s_mov_b32 s2, exec_lo
	v_cmpx_lt_u64_e32 47, v[13:14]
	s_cbranch_execz .LBB87_37
; %bb.34:
	v_lshlrev_b64_e32 v[13:14], 3, v[5:6]
	s_mov_b32 s6, 0
	s_delay_alu instid0(VALU_DEP_1) | instskip(SKIP_1) | instid1(VALU_DEP_2)
	v_add_co_u32 v11, vcc_lo, s8, v13
	s_wait_alu 0xfffd
	v_add_co_ci_u32_e64 v14, null, s9, v14, vcc_lo
	s_delay_alu instid0(VALU_DEP_2) | instskip(SKIP_1) | instid1(VALU_DEP_2)
	v_add_co_u32 v13, vcc_lo, 0x100, v11
	s_wait_alu 0xfffd
	v_add_co_ci_u32_e64 v14, null, 0, v14, vcc_lo
.LBB87_35:                              ; =>This Inner Loop Header: Depth=1
	s_clause 0x3
	global_load_b64 v[23:24], v[13:14], off offset:-256
	global_load_b64 v[36:37], v[13:14], off offset:-128
	global_load_b64 v[38:39], v[13:14], off
	global_load_b64 v[40:41], v[13:14], off offset:128
	s_clause 0x3
	global_load_b128 v[15:18], v[9:10], off
	global_load_b128 v[19:22], v[9:10], off offset:256
	global_load_b128 v[28:31], v[9:10], off offset:512
	;; [unrolled: 1-line block ×3, first 2 shown]
	s_wait_loadcnt 0x7
	v_sub_co_u32 v23, vcc_lo, v23, v1
	s_wait_alu 0xfffd
	v_sub_co_ci_u32_e64 v24, null, v24, v2, vcc_lo
	s_wait_loadcnt 0x6
	v_sub_co_u32 v36, vcc_lo, v36, v1
	s_wait_alu 0xfffd
	v_sub_co_ci_u32_e64 v37, null, v37, v2, vcc_lo
	;; [unrolled: 4-line block ×3, first 2 shown]
	s_wait_loadcnt 0x4
	v_sub_co_u32 v40, vcc_lo, v40, v1
	v_lshlrev_b64_e32 v[23:24], 2, v[23:24]
	s_wait_alu 0xfffd
	v_sub_co_ci_u32_e64 v41, null, v41, v2, vcc_lo
	v_lshlrev_b64_e32 v[36:37], 2, v[36:37]
	v_lshlrev_b64_e32 v[38:39], 2, v[38:39]
	s_wait_loadcnt 0x3
	v_bfe_i32 v42, v16, 16, 8
	v_lshlrev_b64_e32 v[40:41], 2, v[40:41]
	s_wait_kmcnt 0x0
	v_add_co_u32 v23, vcc_lo, s4, v23
	s_wait_alu 0xfffd
	v_add_co_ci_u32_e64 v24, null, s5, v24, vcc_lo
	v_add_co_u32 v36, vcc_lo, s4, v36
	s_wait_alu 0xfffd
	v_add_co_ci_u32_e64 v37, null, s5, v37, vcc_lo
	;; [unrolled: 3-line block ×4, first 2 shown]
	s_clause 0x3
	global_load_b32 v11, v[23:24], off
	global_load_b32 v23, v[36:37], off
	;; [unrolled: 1-line block ×4, first 2 shown]
	v_bfe_i32 v37, v15, 0, 8
	v_bfe_i32 v38, v15, 8, 8
	;; [unrolled: 1-line block ×3, first 2 shown]
	v_ashrrev_i32_e32 v15, 24, v15
	v_bfe_i32 v40, v16, 0, 8
	v_bfe_i32 v41, v16, 8, 8
	v_ashrrev_i32_e32 v16, 24, v16
	v_cvt_f32_i32_e32 v37, v37
	v_cvt_f32_i32_e32 v15, v15
	;; [unrolled: 1-line block ×7, first 2 shown]
	v_bfe_i32 v43, v17, 0, 8
	v_bfe_i32 v44, v17, 8, 8
	;; [unrolled: 1-line block ×3, first 2 shown]
	v_ashrrev_i32_e32 v17, 24, v17
	v_cvt_f32_i32_e32 v41, v41
	v_bfe_i32 v46, v18, 0, 8
	v_bfe_i32 v47, v18, 8, 8
	v_bfe_i32 v48, v18, 16, 8
	v_ashrrev_i32_e32 v18, 24, v18
	v_cvt_f32_i32_e32 v43, v43
	v_cvt_f32_i32_e32 v44, v44
	v_cvt_f32_i32_e32 v45, v45
	v_cvt_f32_i32_e32 v17, v17
	s_wait_loadcnt 0x6
	v_bfe_i32 v49, v19, 0, 8
	v_bfe_i32 v50, v19, 8, 8
	v_bfe_i32 v51, v19, 16, 8
	v_ashrrev_i32_e32 v19, 24, v19
	v_cvt_f32_i32_e32 v46, v46
	v_cvt_f32_i32_e32 v47, v47
	v_cvt_f32_i32_e32 v48, v48
	v_cvt_f32_i32_e32 v18, v18
	v_bfe_i32 v52, v20, 0, 8
	v_bfe_i32 v53, v20, 8, 8
	v_bfe_i32 v54, v20, 16, 8
	v_ashrrev_i32_e32 v20, 24, v20
	v_cvt_f32_i32_e32 v49, v49
	v_cvt_f32_i32_e32 v50, v50
	v_cvt_f32_i32_e32 v51, v51
	v_cvt_f32_i32_e32 v19, v19
	v_bfe_i32 v55, v21, 0, 8
	v_bfe_i32 v56, v21, 8, 8
	v_bfe_i32 v57, v21, 16, 8
	v_ashrrev_i32_e32 v21, 24, v21
	v_cvt_f32_i32_e32 v52, v52
	v_cvt_f32_i32_e32 v53, v53
	v_cvt_f32_i32_e32 v54, v54
	v_cvt_f32_i32_e32 v20, v20
	v_bfe_i32 v58, v22, 0, 8
	v_bfe_i32 v59, v22, 8, 8
	v_bfe_i32 v60, v22, 16, 8
	v_ashrrev_i32_e32 v22, 24, v22
	v_cvt_f32_i32_e32 v55, v55
	v_cvt_f32_i32_e32 v56, v56
	v_cvt_f32_i32_e32 v57, v57
	v_cvt_f32_i32_e32 v21, v21
	s_wait_loadcnt 0x5
	v_bfe_i32 v61, v28, 0, 8
	v_bfe_i32 v62, v28, 8, 8
	v_bfe_i32 v63, v28, 16, 8
	v_ashrrev_i32_e32 v28, 24, v28
	v_cvt_f32_i32_e32 v58, v58
	v_cvt_f32_i32_e32 v59, v59
	v_cvt_f32_i32_e32 v60, v60
	v_cvt_f32_i32_e32 v22, v22
	v_bfe_i32 v64, v29, 0, 8
	v_bfe_i32 v65, v29, 8, 8
	v_bfe_i32 v66, v29, 16, 8
	v_ashrrev_i32_e32 v29, 24, v29
	v_cvt_f32_i32_e32 v61, v61
	v_cvt_f32_i32_e32 v62, v62
	v_cvt_f32_i32_e32 v63, v63
	v_cvt_f32_i32_e32 v28, v28
	v_bfe_i32 v67, v30, 0, 8
	v_bfe_i32 v68, v30, 8, 8
	v_bfe_i32 v69, v30, 16, 8
	v_ashrrev_i32_e32 v30, 24, v30
	v_cvt_f32_i32_e32 v64, v64
	v_cvt_f32_i32_e32 v65, v65
	v_cvt_f32_i32_e32 v66, v66
	;; [unrolled: 33-line block ×3, first 2 shown]
	v_cvt_f32_i32_e32 v33, v33
	v_add_co_u32 v9, vcc_lo, 0x400, v9
	s_wait_alu 0xfffd
	v_add_co_ci_u32_e64 v10, null, 0, v10, vcc_lo
	v_add_co_u32 v5, vcc_lo, v5, 64
	v_bfe_i32 v82, v35, 0, 8
	v_bfe_i32 v83, v35, 8, 8
	;; [unrolled: 1-line block ×3, first 2 shown]
	v_ashrrev_i32_e32 v35, 24, v35
	v_cvt_f32_i32_e32 v79, v79
	v_cvt_f32_i32_e32 v80, v80
	;; [unrolled: 1-line block ×4, first 2 shown]
	s_wait_alu 0xfffd
	v_add_co_ci_u32_e64 v6, null, 0, v6, vcc_lo
	v_add_co_u32 v13, vcc_lo, 0x200, v13
	v_cvt_f32_i32_e32 v82, v82
	v_cvt_f32_i32_e32 v83, v83
	;; [unrolled: 1-line block ×4, first 2 shown]
	s_wait_alu 0xfffd
	v_add_co_ci_u32_e64 v14, null, 0, v14, vcc_lo
	v_cmp_ge_i64_e32 vcc_lo, v[5:6], v[7:8]
	s_wait_alu 0xfffe
	s_or_b32 s6, vcc_lo, s6
	s_wait_loadcnt 0x3
	v_bfe_i32 v85, v11, 0, 8
	v_bfe_i32 v86, v11, 8, 8
	;; [unrolled: 1-line block ×3, first 2 shown]
	v_ashrrev_i32_e32 v11, 24, v11
	s_wait_loadcnt 0x2
	v_bfe_i32 v88, v23, 0, 8
	v_cvt_f32_i32_e32 v85, v85
	v_cvt_f32_i32_e32 v86, v86
	v_bfe_i32 v89, v23, 8, 8
	v_cvt_f32_i32_e32 v11, v11
	v_bfe_i32 v90, v23, 16, 8
	v_fmac_f32_e32 v25, v15, v85
	v_fmac_f32_e32 v12, v37, v85
	v_cvt_f32_i32_e32 v15, v87
	v_ashrrev_i32_e32 v23, 24, v23
	s_wait_loadcnt 0x1
	v_bfe_i32 v91, v24, 0, 8
	v_fmac_f32_e32 v25, v16, v86
	v_dual_fmac_f32 v27, v38, v85 :: v_dual_fmac_f32 v12, v40, v86
	v_fmac_f32_e32 v26, v39, v85
	v_bfe_i32 v92, v24, 8, 8
	s_delay_alu instid0(VALU_DEP_4) | instskip(NEXT) | instid1(VALU_DEP_4)
	v_fmac_f32_e32 v25, v17, v15
	v_dual_fmac_f32 v27, v41, v86 :: v_dual_fmac_f32 v12, v43, v15
	s_delay_alu instid0(VALU_DEP_4) | instskip(SKIP_1) | instid1(VALU_DEP_4)
	v_fmac_f32_e32 v26, v42, v86
	v_bfe_i32 v93, v24, 16, 8
	v_fmac_f32_e32 v25, v18, v11
	s_delay_alu instid0(VALU_DEP_4)
	v_fmac_f32_e32 v27, v44, v15
	v_fmac_f32_e32 v12, v46, v11
	;; [unrolled: 1-line block ×3, first 2 shown]
	v_cvt_f32_i32_e32 v15, v88
	v_ashrrev_i32_e32 v24, 24, v24
	v_fmac_f32_e32 v27, v47, v11
	s_wait_loadcnt 0x0
	v_bfe_i32 v94, v36, 0, 8
	v_fmac_f32_e32 v26, v48, v11
	v_cvt_f32_i32_e32 v11, v89
	v_fmac_f32_e32 v12, v49, v15
	v_fmac_f32_e32 v27, v50, v15
	v_fmac_f32_e32 v25, v19, v15
	v_fmac_f32_e32 v26, v51, v15
	v_cvt_f32_i32_e32 v15, v90
	v_fmac_f32_e32 v12, v52, v11
	v_fmac_f32_e32 v27, v53, v11
	v_fmac_f32_e32 v25, v20, v11
	v_fmac_f32_e32 v26, v54, v11
	v_cvt_f32_i32_e32 v11, v23
	v_fmac_f32_e32 v12, v55, v15
	v_fmac_f32_e32 v27, v56, v15
	v_fmac_f32_e32 v25, v21, v15
	v_fmac_f32_e32 v26, v57, v15
	v_cvt_f32_i32_e32 v15, v91
	v_fmac_f32_e32 v12, v58, v11
	v_fmac_f32_e32 v27, v59, v11
	v_fmac_f32_e32 v25, v22, v11
	v_fmac_f32_e32 v26, v60, v11
	v_cvt_f32_i32_e32 v11, v92
	v_fmac_f32_e32 v12, v61, v15
	v_fmac_f32_e32 v27, v62, v15
	v_fmac_f32_e32 v25, v28, v15
	v_fmac_f32_e32 v26, v63, v15
	v_cvt_f32_i32_e32 v15, v93
	v_fmac_f32_e32 v12, v64, v11
	v_fmac_f32_e32 v27, v65, v11
	v_fmac_f32_e32 v25, v29, v11
	v_fmac_f32_e32 v26, v66, v11
	v_cvt_f32_i32_e32 v11, v24
	v_fmac_f32_e32 v12, v67, v15
	v_fmac_f32_e32 v27, v68, v15
	v_fmac_f32_e32 v25, v30, v15
	v_fmac_f32_e32 v26, v69, v15
	v_bfe_i32 v95, v36, 8, 8
	v_cvt_f32_i32_e32 v15, v94
	v_fmac_f32_e32 v12, v70, v11
	v_fmac_f32_e32 v27, v71, v11
	;; [unrolled: 1-line block ×4, first 2 shown]
	v_bfe_i32 v96, v36, 16, 8
	v_cvt_f32_i32_e32 v11, v95
	v_fmac_f32_e32 v12, v73, v15
	v_fmac_f32_e32 v27, v74, v15
	;; [unrolled: 1-line block ×4, first 2 shown]
	v_ashrrev_i32_e32 v36, 24, v36
	v_cvt_f32_i32_e32 v15, v96
	v_fmac_f32_e32 v12, v76, v11
	v_fmac_f32_e32 v27, v77, v11
	v_fmac_f32_e32 v26, v78, v11
	v_fmac_f32_e32 v25, v33, v11
	v_cvt_f32_i32_e32 v11, v36
	v_fmac_f32_e32 v12, v79, v15
	v_fmac_f32_e32 v27, v80, v15
	;; [unrolled: 1-line block ×4, first 2 shown]
	s_delay_alu instid0(VALU_DEP_4) | instskip(NEXT) | instid1(VALU_DEP_4)
	v_fmac_f32_e32 v12, v82, v11
	v_fmac_f32_e32 v27, v83, v11
	s_delay_alu instid0(VALU_DEP_4) | instskip(NEXT) | instid1(VALU_DEP_4)
	v_fmac_f32_e32 v26, v84, v11
	v_fmac_f32_e32 v25, v35, v11
	s_wait_alu 0xfffe
	s_and_not1_b32 exec_lo, exec_lo, s6
	s_cbranch_execnz .LBB87_35
; %bb.36:
	s_or_b32 exec_lo, exec_lo, s6
.LBB87_37:
	s_wait_alu 0xfffe
	s_or_b32 exec_lo, exec_lo, s2
.LBB87_38:
	s_wait_alu 0xfffe
	s_or_b32 exec_lo, exec_lo, s3
.LBB87_39:
	v_mbcnt_lo_u32_b32 v1, -1, 0
	s_mov_b32 s2, -1
	s_delay_alu instid0(VALU_DEP_1) | instskip(SKIP_1) | instid1(VALU_DEP_2)
	v_xor_b32_e32 v2, 8, v1
	v_xor_b32_e32 v8, 4, v1
	v_cmp_gt_i32_e32 vcc_lo, 32, v2
	s_wait_alu 0xfffd
	v_cndmask_b32_e32 v2, v1, v2, vcc_lo
	s_delay_alu instid0(VALU_DEP_3) | instskip(NEXT) | instid1(VALU_DEP_2)
	v_cmp_gt_i32_e32 vcc_lo, 32, v8
	v_lshlrev_b32_e32 v2, 2, v2
	ds_bpermute_b32 v7, v2, v26
	s_wait_dscnt 0x0
	v_add_f32_e32 v7, v26, v7
	ds_bpermute_b32 v5, v2, v12
	s_wait_alu 0xfffd
	v_cndmask_b32_e32 v8, v1, v8, vcc_lo
	ds_bpermute_b32 v6, v2, v27
	ds_bpermute_b32 v2, v2, v25
	s_wait_dscnt 0x2
	v_dual_add_f32 v5, v12, v5 :: v_dual_lshlrev_b32 v8, 2, v8
	s_wait_dscnt 0x1
	v_add_f32_e32 v6, v27, v6
	s_wait_dscnt 0x0
	v_add_f32_e32 v2, v25, v2
	v_xor_b32_e32 v12, 2, v1
	ds_bpermute_b32 v9, v8, v5
	v_cmp_gt_i32_e32 vcc_lo, 32, v12
	s_wait_dscnt 0x0
	v_add_f32_e32 v5, v5, v9
	ds_bpermute_b32 v11, v8, v7
	ds_bpermute_b32 v10, v8, v6
	;; [unrolled: 1-line block ×3, first 2 shown]
	s_wait_dscnt 0x2
	s_wait_alu 0xfffd
	v_dual_add_f32 v7, v7, v11 :: v_dual_cndmask_b32 v12, v1, v12
	s_wait_dscnt 0x1
	v_add_f32_e32 v6, v6, v10
	s_wait_dscnt 0x0
	v_add_f32_e32 v8, v2, v8
	v_lshlrev_b32_e32 v12, 2, v12
	ds_bpermute_b32 v2, v12, v5
	ds_bpermute_b32 v9, v12, v6
	;; [unrolled: 1-line block ×4, first 2 shown]
	v_xor_b32_e32 v12, 1, v1
	s_delay_alu instid0(VALU_DEP_1) | instskip(SKIP_4) | instid1(VALU_DEP_2)
	v_cmp_gt_i32_e32 vcc_lo, 32, v12
	s_wait_alu 0xfffd
	v_cndmask_b32_e32 v1, v1, v12, vcc_lo
	v_cmp_eq_u32_e32 vcc_lo, 15, v0
	s_wait_dscnt 0x3
	v_dual_add_f32 v1, v5, v2 :: v_dual_lshlrev_b32 v12, 2, v1
	s_wait_dscnt 0x1
	v_dual_add_f32 v2, v6, v9 :: v_dual_add_f32 v5, v7, v10
	s_wait_dscnt 0x0
	v_add_f32_e32 v6, v8, v11
	ds_bpermute_b32 v7, v12, v1
	ds_bpermute_b32 v8, v12, v2
	;; [unrolled: 1-line block ×4, first 2 shown]
	s_and_b32 exec_lo, exec_lo, vcc_lo
	s_cbranch_execz .LBB87_10
; %bb.40:
	s_load_b64 s[0:1], s[0:1], 0x58
	s_wait_dscnt 0x2
	v_dual_add_f32 v0, v1, v7 :: v_dual_add_f32 v1, v2, v8
	s_wait_dscnt 0x0
	v_add_f32_e32 v6, v6, v10
	s_cmp_eq_f32 s16, 0
	s_delay_alu instid0(VALU_DEP_2) | instskip(SKIP_3) | instid1(VALU_DEP_3)
	v_dual_mul_f32 v0, s12, v0 :: v_dual_mul_f32 v1, s12, v1
	v_add_f32_e32 v2, v5, v9
	v_lshlrev_b64_e32 v[4:5], 4, v[3:4]
	v_mul_f32_e32 v3, s12, v6
	v_mul_f32_e32 v2, s12, v2
	s_cbranch_scc0 .LBB87_42
; %bb.41:
	s_wait_kmcnt 0x0
	s_delay_alu instid0(VALU_DEP_3)
	v_add_co_u32 v6, vcc_lo, s0, v4
	s_wait_alu 0xfffd
	v_add_co_ci_u32_e64 v7, null, s1, v5, vcc_lo
	s_mov_b32 s2, 0
	global_store_b128 v[6:7], v[0:3], off
.LBB87_42:
	s_wait_alu 0xfffe
	s_and_not1_b32 vcc_lo, exec_lo, s2
	s_wait_alu 0xfffe
	s_cbranch_vccnz .LBB87_10
; %bb.43:
	s_wait_kmcnt 0x0
	v_add_co_u32 v8, vcc_lo, s0, v4
	s_wait_alu 0xfffd
	v_add_co_ci_u32_e64 v9, null, s1, v5, vcc_lo
	global_load_b128 v[4:7], v[8:9], off
	s_wait_loadcnt 0x0
	v_dual_fmac_f32 v0, s16, v4 :: v_dual_fmac_f32 v1, s16, v5
	v_dual_fmac_f32 v2, s16, v6 :: v_dual_fmac_f32 v3, s16, v7
	global_store_b128 v[8:9], v[0:3], off
	s_nop 0
	s_sendmsg sendmsg(MSG_DEALLOC_VGPRS)
	s_endpgm
	.section	.rodata,"a",@progbits
	.p2align	6, 0x0
	.amdhsa_kernel _ZN9rocsparseL18bsrxmvn_4x4_kernelILj128ELj16EfllaafEEvT3_20rocsparse_direction_NS_24const_host_device_scalarIT1_EES1_PKS1_PKT2_SA_S7_PKT4_PKT5_S5_PT6_21rocsparse_index_base_b
		.amdhsa_group_segment_fixed_size 0
		.amdhsa_private_segment_fixed_size 0
		.amdhsa_kernarg_size 104
		.amdhsa_user_sgpr_count 2
		.amdhsa_user_sgpr_dispatch_ptr 0
		.amdhsa_user_sgpr_queue_ptr 0
		.amdhsa_user_sgpr_kernarg_segment_ptr 1
		.amdhsa_user_sgpr_dispatch_id 0
		.amdhsa_user_sgpr_private_segment_size 0
		.amdhsa_wavefront_size32 1
		.amdhsa_uses_dynamic_stack 0
		.amdhsa_enable_private_segment 0
		.amdhsa_system_sgpr_workgroup_id_x 1
		.amdhsa_system_sgpr_workgroup_id_y 0
		.amdhsa_system_sgpr_workgroup_id_z 0
		.amdhsa_system_sgpr_workgroup_info 0
		.amdhsa_system_vgpr_workitem_id 0
		.amdhsa_next_free_vgpr 103
		.amdhsa_next_free_sgpr 18
		.amdhsa_reserve_vcc 1
		.amdhsa_float_round_mode_32 0
		.amdhsa_float_round_mode_16_64 0
		.amdhsa_float_denorm_mode_32 3
		.amdhsa_float_denorm_mode_16_64 3
		.amdhsa_fp16_overflow 0
		.amdhsa_workgroup_processor_mode 1
		.amdhsa_memory_ordered 1
		.amdhsa_forward_progress 1
		.amdhsa_inst_pref_size 50
		.amdhsa_round_robin_scheduling 0
		.amdhsa_exception_fp_ieee_invalid_op 0
		.amdhsa_exception_fp_denorm_src 0
		.amdhsa_exception_fp_ieee_div_zero 0
		.amdhsa_exception_fp_ieee_overflow 0
		.amdhsa_exception_fp_ieee_underflow 0
		.amdhsa_exception_fp_ieee_inexact 0
		.amdhsa_exception_int_div_zero 0
	.end_amdhsa_kernel
	.section	.text._ZN9rocsparseL18bsrxmvn_4x4_kernelILj128ELj16EfllaafEEvT3_20rocsparse_direction_NS_24const_host_device_scalarIT1_EES1_PKS1_PKT2_SA_S7_PKT4_PKT5_S5_PT6_21rocsparse_index_base_b,"axG",@progbits,_ZN9rocsparseL18bsrxmvn_4x4_kernelILj128ELj16EfllaafEEvT3_20rocsparse_direction_NS_24const_host_device_scalarIT1_EES1_PKS1_PKT2_SA_S7_PKT4_PKT5_S5_PT6_21rocsparse_index_base_b,comdat
.Lfunc_end87:
	.size	_ZN9rocsparseL18bsrxmvn_4x4_kernelILj128ELj16EfllaafEEvT3_20rocsparse_direction_NS_24const_host_device_scalarIT1_EES1_PKS1_PKT2_SA_S7_PKT4_PKT5_S5_PT6_21rocsparse_index_base_b, .Lfunc_end87-_ZN9rocsparseL18bsrxmvn_4x4_kernelILj128ELj16EfllaafEEvT3_20rocsparse_direction_NS_24const_host_device_scalarIT1_EES1_PKS1_PKT2_SA_S7_PKT4_PKT5_S5_PT6_21rocsparse_index_base_b
                                        ; -- End function
	.set _ZN9rocsparseL18bsrxmvn_4x4_kernelILj128ELj16EfllaafEEvT3_20rocsparse_direction_NS_24const_host_device_scalarIT1_EES1_PKS1_PKT2_SA_S7_PKT4_PKT5_S5_PT6_21rocsparse_index_base_b.num_vgpr, 103
	.set _ZN9rocsparseL18bsrxmvn_4x4_kernelILj128ELj16EfllaafEEvT3_20rocsparse_direction_NS_24const_host_device_scalarIT1_EES1_PKS1_PKT2_SA_S7_PKT4_PKT5_S5_PT6_21rocsparse_index_base_b.num_agpr, 0
	.set _ZN9rocsparseL18bsrxmvn_4x4_kernelILj128ELj16EfllaafEEvT3_20rocsparse_direction_NS_24const_host_device_scalarIT1_EES1_PKS1_PKT2_SA_S7_PKT4_PKT5_S5_PT6_21rocsparse_index_base_b.numbered_sgpr, 18
	.set _ZN9rocsparseL18bsrxmvn_4x4_kernelILj128ELj16EfllaafEEvT3_20rocsparse_direction_NS_24const_host_device_scalarIT1_EES1_PKS1_PKT2_SA_S7_PKT4_PKT5_S5_PT6_21rocsparse_index_base_b.num_named_barrier, 0
	.set _ZN9rocsparseL18bsrxmvn_4x4_kernelILj128ELj16EfllaafEEvT3_20rocsparse_direction_NS_24const_host_device_scalarIT1_EES1_PKS1_PKT2_SA_S7_PKT4_PKT5_S5_PT6_21rocsparse_index_base_b.private_seg_size, 0
	.set _ZN9rocsparseL18bsrxmvn_4x4_kernelILj128ELj16EfllaafEEvT3_20rocsparse_direction_NS_24const_host_device_scalarIT1_EES1_PKS1_PKT2_SA_S7_PKT4_PKT5_S5_PT6_21rocsparse_index_base_b.uses_vcc, 1
	.set _ZN9rocsparseL18bsrxmvn_4x4_kernelILj128ELj16EfllaafEEvT3_20rocsparse_direction_NS_24const_host_device_scalarIT1_EES1_PKS1_PKT2_SA_S7_PKT4_PKT5_S5_PT6_21rocsparse_index_base_b.uses_flat_scratch, 0
	.set _ZN9rocsparseL18bsrxmvn_4x4_kernelILj128ELj16EfllaafEEvT3_20rocsparse_direction_NS_24const_host_device_scalarIT1_EES1_PKS1_PKT2_SA_S7_PKT4_PKT5_S5_PT6_21rocsparse_index_base_b.has_dyn_sized_stack, 0
	.set _ZN9rocsparseL18bsrxmvn_4x4_kernelILj128ELj16EfllaafEEvT3_20rocsparse_direction_NS_24const_host_device_scalarIT1_EES1_PKS1_PKT2_SA_S7_PKT4_PKT5_S5_PT6_21rocsparse_index_base_b.has_recursion, 0
	.set _ZN9rocsparseL18bsrxmvn_4x4_kernelILj128ELj16EfllaafEEvT3_20rocsparse_direction_NS_24const_host_device_scalarIT1_EES1_PKS1_PKT2_SA_S7_PKT4_PKT5_S5_PT6_21rocsparse_index_base_b.has_indirect_call, 0
	.section	.AMDGPU.csdata,"",@progbits
; Kernel info:
; codeLenInByte = 6276
; TotalNumSgprs: 20
; NumVgprs: 103
; ScratchSize: 0
; MemoryBound: 0
; FloatMode: 240
; IeeeMode: 1
; LDSByteSize: 0 bytes/workgroup (compile time only)
; SGPRBlocks: 0
; VGPRBlocks: 12
; NumSGPRsForWavesPerEU: 20
; NumVGPRsForWavesPerEU: 103
; Occupancy: 12
; WaveLimiterHint : 1
; COMPUTE_PGM_RSRC2:SCRATCH_EN: 0
; COMPUTE_PGM_RSRC2:USER_SGPR: 2
; COMPUTE_PGM_RSRC2:TRAP_HANDLER: 0
; COMPUTE_PGM_RSRC2:TGID_X_EN: 1
; COMPUTE_PGM_RSRC2:TGID_Y_EN: 0
; COMPUTE_PGM_RSRC2:TGID_Z_EN: 0
; COMPUTE_PGM_RSRC2:TIDIG_COMP_CNT: 0
	.section	.text._ZN9rocsparseL18bsrxmvn_4x4_kernelILj128ELj32EfllaafEEvT3_20rocsparse_direction_NS_24const_host_device_scalarIT1_EES1_PKS1_PKT2_SA_S7_PKT4_PKT5_S5_PT6_21rocsparse_index_base_b,"axG",@progbits,_ZN9rocsparseL18bsrxmvn_4x4_kernelILj128ELj32EfllaafEEvT3_20rocsparse_direction_NS_24const_host_device_scalarIT1_EES1_PKS1_PKT2_SA_S7_PKT4_PKT5_S5_PT6_21rocsparse_index_base_b,comdat
	.globl	_ZN9rocsparseL18bsrxmvn_4x4_kernelILj128ELj32EfllaafEEvT3_20rocsparse_direction_NS_24const_host_device_scalarIT1_EES1_PKS1_PKT2_SA_S7_PKT4_PKT5_S5_PT6_21rocsparse_index_base_b ; -- Begin function _ZN9rocsparseL18bsrxmvn_4x4_kernelILj128ELj32EfllaafEEvT3_20rocsparse_direction_NS_24const_host_device_scalarIT1_EES1_PKS1_PKT2_SA_S7_PKT4_PKT5_S5_PT6_21rocsparse_index_base_b
	.p2align	8
	.type	_ZN9rocsparseL18bsrxmvn_4x4_kernelILj128ELj32EfllaafEEvT3_20rocsparse_direction_NS_24const_host_device_scalarIT1_EES1_PKS1_PKT2_SA_S7_PKT4_PKT5_S5_PT6_21rocsparse_index_base_b,@function
_ZN9rocsparseL18bsrxmvn_4x4_kernelILj128ELj32EfllaafEEvT3_20rocsparse_direction_NS_24const_host_device_scalarIT1_EES1_PKS1_PKT2_SA_S7_PKT4_PKT5_S5_PT6_21rocsparse_index_base_b: ; @_ZN9rocsparseL18bsrxmvn_4x4_kernelILj128ELj32EfllaafEEvT3_20rocsparse_direction_NS_24const_host_device_scalarIT1_EES1_PKS1_PKT2_SA_S7_PKT4_PKT5_S5_PT6_21rocsparse_index_base_b
; %bb.0:
	s_clause 0x2
	s_load_b64 s[2:3], s[0:1], 0x60
	s_load_b128 s[12:15], s[0:1], 0x10
	s_load_b64 s[16:17], s[0:1], 0x50
	s_wait_kmcnt 0x0
	s_bitcmp1_b32 s3, 0
	s_cselect_b32 s3, -1, 0
	s_delay_alu instid0(SALU_CYCLE_1)
	s_and_b32 vcc_lo, exec_lo, s3
	s_xor_b32 s3, s3, -1
	s_cbranch_vccnz .LBB88_2
; %bb.1:
	s_load_b32 s12, s[12:13], 0x0
.LBB88_2:
	s_and_not1_b32 vcc_lo, exec_lo, s3
	s_cbranch_vccnz .LBB88_4
; %bb.3:
	s_load_b32 s16, s[16:17], 0x0
.LBB88_4:
	s_wait_kmcnt 0x0
	s_cmp_neq_f32 s12, 0
	s_mov_b32 s6, 0
	s_cselect_b32 s3, -1, 0
	s_cmp_neq_f32 s16, 1.0
	s_cselect_b32 s4, -1, 0
	s_delay_alu instid0(SALU_CYCLE_1) | instskip(NEXT) | instid1(SALU_CYCLE_1)
	s_or_b32 s3, s3, s4
	s_and_not1_b32 vcc_lo, exec_lo, s3
	s_cbranch_vccnz .LBB88_10
; %bb.5:
	s_load_b64 s[4:5], s[0:1], 0x20
	v_lshrrev_b32_e32 v1, 5, v0
	v_mov_b32_e32 v6, 0
	s_delay_alu instid0(VALU_DEP_2)
	v_lshl_or_b32 v5, ttmp9, 2, v1
	s_wait_kmcnt 0x0
	s_cmp_lg_u64 s[4:5], 0
	s_cbranch_scc0 .LBB88_11
; %bb.6:
	s_mov_b32 s7, 0
                                        ; implicit-def: $vgpr3_vgpr4
                                        ; implicit-def: $vgpr1_vgpr2
	s_mov_b32 s3, exec_lo
	v_cmpx_gt_i64_e64 s[14:15], v[5:6]
	s_xor_b32 s8, exec_lo, s3
	s_cbranch_execz .LBB88_8
; %bb.7:
	v_lshlrev_b64_e32 v[1:2], 3, v[5:6]
	s_mov_b32 s3, 0
	s_mov_b32 s6, exec_lo
	s_delay_alu instid0(VALU_DEP_1) | instskip(NEXT) | instid1(VALU_DEP_1)
	v_add_co_u32 v1, vcc_lo, s4, v1
	v_add_co_ci_u32_e64 v2, null, s5, v2, vcc_lo
	global_load_b64 v[1:2], v[1:2], off
	s_wait_loadcnt 0x0
	v_sub_co_u32 v3, vcc_lo, v1, s2
	s_wait_alu 0xfffd
	v_subrev_co_ci_u32_e64 v4, null, 0, v2, vcc_lo
	v_dual_mov_b32 v1, s2 :: v_dual_mov_b32 v2, s3
.LBB88_8:
	s_or_b32 exec_lo, exec_lo, s8
	s_delay_alu instid0(SALU_CYCLE_1)
	s_and_b32 vcc_lo, exec_lo, s7
	s_wait_alu 0xfffe
	s_cbranch_vccnz .LBB88_12
.LBB88_9:
	s_and_saveexec_b32 s2, s6
	s_cbranch_execnz .LBB88_15
.LBB88_10:
	s_nop 0
	s_sendmsg sendmsg(MSG_DEALLOC_VGPRS)
	s_endpgm
.LBB88_11:
                                        ; implicit-def: $vgpr3_vgpr4
                                        ; implicit-def: $vgpr1_vgpr2
	s_cbranch_execz .LBB88_9
.LBB88_12:
	s_load_b64 s[4:5], s[0:1], 0x0
	s_wait_kmcnt 0x0
	v_cmp_gt_i64_e32 vcc_lo, s[4:5], v[5:6]
	s_and_saveexec_b32 s4, vcc_lo
; %bb.13:
	s_mov_b32 s3, 0
	s_or_b32 s6, s6, exec_lo
; %bb.14:
	s_wait_alu 0xfffe
	s_or_b32 exec_lo, exec_lo, s4
	v_dual_mov_b32 v1, s2 :: v_dual_mov_b32 v2, s3
	v_dual_mov_b32 v3, v5 :: v_dual_mov_b32 v4, v6
	s_and_saveexec_b32 s2, s6
	s_cbranch_execz .LBB88_10
.LBB88_15:
	s_load_b256 s[4:11], s[0:1], 0x28
	s_delay_alu instid0(VALU_DEP_1) | instskip(SKIP_3) | instid1(VALU_DEP_2)
	v_lshlrev_b64_e32 v[5:6], 3, v[3:4]
	v_dual_mov_b32 v25, 0 :: v_dual_and_b32 v0, 31, v0
	s_load_b32 s3, s[0:1], 0x8
	s_wait_kmcnt 0x0
	v_add_co_u32 v7, vcc_lo, s4, v5
	s_wait_alu 0xfffd
	v_add_co_ci_u32_e64 v8, null, s5, v6, vcc_lo
	v_add_co_u32 v5, vcc_lo, s6, v5
	s_wait_alu 0xfffd
	v_add_co_ci_u32_e64 v6, null, s7, v6, vcc_lo
	v_add_co_u32 v9, vcc_lo, v7, 8
	global_load_b64 v[13:14], v[7:8], off
	s_wait_alu 0xfffd
	v_add_co_ci_u32_e64 v10, null, 0, v8, vcc_lo
	s_cmp_eq_u64 s[6:7], 0
	s_load_b64 s[4:5], s[0:1], 0x48
	s_cselect_b32 vcc_lo, -1, 0
	s_cmp_eq_u32 s3, 1
	s_wait_alu 0xfffe
	v_dual_cndmask_b32 v6, v6, v10 :: v_dual_cndmask_b32 v5, v5, v9
	global_load_b64 v[7:8], v[5:6], off
	s_wait_loadcnt 0x1
	v_sub_co_u32 v5, vcc_lo, v13, v1
	s_wait_alu 0xfffd
	v_sub_co_ci_u32_e64 v6, null, v14, v2, vcc_lo
	s_delay_alu instid0(VALU_DEP_2) | instskip(SKIP_1) | instid1(VALU_DEP_2)
	v_add_co_u32 v5, vcc_lo, v5, v0
	s_wait_alu 0xfffd
	v_add_co_ci_u32_e64 v6, null, 0, v6, vcc_lo
	s_delay_alu instid0(VALU_DEP_1) | instskip(SKIP_4) | instid1(VALU_DEP_3)
	v_lshlrev_b64_e32 v[9:10], 4, v[5:6]
	s_wait_loadcnt 0x0
	v_sub_co_u32 v7, vcc_lo, v7, v1
	s_wait_alu 0xfffd
	v_sub_co_ci_u32_e64 v8, null, v8, v2, vcc_lo
	v_add_co_u32 v9, vcc_lo, s10, v9
	s_delay_alu instid0(VALU_DEP_2)
	v_cmp_lt_i64_e64 s2, v[5:6], v[7:8]
	s_wait_alu 0xfffd
	v_add_co_ci_u32_e64 v10, null, s11, v10, vcc_lo
	s_cbranch_scc1 .LBB88_27
; %bb.16:
	v_dual_mov_b32 v26, 0 :: v_dual_mov_b32 v27, 0
	v_mov_b32_e32 v12, 0
	s_and_saveexec_b32 s6, s2
	s_cbranch_execz .LBB88_26
; %bb.17:
	v_or_b32_e32 v11, 32, v0
	v_not_b32_e32 v16, v13
	v_sub_co_u32 v17, s3, v1, v0
	v_not_b32_e32 v15, v14
	s_delay_alu instid0(VALU_DEP_4)
	v_sub_co_u32 v11, vcc_lo, v11, v1
	s_wait_alu 0xfffd
	v_sub_co_ci_u32_e64 v12, null, 0, v2, vcc_lo
	s_wait_alu 0xf1ff
	v_subrev_co_ci_u32_e64 v18, null, 0, v2, s3
	v_add_co_u32 v11, vcc_lo, v11, v13
	s_wait_alu 0xfffd
	v_add_co_ci_u32_e64 v12, null, v12, v14, vcc_lo
	s_mov_b32 s3, exec_lo
	v_cmp_gt_i64_e32 vcc_lo, v[11:12], v[7:8]
	s_wait_alu 0xfffd
	v_dual_cndmask_b32 v20, v8, v12 :: v_dual_cndmask_b32 v11, v7, v11
	v_add_co_u32 v12, vcc_lo, v17, v16
	s_wait_alu 0xfffd
	v_add_co_ci_u32_e64 v15, null, v18, v15, vcc_lo
	v_mov_b32_e32 v18, v10
	s_delay_alu instid0(VALU_DEP_3) | instskip(SKIP_3) | instid1(VALU_DEP_3)
	v_add_co_u32 v19, vcc_lo, v12, v11
	v_mov_b32_e32 v12, 0
	s_wait_alu 0xfffd
	v_add_co_ci_u32_e64 v20, null, v15, v20, vcc_lo
	v_dual_mov_b32 v16, v6 :: v_dual_and_b32 v11, 0x60, v19
	s_delay_alu instid0(VALU_DEP_3)
	v_mov_b32_e32 v25, v12
	v_mov_b32_e32 v15, v5
	v_dual_mov_b32 v27, v12 :: v_dual_mov_b32 v26, v12
	v_mov_b32_e32 v17, v9
	v_cmpx_ne_u64_e32 0x60, v[11:12]
	s_cbranch_execz .LBB88_21
; %bb.18:
	v_lshrrev_b32_e32 v11, 5, v19
	v_dual_mov_b32 v25, 0 :: v_dual_mov_b32 v18, v10
	v_dual_mov_b32 v17, v9 :: v_dual_mov_b32 v26, 0
	s_delay_alu instid0(VALU_DEP_3) | instskip(SKIP_3) | instid1(VALU_DEP_4)
	v_dual_mov_b32 v16, v6 :: v_dual_add_nc_u32 v21, 1, v11
	v_lshlrev_b64_e32 v[11:12], 3, v[5:6]
	v_mov_b32_e32 v15, v5
	v_mov_b32_e32 v27, 0
	v_and_b32_e32 v23, 3, v21
	s_delay_alu instid0(VALU_DEP_4) | instskip(NEXT) | instid1(VALU_DEP_2)
	v_add_co_u32 v21, vcc_lo, s8, v11
	v_sub_co_u32 v23, s7, 0, v23
	s_wait_alu 0xfffd
	v_add_co_ci_u32_e64 v22, null, s9, v12, vcc_lo
	s_wait_alu 0xf1ff
	v_sub_co_ci_u32_e64 v24, null, 0, 0, s7
	v_mov_b32_e32 v12, 0
	s_mov_b32 s7, 0
.LBB88_19:                              ; =>This Inner Loop Header: Depth=1
	global_load_b64 v[28:29], v[21:22], off
	s_wait_loadcnt 0x0
	v_sub_co_u32 v28, vcc_lo, v28, v1
	s_wait_alu 0xfffd
	v_sub_co_ci_u32_e64 v29, null, v29, v2, vcc_lo
	s_delay_alu instid0(VALU_DEP_1) | instskip(SKIP_1) | instid1(VALU_DEP_1)
	v_lshlrev_b64_e32 v[28:29], 2, v[28:29]
	s_wait_kmcnt 0x0
	v_add_co_u32 v32, vcc_lo, s4, v28
	s_wait_alu 0xfffd
	s_delay_alu instid0(VALU_DEP_2)
	v_add_co_ci_u32_e64 v33, null, s5, v29, vcc_lo
	global_load_b128 v[28:31], v[17:18], off
	global_load_b32 v11, v[32:33], off
	v_add_co_u32 v17, vcc_lo, 0x200, v17
	s_wait_alu 0xfffd
	v_add_co_ci_u32_e64 v18, null, 0, v18, vcc_lo
	v_add_co_u32 v15, vcc_lo, v15, 32
	s_wait_alu 0xfffd
	v_add_co_ci_u32_e64 v16, null, 0, v16, vcc_lo
	;; [unrolled: 3-line block ×4, first 2 shown]
	s_delay_alu instid0(VALU_DEP_1)
	v_cmp_eq_u64_e32 vcc_lo, 0, v[23:24]
	s_wait_alu 0xfffe
	s_or_b32 s7, vcc_lo, s7
	s_wait_loadcnt 0x1
	v_bfe_i32 v32, v28, 0, 8
	v_bfe_i32 v41, v31, 0, 8
	s_wait_loadcnt 0x0
	v_bfe_i32 v44, v11, 0, 8
	v_bfe_i32 v33, v28, 8, 8
	;; [unrolled: 1-line block ×6, first 2 shown]
	v_cvt_f32_i32_e32 v32, v32
	v_cvt_f32_i32_e32 v41, v41
	v_bfe_i32 v45, v11, 8, 8
	v_cvt_f32_i32_e32 v44, v44
	v_bfe_i32 v36, v29, 8, 8
	v_cvt_f32_i32_e32 v33, v33
	v_cvt_f32_i32_e32 v35, v35
	;; [unrolled: 1-line block ×6, first 2 shown]
	v_fmac_f32_e32 v25, v41, v44
	v_fmac_f32_e32 v12, v32, v44
	v_bfe_i32 v34, v28, 16, 8
	v_bfe_i32 v37, v29, 16, 8
	;; [unrolled: 1-line block ×4, first 2 shown]
	v_cvt_f32_i32_e32 v36, v36
	v_bfe_i32 v46, v11, 16, 8
	v_fmac_f32_e32 v25, v42, v45
	v_dual_fmac_f32 v27, v35, v44 :: v_dual_fmac_f32 v12, v33, v45
	v_fmac_f32_e32 v26, v38, v44
	v_ashrrev_i32_e32 v28, 24, v28
	v_ashrrev_i32_e32 v29, 24, v29
	;; [unrolled: 1-line block ×4, first 2 shown]
	v_cvt_f32_i32_e32 v34, v34
	v_cvt_f32_i32_e32 v37, v37
	v_cvt_f32_i32_e32 v40, v40
	v_cvt_f32_i32_e32 v43, v43
	v_ashrrev_i32_e32 v11, 24, v11
	v_cvt_f32_i32_e32 v32, v46
	v_fmac_f32_e32 v27, v36, v45
	v_fmac_f32_e32 v26, v39, v45
	v_cvt_f32_i32_e32 v28, v28
	v_cvt_f32_i32_e32 v29, v29
	;; [unrolled: 1-line block ×5, first 2 shown]
	v_fmac_f32_e32 v27, v37, v32
	v_fmac_f32_e32 v12, v34, v32
	;; [unrolled: 1-line block ×3, first 2 shown]
	s_delay_alu instid0(VALU_DEP_3) | instskip(NEXT) | instid1(VALU_DEP_3)
	v_dual_fmac_f32 v26, v40, v32 :: v_dual_fmac_f32 v27, v29, v11
	v_fmac_f32_e32 v12, v28, v11
	s_delay_alu instid0(VALU_DEP_3) | instskip(NEXT) | instid1(VALU_DEP_3)
	v_fmac_f32_e32 v25, v31, v11
	v_fmac_f32_e32 v26, v30, v11
	s_wait_alu 0xfffe
	s_and_not1_b32 exec_lo, exec_lo, s7
	s_cbranch_execnz .LBB88_19
; %bb.20:
	s_or_b32 exec_lo, exec_lo, s7
.LBB88_21:
	s_wait_alu 0xfffe
	s_or_b32 exec_lo, exec_lo, s3
	s_delay_alu instid0(SALU_CYCLE_1)
	s_mov_b32 s3, exec_lo
	v_cmpx_lt_u64_e32 0x5f, v[19:20]
	s_cbranch_execz .LBB88_25
; %bb.22:
	v_lshlrev_b64_e32 v[19:20], 3, v[15:16]
	s_mov_b32 s7, 0
	s_delay_alu instid0(VALU_DEP_1) | instskip(SKIP_1) | instid1(VALU_DEP_2)
	v_add_co_u32 v11, vcc_lo, s8, v19
	s_wait_alu 0xfffd
	v_add_co_ci_u32_e64 v20, null, s9, v20, vcc_lo
	s_delay_alu instid0(VALU_DEP_2) | instskip(SKIP_1) | instid1(VALU_DEP_2)
	v_add_co_u32 v19, vcc_lo, 0x200, v11
	s_wait_alu 0xfffd
	v_add_co_ci_u32_e64 v20, null, 0, v20, vcc_lo
.LBB88_23:                              ; =>This Inner Loop Header: Depth=1
	s_clause 0x3
	global_load_b64 v[40:41], v[19:20], off offset:-512
	global_load_b64 v[42:43], v[19:20], off offset:-256
	global_load_b64 v[44:45], v[19:20], off
	global_load_b64 v[46:47], v[19:20], off offset:256
	s_clause 0x3
	global_load_b128 v[21:24], v[17:18], off
	global_load_b128 v[28:31], v[17:18], off offset:512
	global_load_b128 v[32:35], v[17:18], off offset:1024
	global_load_b128 v[36:39], v[17:18], off offset:1536
	s_wait_loadcnt 0x7
	v_sub_co_u32 v40, vcc_lo, v40, v1
	s_wait_alu 0xfffd
	v_sub_co_ci_u32_e64 v41, null, v41, v2, vcc_lo
	s_wait_loadcnt 0x6
	v_sub_co_u32 v42, vcc_lo, v42, v1
	s_wait_alu 0xfffd
	v_sub_co_ci_u32_e64 v43, null, v43, v2, vcc_lo
	;; [unrolled: 4-line block ×3, first 2 shown]
	s_wait_loadcnt 0x4
	v_sub_co_u32 v46, vcc_lo, v46, v1
	v_lshlrev_b64_e32 v[40:41], 2, v[40:41]
	s_wait_alu 0xfffd
	v_sub_co_ci_u32_e64 v47, null, v47, v2, vcc_lo
	v_lshlrev_b64_e32 v[42:43], 2, v[42:43]
	v_lshlrev_b64_e32 v[44:45], 2, v[44:45]
	s_wait_loadcnt 0x3
	v_bfe_i32 v52, v24, 0, 8
	v_lshlrev_b64_e32 v[46:47], 2, v[46:47]
	s_wait_kmcnt 0x0
	v_add_co_u32 v40, vcc_lo, s4, v40
	s_wait_alu 0xfffd
	v_add_co_ci_u32_e64 v41, null, s5, v41, vcc_lo
	v_add_co_u32 v42, vcc_lo, s4, v42
	s_wait_alu 0xfffd
	v_add_co_ci_u32_e64 v43, null, s5, v43, vcc_lo
	;; [unrolled: 3-line block ×4, first 2 shown]
	s_clause 0x3
	global_load_b32 v11, v[40:41], off
	global_load_b32 v40, v[42:43], off
	;; [unrolled: 1-line block ×4, first 2 shown]
	v_bfe_i32 v43, v21, 0, 8
	v_bfe_i32 v44, v21, 8, 8
	;; [unrolled: 1-line block ×6, first 2 shown]
	v_cvt_f32_i32_e32 v43, v43
	v_cvt_f32_i32_e32 v52, v52
	v_bfe_i32 v45, v21, 16, 8
	v_bfe_i32 v47, v22, 8, 8
	v_cvt_f32_i32_e32 v44, v44
	v_cvt_f32_i32_e32 v46, v46
	;; [unrolled: 1-line block ×5, first 2 shown]
	v_ashrrev_i32_e32 v21, 24, v21
	v_bfe_i32 v48, v22, 16, 8
	v_bfe_i32 v51, v23, 16, 8
	v_bfe_i32 v54, v24, 16, 8
	s_wait_loadcnt 0x6
	v_bfe_i32 v60, v29, 16, 8
	v_cvt_f32_i32_e32 v45, v45
	v_cvt_f32_i32_e32 v47, v47
	v_ashrrev_i32_e32 v22, 24, v22
	v_ashrrev_i32_e32 v23, 24, v23
	;; [unrolled: 1-line block ×3, first 2 shown]
	v_bfe_i32 v57, v28, 16, 8
	v_bfe_i32 v63, v30, 16, 8
	;; [unrolled: 1-line block ×3, first 2 shown]
	s_wait_loadcnt 0x5
	v_bfe_i32 v70, v33, 0, 8
	v_cvt_f32_i32_e32 v21, v21
	v_cvt_f32_i32_e32 v48, v48
	;; [unrolled: 1-line block ×5, first 2 shown]
	v_bfe_i32 v55, v28, 0, 8
	v_bfe_i32 v58, v29, 0, 8
	;; [unrolled: 1-line block ×7, first 2 shown]
	v_cvt_f32_i32_e32 v22, v22
	v_cvt_f32_i32_e32 v23, v23
	;; [unrolled: 1-line block ×7, first 2 shown]
	v_bfe_i32 v56, v28, 8, 8
	v_bfe_i32 v59, v29, 8, 8
	v_bfe_i32 v62, v30, 8, 8
	v_bfe_i32 v65, v31, 8, 8
	v_bfe_i32 v69, v32, 16, 8
	v_bfe_i32 v72, v33, 16, 8
	v_bfe_i32 v75, v34, 16, 8
	v_bfe_i32 v78, v35, 16, 8
	v_cvt_f32_i32_e32 v55, v55
	v_cvt_f32_i32_e32 v58, v58
	;; [unrolled: 1-line block ×7, first 2 shown]
	s_wait_loadcnt 0x4
	v_bfe_i32 v79, v36, 0, 8
	v_bfe_i32 v82, v37, 0, 8
	;; [unrolled: 1-line block ×4, first 2 shown]
	v_cvt_f32_i32_e32 v56, v56
	v_cvt_f32_i32_e32 v59, v59
	;; [unrolled: 1-line block ×8, first 2 shown]
	v_ashrrev_i32_e32 v28, 24, v28
	v_ashrrev_i32_e32 v29, 24, v29
	;; [unrolled: 1-line block ×4, first 2 shown]
	v_cvt_f32_i32_e32 v79, v79
	v_cvt_f32_i32_e32 v82, v82
	;; [unrolled: 1-line block ×4, first 2 shown]
	v_bfe_i32 v81, v36, 16, 8
	v_bfe_i32 v84, v37, 16, 8
	;; [unrolled: 1-line block ×4, first 2 shown]
	v_cvt_f32_i32_e32 v28, v28
	v_cvt_f32_i32_e32 v29, v29
	;; [unrolled: 1-line block ×4, first 2 shown]
	v_bfe_i32 v68, v32, 8, 8
	v_bfe_i32 v71, v33, 8, 8
	;; [unrolled: 1-line block ×4, first 2 shown]
	v_cvt_f32_i32_e32 v81, v81
	v_cvt_f32_i32_e32 v84, v84
	;; [unrolled: 1-line block ×8, first 2 shown]
	v_ashrrev_i32_e32 v32, 24, v32
	v_ashrrev_i32_e32 v33, 24, v33
	;; [unrolled: 1-line block ×4, first 2 shown]
	v_bfe_i32 v80, v36, 8, 8
	v_cvt_f32_i32_e32 v32, v32
	v_cvt_f32_i32_e32 v33, v33
	;; [unrolled: 1-line block ×4, first 2 shown]
	v_bfe_i32 v83, v37, 8, 8
	v_bfe_i32 v86, v38, 8, 8
	;; [unrolled: 1-line block ×3, first 2 shown]
	v_cvt_f32_i32_e32 v80, v80
	v_add_co_u32 v17, vcc_lo, 0x800, v17
	v_cvt_f32_i32_e32 v83, v83
	v_cvt_f32_i32_e32 v86, v86
	;; [unrolled: 1-line block ×3, first 2 shown]
	s_wait_alu 0xfffd
	v_add_co_ci_u32_e64 v18, null, 0, v18, vcc_lo
	v_add_co_u32 v15, vcc_lo, 0x80, v15
	v_ashrrev_i32_e32 v36, 24, v36
	v_ashrrev_i32_e32 v37, 24, v37
	v_ashrrev_i32_e32 v38, 24, v38
	v_ashrrev_i32_e32 v39, 24, v39
	s_wait_alu 0xfffd
	v_add_co_ci_u32_e64 v16, null, 0, v16, vcc_lo
	v_add_co_u32 v19, vcc_lo, 0x400, v19
	v_cvt_f32_i32_e32 v36, v36
	v_cvt_f32_i32_e32 v37, v37
	v_cvt_f32_i32_e32 v38, v38
	v_cvt_f32_i32_e32 v39, v39
	s_wait_alu 0xfffd
	v_add_co_ci_u32_e64 v20, null, 0, v20, vcc_lo
	v_cmp_ge_i64_e32 vcc_lo, v[15:16], v[7:8]
	s_wait_alu 0xfffe
	s_or_b32 s7, vcc_lo, s7
	s_wait_loadcnt 0x3
	v_bfe_i32 v91, v11, 0, 8
	v_bfe_i32 v92, v11, 8, 8
	;; [unrolled: 1-line block ×3, first 2 shown]
	v_ashrrev_i32_e32 v11, 24, v11
	s_wait_loadcnt 0x2
	v_bfe_i32 v96, v40, 16, 8
	v_cvt_f32_i32_e32 v91, v91
	v_cvt_f32_i32_e32 v92, v92
	v_bfe_i32 v94, v40, 0, 8
	v_cvt_f32_i32_e32 v11, v11
	v_bfe_i32 v95, v40, 8, 8
	v_fmac_f32_e32 v25, v52, v91
	v_fmac_f32_e32 v12, v43, v91
	v_cvt_f32_i32_e32 v43, v93
	v_ashrrev_i32_e32 v40, 24, v40
	s_wait_loadcnt 0x1
	v_bfe_i32 v97, v41, 0, 8
	v_fmac_f32_e32 v25, v53, v92
	v_dual_fmac_f32 v27, v46, v91 :: v_dual_fmac_f32 v12, v44, v92
	v_fmac_f32_e32 v26, v49, v91
	v_bfe_i32 v98, v41, 8, 8
	v_bfe_i32 v99, v41, 16, 8
	s_delay_alu instid0(VALU_DEP_4) | instskip(NEXT) | instid1(VALU_DEP_4)
	v_dual_fmac_f32 v27, v47, v92 :: v_dual_fmac_f32 v12, v45, v43
	v_fmac_f32_e32 v26, v50, v92
	v_ashrrev_i32_e32 v41, 24, v41
	s_wait_loadcnt 0x0
	v_bfe_i32 v100, v42, 0, 8
	v_bfe_i32 v101, v42, 8, 8
	v_fmac_f32_e32 v12, v21, v11
	v_cvt_f32_i32_e32 v21, v96
	v_fmac_f32_e32 v27, v48, v43
	v_fmac_f32_e32 v26, v51, v43
	;; [unrolled: 1-line block ×3, first 2 shown]
	v_cvt_f32_i32_e32 v43, v94
	v_bfe_i32 v102, v42, 16, 8
	v_fmac_f32_e32 v27, v22, v11
	v_fmac_f32_e32 v26, v23, v11
	v_fmac_f32_e32 v25, v24, v11
	v_cvt_f32_i32_e32 v11, v95
	v_fmac_f32_e32 v12, v55, v43
	v_fmac_f32_e32 v27, v58, v43
	;; [unrolled: 1-line block ×4, first 2 shown]
	v_ashrrev_i32_e32 v42, 24, v42
	v_fmac_f32_e32 v12, v56, v11
	v_fmac_f32_e32 v27, v59, v11
	v_fmac_f32_e32 v26, v62, v11
	v_fmac_f32_e32 v25, v65, v11
	v_cvt_f32_i32_e32 v11, v40
	v_fmac_f32_e32 v12, v57, v21
	v_fmac_f32_e32 v27, v60, v21
	v_fmac_f32_e32 v26, v63, v21
	v_fmac_f32_e32 v25, v66, v21
	v_cvt_f32_i32_e32 v21, v97
	;; [unrolled: 5-line block ×9, first 2 shown]
	v_fmac_f32_e32 v12, v81, v21
	v_fmac_f32_e32 v27, v84, v21
	;; [unrolled: 1-line block ×3, first 2 shown]
	s_delay_alu instid0(VALU_DEP_3) | instskip(NEXT) | instid1(VALU_DEP_3)
	v_dual_fmac_f32 v25, v90, v21 :: v_dual_fmac_f32 v12, v36, v11
	v_fmac_f32_e32 v27, v37, v11
	s_delay_alu instid0(VALU_DEP_3) | instskip(NEXT) | instid1(VALU_DEP_3)
	v_fmac_f32_e32 v26, v38, v11
	v_fmac_f32_e32 v25, v39, v11
	s_wait_alu 0xfffe
	s_and_not1_b32 exec_lo, exec_lo, s7
	s_cbranch_execnz .LBB88_23
; %bb.24:
	s_or_b32 exec_lo, exec_lo, s7
.LBB88_25:
	s_wait_alu 0xfffe
	s_or_b32 exec_lo, exec_lo, s3
.LBB88_26:
	s_wait_alu 0xfffe
	s_or_b32 exec_lo, exec_lo, s6
	s_cbranch_execz .LBB88_28
	s_branch .LBB88_39
.LBB88_27:
                                        ; implicit-def: $vgpr25
                                        ; implicit-def: $vgpr26
                                        ; implicit-def: $vgpr27
                                        ; implicit-def: $vgpr12
.LBB88_28:
	v_dual_mov_b32 v25, 0 :: v_dual_mov_b32 v26, 0
	v_dual_mov_b32 v27, 0 :: v_dual_mov_b32 v12, 0
	s_and_saveexec_b32 s3, s2
	s_cbranch_execz .LBB88_38
; %bb.29:
	v_or_b32_e32 v11, 32, v0
	v_sub_co_u32 v15, s2, v1, v0
	s_wait_alu 0xf1ff
	v_subrev_co_ci_u32_e64 v16, null, 0, v2, s2
	s_delay_alu instid0(VALU_DEP_3)
	v_sub_co_u32 v11, vcc_lo, v11, v1
	s_wait_alu 0xfffd
	v_sub_co_ci_u32_e64 v12, null, 0, v2, vcc_lo
	s_mov_b32 s2, exec_lo
	v_add_co_u32 v11, vcc_lo, v11, v13
	s_wait_alu 0xfffd
	v_add_co_ci_u32_e64 v12, null, v12, v14, vcc_lo
	v_not_b32_e32 v13, v13
	v_not_b32_e32 v14, v14
	s_delay_alu instid0(VALU_DEP_3)
	v_cmp_gt_i64_e32 vcc_lo, v[11:12], v[7:8]
	s_wait_alu 0xfffd
	v_cndmask_b32_e32 v17, v8, v12, vcc_lo
	v_cndmask_b32_e32 v11, v7, v11, vcc_lo
	v_add_co_u32 v12, vcc_lo, v15, v13
	s_wait_alu 0xfffd
	v_add_co_ci_u32_e64 v14, null, v16, v14, vcc_lo
	s_delay_alu instid0(VALU_DEP_2) | instskip(SKIP_2) | instid1(VALU_DEP_3)
	v_add_co_u32 v13, vcc_lo, v12, v11
	v_mov_b32_e32 v12, 0
	s_wait_alu 0xfffd
	v_add_co_ci_u32_e64 v14, null, v14, v17, vcc_lo
	s_delay_alu instid0(VALU_DEP_3) | instskip(NEXT) | instid1(VALU_DEP_3)
	v_and_b32_e32 v11, 0x60, v13
	v_dual_mov_b32 v27, v12 :: v_dual_mov_b32 v26, v12
	v_mov_b32_e32 v25, v12
	s_delay_alu instid0(VALU_DEP_3)
	v_cmpx_ne_u64_e32 0x60, v[11:12]
	s_cbranch_execz .LBB88_33
; %bb.30:
	v_lshrrev_b32_e32 v11, 5, v13
	v_mov_b32_e32 v25, 0
	v_dual_mov_b32 v27, 0 :: v_dual_mov_b32 v26, 0
	s_delay_alu instid0(VALU_DEP_3) | instskip(SKIP_1) | instid1(VALU_DEP_2)
	v_add_nc_u32_e32 v15, 1, v11
	v_lshlrev_b64_e32 v[11:12], 3, v[5:6]
	v_and_b32_e32 v17, 3, v15
	s_delay_alu instid0(VALU_DEP_2) | instskip(SKIP_1) | instid1(VALU_DEP_3)
	v_add_co_u32 v15, vcc_lo, s8, v11
	s_wait_alu 0xfffd
	v_add_co_ci_u32_e64 v16, null, s9, v12, vcc_lo
	s_delay_alu instid0(VALU_DEP_3)
	v_sub_co_u32 v17, s6, 0, v17
	s_wait_alu 0xf1ff
	v_sub_co_ci_u32_e64 v18, null, 0, 0, s6
	v_mov_b32_e32 v12, 0
	s_mov_b32 s6, 0
.LBB88_31:                              ; =>This Inner Loop Header: Depth=1
	global_load_b64 v[19:20], v[15:16], off
	s_wait_loadcnt 0x0
	v_sub_co_u32 v19, vcc_lo, v19, v1
	s_wait_alu 0xfffd
	v_sub_co_ci_u32_e64 v20, null, v20, v2, vcc_lo
	s_delay_alu instid0(VALU_DEP_1) | instskip(SKIP_1) | instid1(VALU_DEP_1)
	v_lshlrev_b64_e32 v[19:20], 2, v[19:20]
	s_wait_kmcnt 0x0
	v_add_co_u32 v23, vcc_lo, s4, v19
	s_wait_alu 0xfffd
	s_delay_alu instid0(VALU_DEP_2)
	v_add_co_ci_u32_e64 v24, null, s5, v20, vcc_lo
	global_load_b128 v[19:22], v[9:10], off
	global_load_b32 v11, v[23:24], off
	v_add_co_u32 v9, vcc_lo, 0x200, v9
	s_wait_alu 0xfffd
	v_add_co_ci_u32_e64 v10, null, 0, v10, vcc_lo
	v_add_co_u32 v5, vcc_lo, v5, 32
	s_wait_alu 0xfffd
	v_add_co_ci_u32_e64 v6, null, 0, v6, vcc_lo
	;; [unrolled: 3-line block ×4, first 2 shown]
	s_delay_alu instid0(VALU_DEP_1)
	v_cmp_eq_u64_e32 vcc_lo, 0, v[17:18]
	s_wait_alu 0xfffe
	s_or_b32 s6, vcc_lo, s6
	s_wait_loadcnt 0x1
	v_bfe_i32 v23, v19, 0, 8
	v_bfe_i32 v24, v19, 8, 8
	s_wait_loadcnt 0x0
	v_bfe_i32 v38, v11, 0, 8
	v_bfe_i32 v28, v19, 16, 8
	v_ashrrev_i32_e32 v19, 24, v19
	v_bfe_i32 v29, v20, 0, 8
	v_bfe_i32 v30, v20, 8, 8
	v_cvt_f32_i32_e32 v23, v23
	v_cvt_f32_i32_e32 v24, v24
	v_bfe_i32 v39, v11, 8, 8
	v_cvt_f32_i32_e32 v38, v38
	v_bfe_i32 v31, v20, 16, 8
	v_ashrrev_i32_e32 v20, 24, v20
	v_bfe_i32 v32, v21, 0, 8
	v_bfe_i32 v33, v21, 8, 8
	v_cvt_f32_i32_e32 v28, v28
	v_cvt_f32_i32_e32 v19, v19
	;; [unrolled: 1-line block ×4, first 2 shown]
	v_bfe_i32 v40, v11, 16, 8
	v_cvt_f32_i32_e32 v39, v39
	v_fmac_f32_e32 v27, v24, v38
	v_fmac_f32_e32 v12, v23, v38
	v_bfe_i32 v34, v21, 16, 8
	v_ashrrev_i32_e32 v21, 24, v21
	v_cvt_f32_i32_e32 v31, v31
	v_cvt_f32_i32_e32 v20, v20
	;; [unrolled: 1-line block ×4, first 2 shown]
	v_fmac_f32_e32 v27, v30, v39
	v_dual_fmac_f32 v12, v29, v39 :: v_dual_fmac_f32 v25, v19, v38
	v_cvt_f32_i32_e32 v19, v40
	v_fmac_f32_e32 v26, v28, v38
	v_bfe_i32 v35, v22, 0, 8
	v_bfe_i32 v36, v22, 8, 8
	;; [unrolled: 1-line block ×3, first 2 shown]
	v_ashrrev_i32_e32 v22, 24, v22
	v_cvt_f32_i32_e32 v34, v34
	v_cvt_f32_i32_e32 v21, v21
	v_ashrrev_i32_e32 v11, 24, v11
	v_fmac_f32_e32 v12, v32, v19
	v_fmac_f32_e32 v25, v20, v39
	;; [unrolled: 1-line block ×4, first 2 shown]
	v_cvt_f32_i32_e32 v35, v35
	v_cvt_f32_i32_e32 v36, v36
	;; [unrolled: 1-line block ×5, first 2 shown]
	v_fmac_f32_e32 v26, v34, v19
	v_fmac_f32_e32 v25, v21, v19
	s_delay_alu instid0(VALU_DEP_3) | instskip(SKIP_1) | instid1(VALU_DEP_4)
	v_fmac_f32_e32 v12, v35, v11
	v_fmac_f32_e32 v27, v36, v11
	;; [unrolled: 1-line block ×3, first 2 shown]
	s_delay_alu instid0(VALU_DEP_4)
	v_fmac_f32_e32 v25, v22, v11
	s_wait_alu 0xfffe
	s_and_not1_b32 exec_lo, exec_lo, s6
	s_cbranch_execnz .LBB88_31
; %bb.32:
	s_or_b32 exec_lo, exec_lo, s6
.LBB88_33:
	s_wait_alu 0xfffe
	s_or_b32 exec_lo, exec_lo, s2
	s_delay_alu instid0(SALU_CYCLE_1)
	s_mov_b32 s2, exec_lo
	v_cmpx_lt_u64_e32 0x5f, v[13:14]
	s_cbranch_execz .LBB88_37
; %bb.34:
	v_lshlrev_b64_e32 v[13:14], 3, v[5:6]
	s_mov_b32 s6, 0
	s_delay_alu instid0(VALU_DEP_1) | instskip(SKIP_1) | instid1(VALU_DEP_2)
	v_add_co_u32 v11, vcc_lo, s8, v13
	s_wait_alu 0xfffd
	v_add_co_ci_u32_e64 v14, null, s9, v14, vcc_lo
	s_delay_alu instid0(VALU_DEP_2) | instskip(SKIP_1) | instid1(VALU_DEP_2)
	v_add_co_u32 v13, vcc_lo, 0x200, v11
	s_wait_alu 0xfffd
	v_add_co_ci_u32_e64 v14, null, 0, v14, vcc_lo
.LBB88_35:                              ; =>This Inner Loop Header: Depth=1
	s_clause 0x3
	global_load_b64 v[23:24], v[13:14], off offset:-512
	global_load_b64 v[36:37], v[13:14], off offset:-256
	global_load_b64 v[38:39], v[13:14], off
	global_load_b64 v[40:41], v[13:14], off offset:256
	s_clause 0x3
	global_load_b128 v[15:18], v[9:10], off
	global_load_b128 v[19:22], v[9:10], off offset:512
	global_load_b128 v[28:31], v[9:10], off offset:1024
	;; [unrolled: 1-line block ×3, first 2 shown]
	s_wait_loadcnt 0x7
	v_sub_co_u32 v23, vcc_lo, v23, v1
	s_wait_alu 0xfffd
	v_sub_co_ci_u32_e64 v24, null, v24, v2, vcc_lo
	s_wait_loadcnt 0x6
	v_sub_co_u32 v36, vcc_lo, v36, v1
	s_wait_alu 0xfffd
	v_sub_co_ci_u32_e64 v37, null, v37, v2, vcc_lo
	;; [unrolled: 4-line block ×3, first 2 shown]
	s_wait_loadcnt 0x4
	v_sub_co_u32 v40, vcc_lo, v40, v1
	v_lshlrev_b64_e32 v[23:24], 2, v[23:24]
	s_wait_alu 0xfffd
	v_sub_co_ci_u32_e64 v41, null, v41, v2, vcc_lo
	v_lshlrev_b64_e32 v[36:37], 2, v[36:37]
	v_lshlrev_b64_e32 v[38:39], 2, v[38:39]
	s_wait_loadcnt 0x3
	v_bfe_i32 v42, v16, 16, 8
	v_lshlrev_b64_e32 v[40:41], 2, v[40:41]
	s_wait_kmcnt 0x0
	v_add_co_u32 v23, vcc_lo, s4, v23
	s_wait_alu 0xfffd
	v_add_co_ci_u32_e64 v24, null, s5, v24, vcc_lo
	v_add_co_u32 v36, vcc_lo, s4, v36
	s_wait_alu 0xfffd
	v_add_co_ci_u32_e64 v37, null, s5, v37, vcc_lo
	;; [unrolled: 3-line block ×4, first 2 shown]
	s_clause 0x3
	global_load_b32 v11, v[23:24], off
	global_load_b32 v23, v[36:37], off
	;; [unrolled: 1-line block ×4, first 2 shown]
	v_bfe_i32 v37, v15, 0, 8
	v_bfe_i32 v38, v15, 8, 8
	;; [unrolled: 1-line block ×3, first 2 shown]
	v_ashrrev_i32_e32 v15, 24, v15
	v_bfe_i32 v40, v16, 0, 8
	v_bfe_i32 v41, v16, 8, 8
	v_ashrrev_i32_e32 v16, 24, v16
	v_cvt_f32_i32_e32 v37, v37
	v_cvt_f32_i32_e32 v15, v15
	;; [unrolled: 1-line block ×7, first 2 shown]
	v_bfe_i32 v43, v17, 0, 8
	v_bfe_i32 v44, v17, 8, 8
	;; [unrolled: 1-line block ×3, first 2 shown]
	v_ashrrev_i32_e32 v17, 24, v17
	v_cvt_f32_i32_e32 v41, v41
	v_bfe_i32 v46, v18, 0, 8
	v_bfe_i32 v47, v18, 8, 8
	v_bfe_i32 v48, v18, 16, 8
	v_ashrrev_i32_e32 v18, 24, v18
	v_cvt_f32_i32_e32 v43, v43
	v_cvt_f32_i32_e32 v44, v44
	v_cvt_f32_i32_e32 v45, v45
	v_cvt_f32_i32_e32 v17, v17
	s_wait_loadcnt 0x6
	v_bfe_i32 v49, v19, 0, 8
	v_bfe_i32 v50, v19, 8, 8
	v_bfe_i32 v51, v19, 16, 8
	v_ashrrev_i32_e32 v19, 24, v19
	v_cvt_f32_i32_e32 v46, v46
	v_cvt_f32_i32_e32 v47, v47
	v_cvt_f32_i32_e32 v48, v48
	v_cvt_f32_i32_e32 v18, v18
	v_bfe_i32 v52, v20, 0, 8
	v_bfe_i32 v53, v20, 8, 8
	v_bfe_i32 v54, v20, 16, 8
	v_ashrrev_i32_e32 v20, 24, v20
	v_cvt_f32_i32_e32 v49, v49
	v_cvt_f32_i32_e32 v50, v50
	v_cvt_f32_i32_e32 v51, v51
	v_cvt_f32_i32_e32 v19, v19
	v_bfe_i32 v55, v21, 0, 8
	v_bfe_i32 v56, v21, 8, 8
	v_bfe_i32 v57, v21, 16, 8
	v_ashrrev_i32_e32 v21, 24, v21
	v_cvt_f32_i32_e32 v52, v52
	v_cvt_f32_i32_e32 v53, v53
	v_cvt_f32_i32_e32 v54, v54
	v_cvt_f32_i32_e32 v20, v20
	v_bfe_i32 v58, v22, 0, 8
	v_bfe_i32 v59, v22, 8, 8
	v_bfe_i32 v60, v22, 16, 8
	v_ashrrev_i32_e32 v22, 24, v22
	v_cvt_f32_i32_e32 v55, v55
	v_cvt_f32_i32_e32 v56, v56
	v_cvt_f32_i32_e32 v57, v57
	v_cvt_f32_i32_e32 v21, v21
	s_wait_loadcnt 0x5
	v_bfe_i32 v61, v28, 0, 8
	v_bfe_i32 v62, v28, 8, 8
	v_bfe_i32 v63, v28, 16, 8
	v_ashrrev_i32_e32 v28, 24, v28
	v_cvt_f32_i32_e32 v58, v58
	v_cvt_f32_i32_e32 v59, v59
	v_cvt_f32_i32_e32 v60, v60
	v_cvt_f32_i32_e32 v22, v22
	v_bfe_i32 v64, v29, 0, 8
	v_bfe_i32 v65, v29, 8, 8
	v_bfe_i32 v66, v29, 16, 8
	v_ashrrev_i32_e32 v29, 24, v29
	v_cvt_f32_i32_e32 v61, v61
	v_cvt_f32_i32_e32 v62, v62
	v_cvt_f32_i32_e32 v63, v63
	v_cvt_f32_i32_e32 v28, v28
	v_bfe_i32 v67, v30, 0, 8
	v_bfe_i32 v68, v30, 8, 8
	v_bfe_i32 v69, v30, 16, 8
	v_ashrrev_i32_e32 v30, 24, v30
	v_cvt_f32_i32_e32 v64, v64
	v_cvt_f32_i32_e32 v65, v65
	v_cvt_f32_i32_e32 v66, v66
	;; [unrolled: 33-line block ×3, first 2 shown]
	v_cvt_f32_i32_e32 v33, v33
	v_add_co_u32 v9, vcc_lo, 0x800, v9
	s_wait_alu 0xfffd
	v_add_co_ci_u32_e64 v10, null, 0, v10, vcc_lo
	v_add_co_u32 v5, vcc_lo, 0x80, v5
	v_bfe_i32 v82, v35, 0, 8
	v_bfe_i32 v83, v35, 8, 8
	;; [unrolled: 1-line block ×3, first 2 shown]
	v_ashrrev_i32_e32 v35, 24, v35
	v_cvt_f32_i32_e32 v79, v79
	v_cvt_f32_i32_e32 v80, v80
	;; [unrolled: 1-line block ×4, first 2 shown]
	s_wait_alu 0xfffd
	v_add_co_ci_u32_e64 v6, null, 0, v6, vcc_lo
	v_add_co_u32 v13, vcc_lo, 0x400, v13
	v_cvt_f32_i32_e32 v82, v82
	v_cvt_f32_i32_e32 v83, v83
	;; [unrolled: 1-line block ×4, first 2 shown]
	s_wait_alu 0xfffd
	v_add_co_ci_u32_e64 v14, null, 0, v14, vcc_lo
	v_cmp_ge_i64_e32 vcc_lo, v[5:6], v[7:8]
	s_wait_alu 0xfffe
	s_or_b32 s6, vcc_lo, s6
	s_wait_loadcnt 0x3
	v_bfe_i32 v85, v11, 0, 8
	v_bfe_i32 v86, v11, 8, 8
	;; [unrolled: 1-line block ×3, first 2 shown]
	v_ashrrev_i32_e32 v11, 24, v11
	s_wait_loadcnt 0x2
	v_bfe_i32 v88, v23, 0, 8
	v_cvt_f32_i32_e32 v85, v85
	v_cvt_f32_i32_e32 v86, v86
	v_bfe_i32 v89, v23, 8, 8
	v_cvt_f32_i32_e32 v11, v11
	v_bfe_i32 v90, v23, 16, 8
	v_fmac_f32_e32 v25, v15, v85
	v_fmac_f32_e32 v12, v37, v85
	v_cvt_f32_i32_e32 v15, v87
	v_ashrrev_i32_e32 v23, 24, v23
	s_wait_loadcnt 0x1
	v_bfe_i32 v91, v24, 0, 8
	v_fmac_f32_e32 v25, v16, v86
	v_dual_fmac_f32 v27, v38, v85 :: v_dual_fmac_f32 v12, v40, v86
	v_fmac_f32_e32 v26, v39, v85
	v_bfe_i32 v92, v24, 8, 8
	s_delay_alu instid0(VALU_DEP_4) | instskip(NEXT) | instid1(VALU_DEP_4)
	v_fmac_f32_e32 v25, v17, v15
	v_dual_fmac_f32 v27, v41, v86 :: v_dual_fmac_f32 v12, v43, v15
	s_delay_alu instid0(VALU_DEP_4) | instskip(SKIP_1) | instid1(VALU_DEP_4)
	v_fmac_f32_e32 v26, v42, v86
	v_bfe_i32 v93, v24, 16, 8
	v_fmac_f32_e32 v25, v18, v11
	s_delay_alu instid0(VALU_DEP_4)
	v_fmac_f32_e32 v27, v44, v15
	v_fmac_f32_e32 v12, v46, v11
	;; [unrolled: 1-line block ×3, first 2 shown]
	v_cvt_f32_i32_e32 v15, v88
	v_ashrrev_i32_e32 v24, 24, v24
	v_fmac_f32_e32 v27, v47, v11
	s_wait_loadcnt 0x0
	v_bfe_i32 v94, v36, 0, 8
	v_fmac_f32_e32 v26, v48, v11
	v_cvt_f32_i32_e32 v11, v89
	v_fmac_f32_e32 v12, v49, v15
	v_fmac_f32_e32 v27, v50, v15
	v_fmac_f32_e32 v25, v19, v15
	v_fmac_f32_e32 v26, v51, v15
	v_cvt_f32_i32_e32 v15, v90
	v_fmac_f32_e32 v12, v52, v11
	v_fmac_f32_e32 v27, v53, v11
	v_fmac_f32_e32 v25, v20, v11
	;; [unrolled: 5-line block ×7, first 2 shown]
	v_fmac_f32_e32 v26, v69, v15
	v_bfe_i32 v95, v36, 8, 8
	v_cvt_f32_i32_e32 v15, v94
	v_fmac_f32_e32 v12, v70, v11
	v_fmac_f32_e32 v27, v71, v11
	;; [unrolled: 1-line block ×4, first 2 shown]
	v_bfe_i32 v96, v36, 16, 8
	v_cvt_f32_i32_e32 v11, v95
	v_fmac_f32_e32 v12, v73, v15
	v_fmac_f32_e32 v27, v74, v15
	;; [unrolled: 1-line block ×4, first 2 shown]
	v_ashrrev_i32_e32 v36, 24, v36
	v_cvt_f32_i32_e32 v15, v96
	v_fmac_f32_e32 v12, v76, v11
	v_fmac_f32_e32 v27, v77, v11
	v_fmac_f32_e32 v26, v78, v11
	v_fmac_f32_e32 v25, v33, v11
	v_cvt_f32_i32_e32 v11, v36
	v_fmac_f32_e32 v12, v79, v15
	v_fmac_f32_e32 v27, v80, v15
	v_fmac_f32_e32 v26, v81, v15
	v_fmac_f32_e32 v25, v34, v15
	s_delay_alu instid0(VALU_DEP_4) | instskip(NEXT) | instid1(VALU_DEP_4)
	v_fmac_f32_e32 v12, v82, v11
	v_fmac_f32_e32 v27, v83, v11
	s_delay_alu instid0(VALU_DEP_4) | instskip(NEXT) | instid1(VALU_DEP_4)
	v_fmac_f32_e32 v26, v84, v11
	v_fmac_f32_e32 v25, v35, v11
	s_wait_alu 0xfffe
	s_and_not1_b32 exec_lo, exec_lo, s6
	s_cbranch_execnz .LBB88_35
; %bb.36:
	s_or_b32 exec_lo, exec_lo, s6
.LBB88_37:
	s_wait_alu 0xfffe
	s_or_b32 exec_lo, exec_lo, s2
.LBB88_38:
	s_wait_alu 0xfffe
	s_or_b32 exec_lo, exec_lo, s3
.LBB88_39:
	v_mbcnt_lo_u32_b32 v1, -1, 0
	s_mov_b32 s2, -1
	s_delay_alu instid0(VALU_DEP_1) | instskip(SKIP_1) | instid1(VALU_DEP_2)
	v_xor_b32_e32 v2, 16, v1
	v_xor_b32_e32 v8, 8, v1
	v_cmp_gt_i32_e32 vcc_lo, 32, v2
	s_wait_alu 0xfffd
	v_cndmask_b32_e32 v2, v1, v2, vcc_lo
	s_delay_alu instid0(VALU_DEP_3) | instskip(NEXT) | instid1(VALU_DEP_2)
	v_cmp_gt_i32_e32 vcc_lo, 32, v8
	v_lshlrev_b32_e32 v2, 2, v2
	ds_bpermute_b32 v7, v2, v26
	s_wait_dscnt 0x0
	v_add_f32_e32 v7, v26, v7
	ds_bpermute_b32 v5, v2, v12
	s_wait_alu 0xfffd
	v_cndmask_b32_e32 v8, v1, v8, vcc_lo
	ds_bpermute_b32 v6, v2, v27
	ds_bpermute_b32 v2, v2, v25
	s_wait_dscnt 0x2
	v_dual_add_f32 v5, v12, v5 :: v_dual_lshlrev_b32 v8, 2, v8
	v_xor_b32_e32 v12, 4, v1
	s_wait_dscnt 0x0
	v_add_f32_e32 v2, v25, v2
	ds_bpermute_b32 v9, v8, v5
	v_cmp_gt_i32_e32 vcc_lo, 32, v12
	s_wait_dscnt 0x0
	v_add_f32_e32 v5, v5, v9
	ds_bpermute_b32 v11, v8, v7
	v_add_f32_e32 v6, v27, v6
	ds_bpermute_b32 v10, v8, v6
	ds_bpermute_b32 v8, v8, v2
	s_wait_dscnt 0x2
	s_wait_alu 0xfffd
	v_dual_add_f32 v7, v7, v11 :: v_dual_cndmask_b32 v12, v1, v12
	s_delay_alu instid0(VALU_DEP_1)
	v_lshlrev_b32_e32 v12, 2, v12
	s_wait_dscnt 0x0
	v_add_f32_e32 v2, v2, v8
	ds_bpermute_b32 v8, v12, v5
	ds_bpermute_b32 v11, v12, v2
	s_wait_dscnt 0x1
	v_dual_add_f32 v5, v5, v8 :: v_dual_add_f32 v6, v6, v10
	ds_bpermute_b32 v10, v12, v7
	s_wait_dscnt 0x1
	v_add_f32_e32 v8, v2, v11
	ds_bpermute_b32 v9, v12, v6
	v_xor_b32_e32 v12, 2, v1
	s_delay_alu instid0(VALU_DEP_1) | instskip(SKIP_3) | instid1(VALU_DEP_1)
	v_cmp_gt_i32_e32 vcc_lo, 32, v12
	s_wait_alu 0xfffd
	v_cndmask_b32_e32 v12, v1, v12, vcc_lo
	s_wait_dscnt 0x1
	v_dual_add_f32 v7, v7, v10 :: v_dual_lshlrev_b32 v12, 2, v12
	s_wait_dscnt 0x0
	v_add_f32_e32 v6, v6, v9
	ds_bpermute_b32 v2, v12, v5
	ds_bpermute_b32 v10, v12, v7
	;; [unrolled: 1-line block ×4, first 2 shown]
	v_xor_b32_e32 v12, 1, v1
	s_delay_alu instid0(VALU_DEP_1) | instskip(SKIP_4) | instid1(VALU_DEP_2)
	v_cmp_gt_i32_e32 vcc_lo, 32, v12
	s_wait_alu 0xfffd
	v_cndmask_b32_e32 v1, v1, v12, vcc_lo
	v_cmp_eq_u32_e32 vcc_lo, 31, v0
	s_wait_dscnt 0x3
	v_dual_add_f32 v1, v5, v2 :: v_dual_lshlrev_b32 v12, 2, v1
	s_wait_dscnt 0x0
	v_dual_add_f32 v5, v7, v10 :: v_dual_add_f32 v2, v6, v9
	v_add_f32_e32 v6, v8, v11
	ds_bpermute_b32 v7, v12, v1
	ds_bpermute_b32 v9, v12, v5
	;; [unrolled: 1-line block ×4, first 2 shown]
	s_and_b32 exec_lo, exec_lo, vcc_lo
	s_cbranch_execz .LBB88_10
; %bb.40:
	s_load_b64 s[0:1], s[0:1], 0x58
	s_wait_dscnt 0x1
	v_dual_add_f32 v0, v1, v7 :: v_dual_add_f32 v1, v2, v8
	s_wait_dscnt 0x0
	v_add_f32_e32 v6, v6, v10
	s_cmp_eq_f32 s16, 0
	s_delay_alu instid0(VALU_DEP_2) | instskip(SKIP_3) | instid1(VALU_DEP_3)
	v_dual_mul_f32 v0, s12, v0 :: v_dual_mul_f32 v1, s12, v1
	v_add_f32_e32 v2, v5, v9
	v_lshlrev_b64_e32 v[4:5], 4, v[3:4]
	v_mul_f32_e32 v3, s12, v6
	v_mul_f32_e32 v2, s12, v2
	s_cbranch_scc0 .LBB88_42
; %bb.41:
	s_wait_kmcnt 0x0
	s_delay_alu instid0(VALU_DEP_3)
	v_add_co_u32 v6, vcc_lo, s0, v4
	s_wait_alu 0xfffd
	v_add_co_ci_u32_e64 v7, null, s1, v5, vcc_lo
	s_mov_b32 s2, 0
	global_store_b128 v[6:7], v[0:3], off
.LBB88_42:
	s_wait_alu 0xfffe
	s_and_not1_b32 vcc_lo, exec_lo, s2
	s_wait_alu 0xfffe
	s_cbranch_vccnz .LBB88_10
; %bb.43:
	s_wait_kmcnt 0x0
	v_add_co_u32 v8, vcc_lo, s0, v4
	s_wait_alu 0xfffd
	v_add_co_ci_u32_e64 v9, null, s1, v5, vcc_lo
	global_load_b128 v[4:7], v[8:9], off
	s_wait_loadcnt 0x0
	v_dual_fmac_f32 v0, s16, v4 :: v_dual_fmac_f32 v1, s16, v5
	v_dual_fmac_f32 v2, s16, v6 :: v_dual_fmac_f32 v3, s16, v7
	global_store_b128 v[8:9], v[0:3], off
	s_nop 0
	s_sendmsg sendmsg(MSG_DEALLOC_VGPRS)
	s_endpgm
	.section	.rodata,"a",@progbits
	.p2align	6, 0x0
	.amdhsa_kernel _ZN9rocsparseL18bsrxmvn_4x4_kernelILj128ELj32EfllaafEEvT3_20rocsparse_direction_NS_24const_host_device_scalarIT1_EES1_PKS1_PKT2_SA_S7_PKT4_PKT5_S5_PT6_21rocsparse_index_base_b
		.amdhsa_group_segment_fixed_size 0
		.amdhsa_private_segment_fixed_size 0
		.amdhsa_kernarg_size 104
		.amdhsa_user_sgpr_count 2
		.amdhsa_user_sgpr_dispatch_ptr 0
		.amdhsa_user_sgpr_queue_ptr 0
		.amdhsa_user_sgpr_kernarg_segment_ptr 1
		.amdhsa_user_sgpr_dispatch_id 0
		.amdhsa_user_sgpr_private_segment_size 0
		.amdhsa_wavefront_size32 1
		.amdhsa_uses_dynamic_stack 0
		.amdhsa_enable_private_segment 0
		.amdhsa_system_sgpr_workgroup_id_x 1
		.amdhsa_system_sgpr_workgroup_id_y 0
		.amdhsa_system_sgpr_workgroup_id_z 0
		.amdhsa_system_sgpr_workgroup_info 0
		.amdhsa_system_vgpr_workitem_id 0
		.amdhsa_next_free_vgpr 103
		.amdhsa_next_free_sgpr 18
		.amdhsa_reserve_vcc 1
		.amdhsa_float_round_mode_32 0
		.amdhsa_float_round_mode_16_64 0
		.amdhsa_float_denorm_mode_32 3
		.amdhsa_float_denorm_mode_16_64 3
		.amdhsa_fp16_overflow 0
		.amdhsa_workgroup_processor_mode 1
		.amdhsa_memory_ordered 1
		.amdhsa_forward_progress 1
		.amdhsa_inst_pref_size 50
		.amdhsa_round_robin_scheduling 0
		.amdhsa_exception_fp_ieee_invalid_op 0
		.amdhsa_exception_fp_denorm_src 0
		.amdhsa_exception_fp_ieee_div_zero 0
		.amdhsa_exception_fp_ieee_overflow 0
		.amdhsa_exception_fp_ieee_underflow 0
		.amdhsa_exception_fp_ieee_inexact 0
		.amdhsa_exception_int_div_zero 0
	.end_amdhsa_kernel
	.section	.text._ZN9rocsparseL18bsrxmvn_4x4_kernelILj128ELj32EfllaafEEvT3_20rocsparse_direction_NS_24const_host_device_scalarIT1_EES1_PKS1_PKT2_SA_S7_PKT4_PKT5_S5_PT6_21rocsparse_index_base_b,"axG",@progbits,_ZN9rocsparseL18bsrxmvn_4x4_kernelILj128ELj32EfllaafEEvT3_20rocsparse_direction_NS_24const_host_device_scalarIT1_EES1_PKS1_PKT2_SA_S7_PKT4_PKT5_S5_PT6_21rocsparse_index_base_b,comdat
.Lfunc_end88:
	.size	_ZN9rocsparseL18bsrxmvn_4x4_kernelILj128ELj32EfllaafEEvT3_20rocsparse_direction_NS_24const_host_device_scalarIT1_EES1_PKS1_PKT2_SA_S7_PKT4_PKT5_S5_PT6_21rocsparse_index_base_b, .Lfunc_end88-_ZN9rocsparseL18bsrxmvn_4x4_kernelILj128ELj32EfllaafEEvT3_20rocsparse_direction_NS_24const_host_device_scalarIT1_EES1_PKS1_PKT2_SA_S7_PKT4_PKT5_S5_PT6_21rocsparse_index_base_b
                                        ; -- End function
	.set _ZN9rocsparseL18bsrxmvn_4x4_kernelILj128ELj32EfllaafEEvT3_20rocsparse_direction_NS_24const_host_device_scalarIT1_EES1_PKS1_PKT2_SA_S7_PKT4_PKT5_S5_PT6_21rocsparse_index_base_b.num_vgpr, 103
	.set _ZN9rocsparseL18bsrxmvn_4x4_kernelILj128ELj32EfllaafEEvT3_20rocsparse_direction_NS_24const_host_device_scalarIT1_EES1_PKS1_PKT2_SA_S7_PKT4_PKT5_S5_PT6_21rocsparse_index_base_b.num_agpr, 0
	.set _ZN9rocsparseL18bsrxmvn_4x4_kernelILj128ELj32EfllaafEEvT3_20rocsparse_direction_NS_24const_host_device_scalarIT1_EES1_PKS1_PKT2_SA_S7_PKT4_PKT5_S5_PT6_21rocsparse_index_base_b.numbered_sgpr, 18
	.set _ZN9rocsparseL18bsrxmvn_4x4_kernelILj128ELj32EfllaafEEvT3_20rocsparse_direction_NS_24const_host_device_scalarIT1_EES1_PKS1_PKT2_SA_S7_PKT4_PKT5_S5_PT6_21rocsparse_index_base_b.num_named_barrier, 0
	.set _ZN9rocsparseL18bsrxmvn_4x4_kernelILj128ELj32EfllaafEEvT3_20rocsparse_direction_NS_24const_host_device_scalarIT1_EES1_PKS1_PKT2_SA_S7_PKT4_PKT5_S5_PT6_21rocsparse_index_base_b.private_seg_size, 0
	.set _ZN9rocsparseL18bsrxmvn_4x4_kernelILj128ELj32EfllaafEEvT3_20rocsparse_direction_NS_24const_host_device_scalarIT1_EES1_PKS1_PKT2_SA_S7_PKT4_PKT5_S5_PT6_21rocsparse_index_base_b.uses_vcc, 1
	.set _ZN9rocsparseL18bsrxmvn_4x4_kernelILj128ELj32EfllaafEEvT3_20rocsparse_direction_NS_24const_host_device_scalarIT1_EES1_PKS1_PKT2_SA_S7_PKT4_PKT5_S5_PT6_21rocsparse_index_base_b.uses_flat_scratch, 0
	.set _ZN9rocsparseL18bsrxmvn_4x4_kernelILj128ELj32EfllaafEEvT3_20rocsparse_direction_NS_24const_host_device_scalarIT1_EES1_PKS1_PKT2_SA_S7_PKT4_PKT5_S5_PT6_21rocsparse_index_base_b.has_dyn_sized_stack, 0
	.set _ZN9rocsparseL18bsrxmvn_4x4_kernelILj128ELj32EfllaafEEvT3_20rocsparse_direction_NS_24const_host_device_scalarIT1_EES1_PKS1_PKT2_SA_S7_PKT4_PKT5_S5_PT6_21rocsparse_index_base_b.has_recursion, 0
	.set _ZN9rocsparseL18bsrxmvn_4x4_kernelILj128ELj32EfllaafEEvT3_20rocsparse_direction_NS_24const_host_device_scalarIT1_EES1_PKS1_PKT2_SA_S7_PKT4_PKT5_S5_PT6_21rocsparse_index_base_b.has_indirect_call, 0
	.section	.AMDGPU.csdata,"",@progbits
; Kernel info:
; codeLenInByte = 6388
; TotalNumSgprs: 20
; NumVgprs: 103
; ScratchSize: 0
; MemoryBound: 0
; FloatMode: 240
; IeeeMode: 1
; LDSByteSize: 0 bytes/workgroup (compile time only)
; SGPRBlocks: 0
; VGPRBlocks: 12
; NumSGPRsForWavesPerEU: 20
; NumVGPRsForWavesPerEU: 103
; Occupancy: 12
; WaveLimiterHint : 1
; COMPUTE_PGM_RSRC2:SCRATCH_EN: 0
; COMPUTE_PGM_RSRC2:USER_SGPR: 2
; COMPUTE_PGM_RSRC2:TRAP_HANDLER: 0
; COMPUTE_PGM_RSRC2:TGID_X_EN: 1
; COMPUTE_PGM_RSRC2:TGID_Y_EN: 0
; COMPUTE_PGM_RSRC2:TGID_Z_EN: 0
; COMPUTE_PGM_RSRC2:TIDIG_COMP_CNT: 0
	.section	.text._ZN9rocsparseL18bsrxmvn_4x4_kernelILj128ELj64EfllaafEEvT3_20rocsparse_direction_NS_24const_host_device_scalarIT1_EES1_PKS1_PKT2_SA_S7_PKT4_PKT5_S5_PT6_21rocsparse_index_base_b,"axG",@progbits,_ZN9rocsparseL18bsrxmvn_4x4_kernelILj128ELj64EfllaafEEvT3_20rocsparse_direction_NS_24const_host_device_scalarIT1_EES1_PKS1_PKT2_SA_S7_PKT4_PKT5_S5_PT6_21rocsparse_index_base_b,comdat
	.globl	_ZN9rocsparseL18bsrxmvn_4x4_kernelILj128ELj64EfllaafEEvT3_20rocsparse_direction_NS_24const_host_device_scalarIT1_EES1_PKS1_PKT2_SA_S7_PKT4_PKT5_S5_PT6_21rocsparse_index_base_b ; -- Begin function _ZN9rocsparseL18bsrxmvn_4x4_kernelILj128ELj64EfllaafEEvT3_20rocsparse_direction_NS_24const_host_device_scalarIT1_EES1_PKS1_PKT2_SA_S7_PKT4_PKT5_S5_PT6_21rocsparse_index_base_b
	.p2align	8
	.type	_ZN9rocsparseL18bsrxmvn_4x4_kernelILj128ELj64EfllaafEEvT3_20rocsparse_direction_NS_24const_host_device_scalarIT1_EES1_PKS1_PKT2_SA_S7_PKT4_PKT5_S5_PT6_21rocsparse_index_base_b,@function
_ZN9rocsparseL18bsrxmvn_4x4_kernelILj128ELj64EfllaafEEvT3_20rocsparse_direction_NS_24const_host_device_scalarIT1_EES1_PKS1_PKT2_SA_S7_PKT4_PKT5_S5_PT6_21rocsparse_index_base_b: ; @_ZN9rocsparseL18bsrxmvn_4x4_kernelILj128ELj64EfllaafEEvT3_20rocsparse_direction_NS_24const_host_device_scalarIT1_EES1_PKS1_PKT2_SA_S7_PKT4_PKT5_S5_PT6_21rocsparse_index_base_b
; %bb.0:
	s_clause 0x2
	s_load_b64 s[2:3], s[0:1], 0x60
	s_load_b128 s[12:15], s[0:1], 0x10
	s_load_b64 s[16:17], s[0:1], 0x50
	s_wait_kmcnt 0x0
	s_bitcmp1_b32 s3, 0
	s_cselect_b32 s3, -1, 0
	s_delay_alu instid0(SALU_CYCLE_1)
	s_and_b32 vcc_lo, exec_lo, s3
	s_xor_b32 s3, s3, -1
	s_cbranch_vccnz .LBB89_2
; %bb.1:
	s_load_b32 s12, s[12:13], 0x0
.LBB89_2:
	s_and_not1_b32 vcc_lo, exec_lo, s3
	s_cbranch_vccnz .LBB89_4
; %bb.3:
	s_load_b32 s16, s[16:17], 0x0
.LBB89_4:
	s_wait_kmcnt 0x0
	s_cmp_neq_f32 s12, 0
	s_mov_b32 s6, 0
	s_cselect_b32 s3, -1, 0
	s_cmp_neq_f32 s16, 1.0
	s_cselect_b32 s4, -1, 0
	s_delay_alu instid0(SALU_CYCLE_1) | instskip(NEXT) | instid1(SALU_CYCLE_1)
	s_or_b32 s3, s3, s4
	s_and_not1_b32 vcc_lo, exec_lo, s3
	s_cbranch_vccnz .LBB89_10
; %bb.5:
	s_load_b64 s[4:5], s[0:1], 0x20
	v_lshrrev_b32_e32 v1, 6, v0
	v_mov_b32_e32 v6, 0
	s_delay_alu instid0(VALU_DEP_2)
	v_lshl_or_b32 v5, ttmp9, 1, v1
	s_wait_kmcnt 0x0
	s_cmp_lg_u64 s[4:5], 0
	s_cbranch_scc0 .LBB89_11
; %bb.6:
	s_mov_b32 s7, 0
                                        ; implicit-def: $vgpr3_vgpr4
                                        ; implicit-def: $vgpr1_vgpr2
	s_mov_b32 s3, exec_lo
	v_cmpx_gt_i64_e64 s[14:15], v[5:6]
	s_xor_b32 s8, exec_lo, s3
	s_cbranch_execz .LBB89_8
; %bb.7:
	v_lshlrev_b64_e32 v[1:2], 3, v[5:6]
	s_mov_b32 s3, 0
	s_mov_b32 s6, exec_lo
	s_delay_alu instid0(VALU_DEP_1) | instskip(NEXT) | instid1(VALU_DEP_1)
	v_add_co_u32 v1, vcc_lo, s4, v1
	v_add_co_ci_u32_e64 v2, null, s5, v2, vcc_lo
	global_load_b64 v[1:2], v[1:2], off
	s_wait_loadcnt 0x0
	v_sub_co_u32 v3, vcc_lo, v1, s2
	s_wait_alu 0xfffd
	v_subrev_co_ci_u32_e64 v4, null, 0, v2, vcc_lo
	v_dual_mov_b32 v1, s2 :: v_dual_mov_b32 v2, s3
.LBB89_8:
	s_or_b32 exec_lo, exec_lo, s8
	s_delay_alu instid0(SALU_CYCLE_1)
	s_and_b32 vcc_lo, exec_lo, s7
	s_wait_alu 0xfffe
	s_cbranch_vccnz .LBB89_12
.LBB89_9:
	s_and_saveexec_b32 s2, s6
	s_cbranch_execnz .LBB89_15
.LBB89_10:
	s_nop 0
	s_sendmsg sendmsg(MSG_DEALLOC_VGPRS)
	s_endpgm
.LBB89_11:
                                        ; implicit-def: $vgpr3_vgpr4
                                        ; implicit-def: $vgpr1_vgpr2
	s_cbranch_execz .LBB89_9
.LBB89_12:
	s_load_b64 s[4:5], s[0:1], 0x0
	s_wait_kmcnt 0x0
	v_cmp_gt_i64_e32 vcc_lo, s[4:5], v[5:6]
	s_and_saveexec_b32 s4, vcc_lo
; %bb.13:
	s_mov_b32 s3, 0
	s_or_b32 s6, s6, exec_lo
; %bb.14:
	s_wait_alu 0xfffe
	s_or_b32 exec_lo, exec_lo, s4
	v_dual_mov_b32 v1, s2 :: v_dual_mov_b32 v2, s3
	v_dual_mov_b32 v3, v5 :: v_dual_mov_b32 v4, v6
	s_and_saveexec_b32 s2, s6
	s_cbranch_execz .LBB89_10
.LBB89_15:
	s_load_b256 s[4:11], s[0:1], 0x28
	s_delay_alu instid0(VALU_DEP_1) | instskip(SKIP_3) | instid1(VALU_DEP_2)
	v_lshlrev_b64_e32 v[5:6], 3, v[3:4]
	v_dual_mov_b32 v25, 0 :: v_dual_and_b32 v0, 63, v0
	s_load_b32 s3, s[0:1], 0x8
	s_wait_kmcnt 0x0
	v_add_co_u32 v7, vcc_lo, s4, v5
	s_wait_alu 0xfffd
	v_add_co_ci_u32_e64 v8, null, s5, v6, vcc_lo
	v_add_co_u32 v5, vcc_lo, s6, v5
	s_wait_alu 0xfffd
	v_add_co_ci_u32_e64 v6, null, s7, v6, vcc_lo
	v_add_co_u32 v9, vcc_lo, v7, 8
	global_load_b64 v[13:14], v[7:8], off
	s_wait_alu 0xfffd
	v_add_co_ci_u32_e64 v10, null, 0, v8, vcc_lo
	s_cmp_eq_u64 s[6:7], 0
	s_load_b64 s[4:5], s[0:1], 0x48
	s_cselect_b32 vcc_lo, -1, 0
	s_cmp_eq_u32 s3, 1
	s_wait_alu 0xfffe
	v_dual_cndmask_b32 v6, v6, v10 :: v_dual_cndmask_b32 v5, v5, v9
	global_load_b64 v[7:8], v[5:6], off
	s_wait_loadcnt 0x1
	v_sub_co_u32 v5, vcc_lo, v13, v1
	s_wait_alu 0xfffd
	v_sub_co_ci_u32_e64 v6, null, v14, v2, vcc_lo
	s_delay_alu instid0(VALU_DEP_2) | instskip(SKIP_1) | instid1(VALU_DEP_2)
	v_add_co_u32 v5, vcc_lo, v5, v0
	s_wait_alu 0xfffd
	v_add_co_ci_u32_e64 v6, null, 0, v6, vcc_lo
	s_delay_alu instid0(VALU_DEP_1) | instskip(SKIP_4) | instid1(VALU_DEP_3)
	v_lshlrev_b64_e32 v[9:10], 4, v[5:6]
	s_wait_loadcnt 0x0
	v_sub_co_u32 v7, vcc_lo, v7, v1
	s_wait_alu 0xfffd
	v_sub_co_ci_u32_e64 v8, null, v8, v2, vcc_lo
	v_add_co_u32 v9, vcc_lo, s10, v9
	s_delay_alu instid0(VALU_DEP_2)
	v_cmp_lt_i64_e64 s2, v[5:6], v[7:8]
	s_wait_alu 0xfffd
	v_add_co_ci_u32_e64 v10, null, s11, v10, vcc_lo
	s_cbranch_scc1 .LBB89_27
; %bb.16:
	v_dual_mov_b32 v26, 0 :: v_dual_mov_b32 v27, 0
	v_mov_b32_e32 v12, 0
	s_and_saveexec_b32 s6, s2
	s_cbranch_execz .LBB89_26
; %bb.17:
	v_or_b32_e32 v11, 64, v0
	v_not_b32_e32 v16, v13
	v_sub_co_u32 v17, s3, v1, v0
	v_not_b32_e32 v15, v14
	s_delay_alu instid0(VALU_DEP_4)
	v_sub_co_u32 v11, vcc_lo, v11, v1
	s_wait_alu 0xfffd
	v_sub_co_ci_u32_e64 v12, null, 0, v2, vcc_lo
	s_wait_alu 0xf1ff
	v_subrev_co_ci_u32_e64 v18, null, 0, v2, s3
	v_add_co_u32 v11, vcc_lo, v11, v13
	s_wait_alu 0xfffd
	v_add_co_ci_u32_e64 v12, null, v12, v14, vcc_lo
	s_mov_b32 s3, exec_lo
	v_cmp_gt_i64_e32 vcc_lo, v[11:12], v[7:8]
	s_wait_alu 0xfffd
	v_dual_cndmask_b32 v20, v8, v12 :: v_dual_cndmask_b32 v11, v7, v11
	v_add_co_u32 v12, vcc_lo, v17, v16
	s_wait_alu 0xfffd
	v_add_co_ci_u32_e64 v15, null, v18, v15, vcc_lo
	v_mov_b32_e32 v18, v10
	s_delay_alu instid0(VALU_DEP_3) | instskip(SKIP_3) | instid1(VALU_DEP_3)
	v_add_co_u32 v19, vcc_lo, v12, v11
	v_mov_b32_e32 v12, 0
	s_wait_alu 0xfffd
	v_add_co_ci_u32_e64 v20, null, v15, v20, vcc_lo
	v_dual_mov_b32 v16, v6 :: v_dual_and_b32 v11, 0xc0, v19
	s_delay_alu instid0(VALU_DEP_3)
	v_mov_b32_e32 v25, v12
	v_mov_b32_e32 v15, v5
	v_dual_mov_b32 v27, v12 :: v_dual_mov_b32 v26, v12
	v_mov_b32_e32 v17, v9
	v_cmpx_ne_u64_e32 0xc0, v[11:12]
	s_cbranch_execz .LBB89_21
; %bb.18:
	v_lshrrev_b32_e32 v11, 6, v19
	v_dual_mov_b32 v25, 0 :: v_dual_mov_b32 v18, v10
	v_dual_mov_b32 v17, v9 :: v_dual_mov_b32 v26, 0
	s_delay_alu instid0(VALU_DEP_3) | instskip(SKIP_3) | instid1(VALU_DEP_4)
	v_dual_mov_b32 v16, v6 :: v_dual_add_nc_u32 v21, 1, v11
	v_lshlrev_b64_e32 v[11:12], 3, v[5:6]
	v_mov_b32_e32 v15, v5
	v_mov_b32_e32 v27, 0
	v_and_b32_e32 v23, 3, v21
	s_delay_alu instid0(VALU_DEP_4) | instskip(NEXT) | instid1(VALU_DEP_2)
	v_add_co_u32 v21, vcc_lo, s8, v11
	v_sub_co_u32 v23, s7, 0, v23
	s_wait_alu 0xfffd
	v_add_co_ci_u32_e64 v22, null, s9, v12, vcc_lo
	s_wait_alu 0xf1ff
	v_sub_co_ci_u32_e64 v24, null, 0, 0, s7
	v_mov_b32_e32 v12, 0
	s_mov_b32 s7, 0
.LBB89_19:                              ; =>This Inner Loop Header: Depth=1
	global_load_b64 v[28:29], v[21:22], off
	s_wait_loadcnt 0x0
	v_sub_co_u32 v28, vcc_lo, v28, v1
	s_wait_alu 0xfffd
	v_sub_co_ci_u32_e64 v29, null, v29, v2, vcc_lo
	s_delay_alu instid0(VALU_DEP_1) | instskip(SKIP_1) | instid1(VALU_DEP_1)
	v_lshlrev_b64_e32 v[28:29], 2, v[28:29]
	s_wait_kmcnt 0x0
	v_add_co_u32 v32, vcc_lo, s4, v28
	s_wait_alu 0xfffd
	s_delay_alu instid0(VALU_DEP_2)
	v_add_co_ci_u32_e64 v33, null, s5, v29, vcc_lo
	global_load_b128 v[28:31], v[17:18], off
	global_load_b32 v11, v[32:33], off
	v_add_co_u32 v17, vcc_lo, 0x400, v17
	s_wait_alu 0xfffd
	v_add_co_ci_u32_e64 v18, null, 0, v18, vcc_lo
	v_add_co_u32 v15, vcc_lo, v15, 64
	s_wait_alu 0xfffd
	v_add_co_ci_u32_e64 v16, null, 0, v16, vcc_lo
	;; [unrolled: 3-line block ×4, first 2 shown]
	s_delay_alu instid0(VALU_DEP_1)
	v_cmp_eq_u64_e32 vcc_lo, 0, v[23:24]
	s_wait_alu 0xfffe
	s_or_b32 s7, vcc_lo, s7
	s_wait_loadcnt 0x1
	v_bfe_i32 v32, v28, 0, 8
	v_bfe_i32 v41, v31, 0, 8
	s_wait_loadcnt 0x0
	v_bfe_i32 v44, v11, 0, 8
	v_bfe_i32 v33, v28, 8, 8
	;; [unrolled: 1-line block ×6, first 2 shown]
	v_cvt_f32_i32_e32 v32, v32
	v_cvt_f32_i32_e32 v41, v41
	v_bfe_i32 v45, v11, 8, 8
	v_cvt_f32_i32_e32 v44, v44
	v_bfe_i32 v36, v29, 8, 8
	v_cvt_f32_i32_e32 v33, v33
	v_cvt_f32_i32_e32 v35, v35
	;; [unrolled: 1-line block ×6, first 2 shown]
	v_fmac_f32_e32 v25, v41, v44
	v_fmac_f32_e32 v12, v32, v44
	v_bfe_i32 v34, v28, 16, 8
	v_bfe_i32 v37, v29, 16, 8
	;; [unrolled: 1-line block ×4, first 2 shown]
	v_cvt_f32_i32_e32 v36, v36
	v_bfe_i32 v46, v11, 16, 8
	v_fmac_f32_e32 v25, v42, v45
	v_dual_fmac_f32 v27, v35, v44 :: v_dual_fmac_f32 v12, v33, v45
	v_fmac_f32_e32 v26, v38, v44
	v_ashrrev_i32_e32 v28, 24, v28
	v_ashrrev_i32_e32 v29, 24, v29
	v_ashrrev_i32_e32 v30, 24, v30
	v_ashrrev_i32_e32 v31, 24, v31
	v_cvt_f32_i32_e32 v34, v34
	v_cvt_f32_i32_e32 v37, v37
	;; [unrolled: 1-line block ×4, first 2 shown]
	v_ashrrev_i32_e32 v11, 24, v11
	v_cvt_f32_i32_e32 v32, v46
	v_fmac_f32_e32 v27, v36, v45
	v_fmac_f32_e32 v26, v39, v45
	v_cvt_f32_i32_e32 v28, v28
	v_cvt_f32_i32_e32 v29, v29
	;; [unrolled: 1-line block ×5, first 2 shown]
	v_fmac_f32_e32 v27, v37, v32
	v_fmac_f32_e32 v12, v34, v32
	;; [unrolled: 1-line block ×3, first 2 shown]
	s_delay_alu instid0(VALU_DEP_3) | instskip(NEXT) | instid1(VALU_DEP_3)
	v_dual_fmac_f32 v26, v40, v32 :: v_dual_fmac_f32 v27, v29, v11
	v_fmac_f32_e32 v12, v28, v11
	s_delay_alu instid0(VALU_DEP_3) | instskip(NEXT) | instid1(VALU_DEP_3)
	v_fmac_f32_e32 v25, v31, v11
	v_fmac_f32_e32 v26, v30, v11
	s_wait_alu 0xfffe
	s_and_not1_b32 exec_lo, exec_lo, s7
	s_cbranch_execnz .LBB89_19
; %bb.20:
	s_or_b32 exec_lo, exec_lo, s7
.LBB89_21:
	s_wait_alu 0xfffe
	s_or_b32 exec_lo, exec_lo, s3
	s_delay_alu instid0(SALU_CYCLE_1)
	s_mov_b32 s3, exec_lo
	v_cmpx_lt_u64_e32 0xbf, v[19:20]
	s_cbranch_execz .LBB89_25
; %bb.22:
	v_lshlrev_b64_e32 v[19:20], 3, v[15:16]
	s_mov_b32 s7, 0
	s_delay_alu instid0(VALU_DEP_1) | instskip(SKIP_1) | instid1(VALU_DEP_2)
	v_add_co_u32 v11, vcc_lo, s8, v19
	s_wait_alu 0xfffd
	v_add_co_ci_u32_e64 v20, null, s9, v20, vcc_lo
	s_delay_alu instid0(VALU_DEP_2) | instskip(SKIP_1) | instid1(VALU_DEP_2)
	v_add_co_u32 v19, vcc_lo, 0x400, v11
	s_wait_alu 0xfffd
	v_add_co_ci_u32_e64 v20, null, 0, v20, vcc_lo
.LBB89_23:                              ; =>This Inner Loop Header: Depth=1
	s_clause 0x3
	global_load_b64 v[40:41], v[19:20], off offset:-1024
	global_load_b64 v[42:43], v[19:20], off offset:-512
	global_load_b64 v[44:45], v[19:20], off
	global_load_b64 v[46:47], v[19:20], off offset:512
	s_clause 0x3
	global_load_b128 v[21:24], v[17:18], off
	global_load_b128 v[28:31], v[17:18], off offset:1024
	global_load_b128 v[32:35], v[17:18], off offset:2048
	;; [unrolled: 1-line block ×3, first 2 shown]
	s_wait_loadcnt 0x7
	v_sub_co_u32 v40, vcc_lo, v40, v1
	s_wait_alu 0xfffd
	v_sub_co_ci_u32_e64 v41, null, v41, v2, vcc_lo
	s_wait_loadcnt 0x6
	v_sub_co_u32 v42, vcc_lo, v42, v1
	s_wait_alu 0xfffd
	v_sub_co_ci_u32_e64 v43, null, v43, v2, vcc_lo
	;; [unrolled: 4-line block ×3, first 2 shown]
	s_wait_loadcnt 0x4
	v_sub_co_u32 v46, vcc_lo, v46, v1
	v_lshlrev_b64_e32 v[40:41], 2, v[40:41]
	s_wait_alu 0xfffd
	v_sub_co_ci_u32_e64 v47, null, v47, v2, vcc_lo
	v_lshlrev_b64_e32 v[42:43], 2, v[42:43]
	v_lshlrev_b64_e32 v[44:45], 2, v[44:45]
	s_wait_loadcnt 0x3
	v_bfe_i32 v52, v24, 0, 8
	v_lshlrev_b64_e32 v[46:47], 2, v[46:47]
	s_wait_kmcnt 0x0
	v_add_co_u32 v40, vcc_lo, s4, v40
	s_wait_alu 0xfffd
	v_add_co_ci_u32_e64 v41, null, s5, v41, vcc_lo
	v_add_co_u32 v42, vcc_lo, s4, v42
	s_wait_alu 0xfffd
	v_add_co_ci_u32_e64 v43, null, s5, v43, vcc_lo
	;; [unrolled: 3-line block ×4, first 2 shown]
	s_clause 0x3
	global_load_b32 v11, v[40:41], off
	global_load_b32 v40, v[42:43], off
	;; [unrolled: 1-line block ×4, first 2 shown]
	v_bfe_i32 v43, v21, 0, 8
	v_bfe_i32 v44, v21, 8, 8
	;; [unrolled: 1-line block ×6, first 2 shown]
	v_cvt_f32_i32_e32 v43, v43
	v_cvt_f32_i32_e32 v52, v52
	v_bfe_i32 v45, v21, 16, 8
	v_bfe_i32 v47, v22, 8, 8
	v_cvt_f32_i32_e32 v44, v44
	v_cvt_f32_i32_e32 v46, v46
	;; [unrolled: 1-line block ×5, first 2 shown]
	v_ashrrev_i32_e32 v21, 24, v21
	v_bfe_i32 v48, v22, 16, 8
	v_bfe_i32 v51, v23, 16, 8
	;; [unrolled: 1-line block ×3, first 2 shown]
	s_wait_loadcnt 0x6
	v_bfe_i32 v60, v29, 16, 8
	v_cvt_f32_i32_e32 v45, v45
	v_cvt_f32_i32_e32 v47, v47
	v_ashrrev_i32_e32 v22, 24, v22
	v_ashrrev_i32_e32 v23, 24, v23
	;; [unrolled: 1-line block ×3, first 2 shown]
	v_bfe_i32 v57, v28, 16, 8
	v_bfe_i32 v63, v30, 16, 8
	;; [unrolled: 1-line block ×3, first 2 shown]
	s_wait_loadcnt 0x5
	v_bfe_i32 v70, v33, 0, 8
	v_cvt_f32_i32_e32 v21, v21
	v_cvt_f32_i32_e32 v48, v48
	;; [unrolled: 1-line block ×5, first 2 shown]
	v_bfe_i32 v55, v28, 0, 8
	v_bfe_i32 v58, v29, 0, 8
	;; [unrolled: 1-line block ×7, first 2 shown]
	v_cvt_f32_i32_e32 v22, v22
	v_cvt_f32_i32_e32 v23, v23
	;; [unrolled: 1-line block ×7, first 2 shown]
	v_bfe_i32 v56, v28, 8, 8
	v_bfe_i32 v59, v29, 8, 8
	;; [unrolled: 1-line block ×8, first 2 shown]
	v_cvt_f32_i32_e32 v55, v55
	v_cvt_f32_i32_e32 v58, v58
	v_cvt_f32_i32_e32 v61, v61
	v_cvt_f32_i32_e32 v64, v64
	v_cvt_f32_i32_e32 v67, v67
	v_cvt_f32_i32_e32 v73, v73
	v_cvt_f32_i32_e32 v76, v76
	s_wait_loadcnt 0x4
	v_bfe_i32 v79, v36, 0, 8
	v_bfe_i32 v82, v37, 0, 8
	;; [unrolled: 1-line block ×4, first 2 shown]
	v_cvt_f32_i32_e32 v56, v56
	v_cvt_f32_i32_e32 v59, v59
	;; [unrolled: 1-line block ×8, first 2 shown]
	v_ashrrev_i32_e32 v28, 24, v28
	v_ashrrev_i32_e32 v29, 24, v29
	v_ashrrev_i32_e32 v30, 24, v30
	v_ashrrev_i32_e32 v31, 24, v31
	v_cvt_f32_i32_e32 v79, v79
	v_cvt_f32_i32_e32 v82, v82
	;; [unrolled: 1-line block ×4, first 2 shown]
	v_bfe_i32 v81, v36, 16, 8
	v_bfe_i32 v84, v37, 16, 8
	;; [unrolled: 1-line block ×4, first 2 shown]
	v_cvt_f32_i32_e32 v28, v28
	v_cvt_f32_i32_e32 v29, v29
	v_cvt_f32_i32_e32 v30, v30
	v_cvt_f32_i32_e32 v31, v31
	v_bfe_i32 v68, v32, 8, 8
	v_bfe_i32 v71, v33, 8, 8
	;; [unrolled: 1-line block ×4, first 2 shown]
	v_cvt_f32_i32_e32 v81, v81
	v_cvt_f32_i32_e32 v84, v84
	;; [unrolled: 1-line block ×8, first 2 shown]
	v_ashrrev_i32_e32 v32, 24, v32
	v_ashrrev_i32_e32 v33, 24, v33
	;; [unrolled: 1-line block ×4, first 2 shown]
	v_bfe_i32 v80, v36, 8, 8
	v_cvt_f32_i32_e32 v32, v32
	v_cvt_f32_i32_e32 v33, v33
	;; [unrolled: 1-line block ×4, first 2 shown]
	v_bfe_i32 v83, v37, 8, 8
	v_bfe_i32 v86, v38, 8, 8
	;; [unrolled: 1-line block ×3, first 2 shown]
	v_cvt_f32_i32_e32 v80, v80
	v_add_co_u32 v17, vcc_lo, 0x1000, v17
	v_cvt_f32_i32_e32 v83, v83
	v_cvt_f32_i32_e32 v86, v86
	;; [unrolled: 1-line block ×3, first 2 shown]
	s_wait_alu 0xfffd
	v_add_co_ci_u32_e64 v18, null, 0, v18, vcc_lo
	v_add_co_u32 v15, vcc_lo, 0x100, v15
	v_ashrrev_i32_e32 v36, 24, v36
	v_ashrrev_i32_e32 v37, 24, v37
	;; [unrolled: 1-line block ×4, first 2 shown]
	s_wait_alu 0xfffd
	v_add_co_ci_u32_e64 v16, null, 0, v16, vcc_lo
	v_add_co_u32 v19, vcc_lo, 0x800, v19
	v_cvt_f32_i32_e32 v36, v36
	v_cvt_f32_i32_e32 v37, v37
	;; [unrolled: 1-line block ×4, first 2 shown]
	s_wait_alu 0xfffd
	v_add_co_ci_u32_e64 v20, null, 0, v20, vcc_lo
	v_cmp_ge_i64_e32 vcc_lo, v[15:16], v[7:8]
	s_wait_alu 0xfffe
	s_or_b32 s7, vcc_lo, s7
	s_wait_loadcnt 0x3
	v_bfe_i32 v91, v11, 0, 8
	v_bfe_i32 v92, v11, 8, 8
	;; [unrolled: 1-line block ×3, first 2 shown]
	v_ashrrev_i32_e32 v11, 24, v11
	s_wait_loadcnt 0x2
	v_bfe_i32 v96, v40, 16, 8
	v_cvt_f32_i32_e32 v91, v91
	v_cvt_f32_i32_e32 v92, v92
	v_bfe_i32 v94, v40, 0, 8
	v_cvt_f32_i32_e32 v11, v11
	v_bfe_i32 v95, v40, 8, 8
	v_fmac_f32_e32 v25, v52, v91
	v_fmac_f32_e32 v12, v43, v91
	v_cvt_f32_i32_e32 v43, v93
	v_ashrrev_i32_e32 v40, 24, v40
	s_wait_loadcnt 0x1
	v_bfe_i32 v97, v41, 0, 8
	v_fmac_f32_e32 v25, v53, v92
	v_dual_fmac_f32 v27, v46, v91 :: v_dual_fmac_f32 v12, v44, v92
	v_fmac_f32_e32 v26, v49, v91
	v_bfe_i32 v98, v41, 8, 8
	v_bfe_i32 v99, v41, 16, 8
	s_delay_alu instid0(VALU_DEP_4) | instskip(NEXT) | instid1(VALU_DEP_4)
	v_dual_fmac_f32 v27, v47, v92 :: v_dual_fmac_f32 v12, v45, v43
	v_fmac_f32_e32 v26, v50, v92
	v_ashrrev_i32_e32 v41, 24, v41
	s_wait_loadcnt 0x0
	v_bfe_i32 v100, v42, 0, 8
	v_bfe_i32 v101, v42, 8, 8
	v_fmac_f32_e32 v12, v21, v11
	v_cvt_f32_i32_e32 v21, v96
	v_fmac_f32_e32 v27, v48, v43
	v_fmac_f32_e32 v26, v51, v43
	;; [unrolled: 1-line block ×3, first 2 shown]
	v_cvt_f32_i32_e32 v43, v94
	v_bfe_i32 v102, v42, 16, 8
	v_fmac_f32_e32 v27, v22, v11
	v_fmac_f32_e32 v26, v23, v11
	;; [unrolled: 1-line block ×3, first 2 shown]
	v_cvt_f32_i32_e32 v11, v95
	v_fmac_f32_e32 v12, v55, v43
	v_fmac_f32_e32 v27, v58, v43
	;; [unrolled: 1-line block ×4, first 2 shown]
	v_ashrrev_i32_e32 v42, 24, v42
	v_fmac_f32_e32 v12, v56, v11
	v_fmac_f32_e32 v27, v59, v11
	v_fmac_f32_e32 v26, v62, v11
	v_fmac_f32_e32 v25, v65, v11
	v_cvt_f32_i32_e32 v11, v40
	v_fmac_f32_e32 v12, v57, v21
	v_fmac_f32_e32 v27, v60, v21
	v_fmac_f32_e32 v26, v63, v21
	v_fmac_f32_e32 v25, v66, v21
	v_cvt_f32_i32_e32 v21, v97
	;; [unrolled: 5-line block ×9, first 2 shown]
	v_fmac_f32_e32 v12, v81, v21
	v_fmac_f32_e32 v27, v84, v21
	v_fmac_f32_e32 v26, v87, v21
	s_delay_alu instid0(VALU_DEP_3) | instskip(NEXT) | instid1(VALU_DEP_3)
	v_dual_fmac_f32 v25, v90, v21 :: v_dual_fmac_f32 v12, v36, v11
	v_fmac_f32_e32 v27, v37, v11
	s_delay_alu instid0(VALU_DEP_3) | instskip(NEXT) | instid1(VALU_DEP_3)
	v_fmac_f32_e32 v26, v38, v11
	v_fmac_f32_e32 v25, v39, v11
	s_wait_alu 0xfffe
	s_and_not1_b32 exec_lo, exec_lo, s7
	s_cbranch_execnz .LBB89_23
; %bb.24:
	s_or_b32 exec_lo, exec_lo, s7
.LBB89_25:
	s_wait_alu 0xfffe
	s_or_b32 exec_lo, exec_lo, s3
.LBB89_26:
	s_wait_alu 0xfffe
	s_or_b32 exec_lo, exec_lo, s6
	s_cbranch_execz .LBB89_28
	s_branch .LBB89_39
.LBB89_27:
                                        ; implicit-def: $vgpr25
                                        ; implicit-def: $vgpr26
                                        ; implicit-def: $vgpr27
                                        ; implicit-def: $vgpr12
.LBB89_28:
	v_dual_mov_b32 v25, 0 :: v_dual_mov_b32 v26, 0
	v_dual_mov_b32 v27, 0 :: v_dual_mov_b32 v12, 0
	s_and_saveexec_b32 s3, s2
	s_cbranch_execz .LBB89_38
; %bb.29:
	v_or_b32_e32 v11, 64, v0
	v_sub_co_u32 v15, s2, v1, v0
	s_wait_alu 0xf1ff
	v_subrev_co_ci_u32_e64 v16, null, 0, v2, s2
	s_delay_alu instid0(VALU_DEP_3)
	v_sub_co_u32 v11, vcc_lo, v11, v1
	s_wait_alu 0xfffd
	v_sub_co_ci_u32_e64 v12, null, 0, v2, vcc_lo
	s_mov_b32 s2, exec_lo
	v_add_co_u32 v11, vcc_lo, v11, v13
	s_wait_alu 0xfffd
	v_add_co_ci_u32_e64 v12, null, v12, v14, vcc_lo
	v_not_b32_e32 v13, v13
	v_not_b32_e32 v14, v14
	s_delay_alu instid0(VALU_DEP_3)
	v_cmp_gt_i64_e32 vcc_lo, v[11:12], v[7:8]
	s_wait_alu 0xfffd
	v_cndmask_b32_e32 v17, v8, v12, vcc_lo
	v_cndmask_b32_e32 v11, v7, v11, vcc_lo
	v_add_co_u32 v12, vcc_lo, v15, v13
	s_wait_alu 0xfffd
	v_add_co_ci_u32_e64 v14, null, v16, v14, vcc_lo
	s_delay_alu instid0(VALU_DEP_2) | instskip(SKIP_2) | instid1(VALU_DEP_3)
	v_add_co_u32 v13, vcc_lo, v12, v11
	v_mov_b32_e32 v12, 0
	s_wait_alu 0xfffd
	v_add_co_ci_u32_e64 v14, null, v14, v17, vcc_lo
	s_delay_alu instid0(VALU_DEP_3) | instskip(NEXT) | instid1(VALU_DEP_3)
	v_and_b32_e32 v11, 0xc0, v13
	v_dual_mov_b32 v27, v12 :: v_dual_mov_b32 v26, v12
	v_mov_b32_e32 v25, v12
	s_delay_alu instid0(VALU_DEP_3)
	v_cmpx_ne_u64_e32 0xc0, v[11:12]
	s_cbranch_execz .LBB89_33
; %bb.30:
	v_lshrrev_b32_e32 v11, 6, v13
	v_mov_b32_e32 v25, 0
	v_dual_mov_b32 v27, 0 :: v_dual_mov_b32 v26, 0
	s_delay_alu instid0(VALU_DEP_3) | instskip(SKIP_1) | instid1(VALU_DEP_2)
	v_add_nc_u32_e32 v15, 1, v11
	v_lshlrev_b64_e32 v[11:12], 3, v[5:6]
	v_and_b32_e32 v17, 3, v15
	s_delay_alu instid0(VALU_DEP_2) | instskip(SKIP_1) | instid1(VALU_DEP_3)
	v_add_co_u32 v15, vcc_lo, s8, v11
	s_wait_alu 0xfffd
	v_add_co_ci_u32_e64 v16, null, s9, v12, vcc_lo
	s_delay_alu instid0(VALU_DEP_3)
	v_sub_co_u32 v17, s6, 0, v17
	s_wait_alu 0xf1ff
	v_sub_co_ci_u32_e64 v18, null, 0, 0, s6
	v_mov_b32_e32 v12, 0
	s_mov_b32 s6, 0
.LBB89_31:                              ; =>This Inner Loop Header: Depth=1
	global_load_b64 v[19:20], v[15:16], off
	s_wait_loadcnt 0x0
	v_sub_co_u32 v19, vcc_lo, v19, v1
	s_wait_alu 0xfffd
	v_sub_co_ci_u32_e64 v20, null, v20, v2, vcc_lo
	s_delay_alu instid0(VALU_DEP_1) | instskip(SKIP_1) | instid1(VALU_DEP_1)
	v_lshlrev_b64_e32 v[19:20], 2, v[19:20]
	s_wait_kmcnt 0x0
	v_add_co_u32 v23, vcc_lo, s4, v19
	s_wait_alu 0xfffd
	s_delay_alu instid0(VALU_DEP_2)
	v_add_co_ci_u32_e64 v24, null, s5, v20, vcc_lo
	global_load_b128 v[19:22], v[9:10], off
	global_load_b32 v11, v[23:24], off
	v_add_co_u32 v9, vcc_lo, 0x400, v9
	s_wait_alu 0xfffd
	v_add_co_ci_u32_e64 v10, null, 0, v10, vcc_lo
	v_add_co_u32 v5, vcc_lo, v5, 64
	s_wait_alu 0xfffd
	v_add_co_ci_u32_e64 v6, null, 0, v6, vcc_lo
	;; [unrolled: 3-line block ×4, first 2 shown]
	s_delay_alu instid0(VALU_DEP_1)
	v_cmp_eq_u64_e32 vcc_lo, 0, v[17:18]
	s_wait_alu 0xfffe
	s_or_b32 s6, vcc_lo, s6
	s_wait_loadcnt 0x1
	v_bfe_i32 v23, v19, 0, 8
	v_bfe_i32 v24, v19, 8, 8
	s_wait_loadcnt 0x0
	v_bfe_i32 v38, v11, 0, 8
	v_bfe_i32 v28, v19, 16, 8
	v_ashrrev_i32_e32 v19, 24, v19
	v_bfe_i32 v29, v20, 0, 8
	v_bfe_i32 v30, v20, 8, 8
	v_cvt_f32_i32_e32 v23, v23
	v_cvt_f32_i32_e32 v24, v24
	v_bfe_i32 v39, v11, 8, 8
	v_cvt_f32_i32_e32 v38, v38
	v_bfe_i32 v31, v20, 16, 8
	v_ashrrev_i32_e32 v20, 24, v20
	v_bfe_i32 v32, v21, 0, 8
	v_bfe_i32 v33, v21, 8, 8
	v_cvt_f32_i32_e32 v28, v28
	v_cvt_f32_i32_e32 v19, v19
	;; [unrolled: 1-line block ×4, first 2 shown]
	v_bfe_i32 v40, v11, 16, 8
	v_cvt_f32_i32_e32 v39, v39
	v_fmac_f32_e32 v27, v24, v38
	v_fmac_f32_e32 v12, v23, v38
	v_bfe_i32 v34, v21, 16, 8
	v_ashrrev_i32_e32 v21, 24, v21
	v_cvt_f32_i32_e32 v31, v31
	v_cvt_f32_i32_e32 v20, v20
	;; [unrolled: 1-line block ×4, first 2 shown]
	v_fmac_f32_e32 v27, v30, v39
	v_dual_fmac_f32 v12, v29, v39 :: v_dual_fmac_f32 v25, v19, v38
	v_cvt_f32_i32_e32 v19, v40
	v_fmac_f32_e32 v26, v28, v38
	v_bfe_i32 v35, v22, 0, 8
	v_bfe_i32 v36, v22, 8, 8
	;; [unrolled: 1-line block ×3, first 2 shown]
	v_ashrrev_i32_e32 v22, 24, v22
	v_cvt_f32_i32_e32 v34, v34
	v_cvt_f32_i32_e32 v21, v21
	v_ashrrev_i32_e32 v11, 24, v11
	v_fmac_f32_e32 v12, v32, v19
	v_fmac_f32_e32 v25, v20, v39
	;; [unrolled: 1-line block ×4, first 2 shown]
	v_cvt_f32_i32_e32 v35, v35
	v_cvt_f32_i32_e32 v36, v36
	;; [unrolled: 1-line block ×5, first 2 shown]
	v_fmac_f32_e32 v26, v34, v19
	v_fmac_f32_e32 v25, v21, v19
	s_delay_alu instid0(VALU_DEP_3) | instskip(SKIP_1) | instid1(VALU_DEP_4)
	v_fmac_f32_e32 v12, v35, v11
	v_fmac_f32_e32 v27, v36, v11
	;; [unrolled: 1-line block ×3, first 2 shown]
	s_delay_alu instid0(VALU_DEP_4)
	v_fmac_f32_e32 v25, v22, v11
	s_wait_alu 0xfffe
	s_and_not1_b32 exec_lo, exec_lo, s6
	s_cbranch_execnz .LBB89_31
; %bb.32:
	s_or_b32 exec_lo, exec_lo, s6
.LBB89_33:
	s_wait_alu 0xfffe
	s_or_b32 exec_lo, exec_lo, s2
	s_delay_alu instid0(SALU_CYCLE_1)
	s_mov_b32 s2, exec_lo
	v_cmpx_lt_u64_e32 0xbf, v[13:14]
	s_cbranch_execz .LBB89_37
; %bb.34:
	v_lshlrev_b64_e32 v[13:14], 3, v[5:6]
	s_mov_b32 s6, 0
	s_delay_alu instid0(VALU_DEP_1) | instskip(SKIP_1) | instid1(VALU_DEP_2)
	v_add_co_u32 v11, vcc_lo, s8, v13
	s_wait_alu 0xfffd
	v_add_co_ci_u32_e64 v14, null, s9, v14, vcc_lo
	s_delay_alu instid0(VALU_DEP_2) | instskip(SKIP_1) | instid1(VALU_DEP_2)
	v_add_co_u32 v13, vcc_lo, 0x400, v11
	s_wait_alu 0xfffd
	v_add_co_ci_u32_e64 v14, null, 0, v14, vcc_lo
.LBB89_35:                              ; =>This Inner Loop Header: Depth=1
	s_clause 0x3
	global_load_b64 v[23:24], v[13:14], off offset:-1024
	global_load_b64 v[36:37], v[13:14], off offset:-512
	global_load_b64 v[38:39], v[13:14], off
	global_load_b64 v[40:41], v[13:14], off offset:512
	s_clause 0x3
	global_load_b128 v[15:18], v[9:10], off
	global_load_b128 v[19:22], v[9:10], off offset:1024
	global_load_b128 v[28:31], v[9:10], off offset:2048
	;; [unrolled: 1-line block ×3, first 2 shown]
	s_wait_loadcnt 0x7
	v_sub_co_u32 v23, vcc_lo, v23, v1
	s_wait_alu 0xfffd
	v_sub_co_ci_u32_e64 v24, null, v24, v2, vcc_lo
	s_wait_loadcnt 0x6
	v_sub_co_u32 v36, vcc_lo, v36, v1
	s_wait_alu 0xfffd
	v_sub_co_ci_u32_e64 v37, null, v37, v2, vcc_lo
	;; [unrolled: 4-line block ×3, first 2 shown]
	s_wait_loadcnt 0x4
	v_sub_co_u32 v40, vcc_lo, v40, v1
	v_lshlrev_b64_e32 v[23:24], 2, v[23:24]
	s_wait_alu 0xfffd
	v_sub_co_ci_u32_e64 v41, null, v41, v2, vcc_lo
	v_lshlrev_b64_e32 v[36:37], 2, v[36:37]
	v_lshlrev_b64_e32 v[38:39], 2, v[38:39]
	s_wait_loadcnt 0x3
	v_bfe_i32 v42, v16, 16, 8
	v_lshlrev_b64_e32 v[40:41], 2, v[40:41]
	s_wait_kmcnt 0x0
	v_add_co_u32 v23, vcc_lo, s4, v23
	s_wait_alu 0xfffd
	v_add_co_ci_u32_e64 v24, null, s5, v24, vcc_lo
	v_add_co_u32 v36, vcc_lo, s4, v36
	s_wait_alu 0xfffd
	v_add_co_ci_u32_e64 v37, null, s5, v37, vcc_lo
	;; [unrolled: 3-line block ×4, first 2 shown]
	s_clause 0x3
	global_load_b32 v11, v[23:24], off
	global_load_b32 v23, v[36:37], off
	;; [unrolled: 1-line block ×4, first 2 shown]
	v_bfe_i32 v37, v15, 0, 8
	v_bfe_i32 v38, v15, 8, 8
	;; [unrolled: 1-line block ×3, first 2 shown]
	v_ashrrev_i32_e32 v15, 24, v15
	v_bfe_i32 v40, v16, 0, 8
	v_bfe_i32 v41, v16, 8, 8
	v_ashrrev_i32_e32 v16, 24, v16
	v_cvt_f32_i32_e32 v37, v37
	v_cvt_f32_i32_e32 v15, v15
	;; [unrolled: 1-line block ×7, first 2 shown]
	v_bfe_i32 v43, v17, 0, 8
	v_bfe_i32 v44, v17, 8, 8
	;; [unrolled: 1-line block ×3, first 2 shown]
	v_ashrrev_i32_e32 v17, 24, v17
	v_cvt_f32_i32_e32 v41, v41
	v_bfe_i32 v46, v18, 0, 8
	v_bfe_i32 v47, v18, 8, 8
	v_bfe_i32 v48, v18, 16, 8
	v_ashrrev_i32_e32 v18, 24, v18
	v_cvt_f32_i32_e32 v43, v43
	v_cvt_f32_i32_e32 v44, v44
	v_cvt_f32_i32_e32 v45, v45
	v_cvt_f32_i32_e32 v17, v17
	s_wait_loadcnt 0x6
	v_bfe_i32 v49, v19, 0, 8
	v_bfe_i32 v50, v19, 8, 8
	v_bfe_i32 v51, v19, 16, 8
	v_ashrrev_i32_e32 v19, 24, v19
	v_cvt_f32_i32_e32 v46, v46
	v_cvt_f32_i32_e32 v47, v47
	v_cvt_f32_i32_e32 v48, v48
	v_cvt_f32_i32_e32 v18, v18
	v_bfe_i32 v52, v20, 0, 8
	v_bfe_i32 v53, v20, 8, 8
	v_bfe_i32 v54, v20, 16, 8
	v_ashrrev_i32_e32 v20, 24, v20
	v_cvt_f32_i32_e32 v49, v49
	v_cvt_f32_i32_e32 v50, v50
	v_cvt_f32_i32_e32 v51, v51
	v_cvt_f32_i32_e32 v19, v19
	v_bfe_i32 v55, v21, 0, 8
	v_bfe_i32 v56, v21, 8, 8
	v_bfe_i32 v57, v21, 16, 8
	v_ashrrev_i32_e32 v21, 24, v21
	v_cvt_f32_i32_e32 v52, v52
	v_cvt_f32_i32_e32 v53, v53
	v_cvt_f32_i32_e32 v54, v54
	v_cvt_f32_i32_e32 v20, v20
	v_bfe_i32 v58, v22, 0, 8
	v_bfe_i32 v59, v22, 8, 8
	v_bfe_i32 v60, v22, 16, 8
	v_ashrrev_i32_e32 v22, 24, v22
	v_cvt_f32_i32_e32 v55, v55
	v_cvt_f32_i32_e32 v56, v56
	v_cvt_f32_i32_e32 v57, v57
	v_cvt_f32_i32_e32 v21, v21
	s_wait_loadcnt 0x5
	v_bfe_i32 v61, v28, 0, 8
	v_bfe_i32 v62, v28, 8, 8
	v_bfe_i32 v63, v28, 16, 8
	v_ashrrev_i32_e32 v28, 24, v28
	v_cvt_f32_i32_e32 v58, v58
	v_cvt_f32_i32_e32 v59, v59
	v_cvt_f32_i32_e32 v60, v60
	v_cvt_f32_i32_e32 v22, v22
	v_bfe_i32 v64, v29, 0, 8
	v_bfe_i32 v65, v29, 8, 8
	v_bfe_i32 v66, v29, 16, 8
	v_ashrrev_i32_e32 v29, 24, v29
	v_cvt_f32_i32_e32 v61, v61
	v_cvt_f32_i32_e32 v62, v62
	v_cvt_f32_i32_e32 v63, v63
	v_cvt_f32_i32_e32 v28, v28
	v_bfe_i32 v67, v30, 0, 8
	v_bfe_i32 v68, v30, 8, 8
	v_bfe_i32 v69, v30, 16, 8
	v_ashrrev_i32_e32 v30, 24, v30
	v_cvt_f32_i32_e32 v64, v64
	v_cvt_f32_i32_e32 v65, v65
	v_cvt_f32_i32_e32 v66, v66
	;; [unrolled: 33-line block ×3, first 2 shown]
	v_cvt_f32_i32_e32 v33, v33
	v_add_co_u32 v9, vcc_lo, 0x1000, v9
	s_wait_alu 0xfffd
	v_add_co_ci_u32_e64 v10, null, 0, v10, vcc_lo
	v_add_co_u32 v5, vcc_lo, 0x100, v5
	v_bfe_i32 v82, v35, 0, 8
	v_bfe_i32 v83, v35, 8, 8
	;; [unrolled: 1-line block ×3, first 2 shown]
	v_ashrrev_i32_e32 v35, 24, v35
	v_cvt_f32_i32_e32 v79, v79
	v_cvt_f32_i32_e32 v80, v80
	;; [unrolled: 1-line block ×4, first 2 shown]
	s_wait_alu 0xfffd
	v_add_co_ci_u32_e64 v6, null, 0, v6, vcc_lo
	v_add_co_u32 v13, vcc_lo, 0x800, v13
	v_cvt_f32_i32_e32 v82, v82
	v_cvt_f32_i32_e32 v83, v83
	;; [unrolled: 1-line block ×4, first 2 shown]
	s_wait_alu 0xfffd
	v_add_co_ci_u32_e64 v14, null, 0, v14, vcc_lo
	v_cmp_ge_i64_e32 vcc_lo, v[5:6], v[7:8]
	s_wait_alu 0xfffe
	s_or_b32 s6, vcc_lo, s6
	s_wait_loadcnt 0x3
	v_bfe_i32 v85, v11, 0, 8
	v_bfe_i32 v86, v11, 8, 8
	;; [unrolled: 1-line block ×3, first 2 shown]
	v_ashrrev_i32_e32 v11, 24, v11
	s_wait_loadcnt 0x2
	v_bfe_i32 v88, v23, 0, 8
	v_cvt_f32_i32_e32 v85, v85
	v_cvt_f32_i32_e32 v86, v86
	v_bfe_i32 v89, v23, 8, 8
	v_cvt_f32_i32_e32 v11, v11
	v_bfe_i32 v90, v23, 16, 8
	v_fmac_f32_e32 v25, v15, v85
	v_fmac_f32_e32 v12, v37, v85
	v_cvt_f32_i32_e32 v15, v87
	v_ashrrev_i32_e32 v23, 24, v23
	s_wait_loadcnt 0x1
	v_bfe_i32 v91, v24, 0, 8
	v_fmac_f32_e32 v25, v16, v86
	v_dual_fmac_f32 v27, v38, v85 :: v_dual_fmac_f32 v12, v40, v86
	v_fmac_f32_e32 v26, v39, v85
	v_bfe_i32 v92, v24, 8, 8
	s_delay_alu instid0(VALU_DEP_4) | instskip(NEXT) | instid1(VALU_DEP_4)
	v_fmac_f32_e32 v25, v17, v15
	v_dual_fmac_f32 v27, v41, v86 :: v_dual_fmac_f32 v12, v43, v15
	s_delay_alu instid0(VALU_DEP_4) | instskip(SKIP_1) | instid1(VALU_DEP_4)
	v_fmac_f32_e32 v26, v42, v86
	v_bfe_i32 v93, v24, 16, 8
	v_fmac_f32_e32 v25, v18, v11
	s_delay_alu instid0(VALU_DEP_4)
	v_fmac_f32_e32 v27, v44, v15
	v_fmac_f32_e32 v12, v46, v11
	;; [unrolled: 1-line block ×3, first 2 shown]
	v_cvt_f32_i32_e32 v15, v88
	v_ashrrev_i32_e32 v24, 24, v24
	v_fmac_f32_e32 v27, v47, v11
	s_wait_loadcnt 0x0
	v_bfe_i32 v94, v36, 0, 8
	v_fmac_f32_e32 v26, v48, v11
	v_cvt_f32_i32_e32 v11, v89
	v_fmac_f32_e32 v12, v49, v15
	v_fmac_f32_e32 v27, v50, v15
	v_fmac_f32_e32 v25, v19, v15
	v_fmac_f32_e32 v26, v51, v15
	v_cvt_f32_i32_e32 v15, v90
	v_fmac_f32_e32 v12, v52, v11
	v_fmac_f32_e32 v27, v53, v11
	v_fmac_f32_e32 v25, v20, v11
	;; [unrolled: 5-line block ×7, first 2 shown]
	v_fmac_f32_e32 v26, v69, v15
	v_bfe_i32 v95, v36, 8, 8
	v_cvt_f32_i32_e32 v15, v94
	v_fmac_f32_e32 v12, v70, v11
	v_fmac_f32_e32 v27, v71, v11
	;; [unrolled: 1-line block ×4, first 2 shown]
	v_bfe_i32 v96, v36, 16, 8
	v_cvt_f32_i32_e32 v11, v95
	v_fmac_f32_e32 v12, v73, v15
	v_fmac_f32_e32 v27, v74, v15
	;; [unrolled: 1-line block ×4, first 2 shown]
	v_ashrrev_i32_e32 v36, 24, v36
	v_cvt_f32_i32_e32 v15, v96
	v_fmac_f32_e32 v12, v76, v11
	v_fmac_f32_e32 v27, v77, v11
	;; [unrolled: 1-line block ×4, first 2 shown]
	v_cvt_f32_i32_e32 v11, v36
	v_fmac_f32_e32 v12, v79, v15
	v_fmac_f32_e32 v27, v80, v15
	v_fmac_f32_e32 v26, v81, v15
	v_fmac_f32_e32 v25, v34, v15
	s_delay_alu instid0(VALU_DEP_4) | instskip(NEXT) | instid1(VALU_DEP_4)
	v_fmac_f32_e32 v12, v82, v11
	v_fmac_f32_e32 v27, v83, v11
	s_delay_alu instid0(VALU_DEP_4) | instskip(NEXT) | instid1(VALU_DEP_4)
	v_fmac_f32_e32 v26, v84, v11
	v_fmac_f32_e32 v25, v35, v11
	s_wait_alu 0xfffe
	s_and_not1_b32 exec_lo, exec_lo, s6
	s_cbranch_execnz .LBB89_35
; %bb.36:
	s_or_b32 exec_lo, exec_lo, s6
.LBB89_37:
	s_wait_alu 0xfffe
	s_or_b32 exec_lo, exec_lo, s2
.LBB89_38:
	s_wait_alu 0xfffe
	s_or_b32 exec_lo, exec_lo, s3
.LBB89_39:
	v_mbcnt_lo_u32_b32 v1, -1, 0
	s_mov_b32 s2, -1
	s_delay_alu instid0(VALU_DEP_1) | instskip(SKIP_1) | instid1(VALU_DEP_2)
	v_or_b32_e32 v2, 32, v1
	v_xor_b32_e32 v8, 16, v1
	v_cmp_gt_i32_e32 vcc_lo, 32, v2
	s_wait_alu 0xfffd
	v_cndmask_b32_e32 v2, v1, v2, vcc_lo
	s_delay_alu instid0(VALU_DEP_3) | instskip(NEXT) | instid1(VALU_DEP_2)
	v_cmp_gt_i32_e32 vcc_lo, 32, v8
	v_lshlrev_b32_e32 v2, 2, v2
	ds_bpermute_b32 v7, v2, v26
	s_wait_dscnt 0x0
	v_add_f32_e32 v7, v26, v7
	ds_bpermute_b32 v5, v2, v12
	s_wait_alu 0xfffd
	v_cndmask_b32_e32 v8, v1, v8, vcc_lo
	ds_bpermute_b32 v6, v2, v27
	ds_bpermute_b32 v2, v2, v25
	s_wait_dscnt 0x2
	v_dual_add_f32 v5, v12, v5 :: v_dual_lshlrev_b32 v8, 2, v8
	v_xor_b32_e32 v12, 8, v1
	s_wait_dscnt 0x0
	v_add_f32_e32 v2, v25, v2
	ds_bpermute_b32 v9, v8, v5
	v_cmp_gt_i32_e32 vcc_lo, 32, v12
	s_wait_dscnt 0x0
	v_add_f32_e32 v5, v5, v9
	ds_bpermute_b32 v11, v8, v7
	v_add_f32_e32 v6, v27, v6
	ds_bpermute_b32 v10, v8, v6
	ds_bpermute_b32 v8, v8, v2
	s_wait_dscnt 0x2
	s_wait_alu 0xfffd
	v_dual_add_f32 v7, v7, v11 :: v_dual_cndmask_b32 v12, v1, v12
	s_delay_alu instid0(VALU_DEP_1)
	v_lshlrev_b32_e32 v12, 2, v12
	s_wait_dscnt 0x0
	v_add_f32_e32 v2, v2, v8
	ds_bpermute_b32 v8, v12, v5
	ds_bpermute_b32 v11, v12, v2
	s_wait_dscnt 0x1
	v_dual_add_f32 v5, v5, v8 :: v_dual_add_f32 v6, v6, v10
	ds_bpermute_b32 v10, v12, v7
	s_wait_dscnt 0x1
	v_add_f32_e32 v2, v2, v11
	ds_bpermute_b32 v9, v12, v6
	v_xor_b32_e32 v12, 4, v1
	s_delay_alu instid0(VALU_DEP_1) | instskip(SKIP_3) | instid1(VALU_DEP_1)
	v_cmp_gt_i32_e32 vcc_lo, 32, v12
	s_wait_alu 0xfffd
	v_cndmask_b32_e32 v12, v1, v12, vcc_lo
	s_wait_dscnt 0x1
	v_dual_add_f32 v7, v7, v10 :: v_dual_lshlrev_b32 v12, 2, v12
	ds_bpermute_b32 v8, v12, v5
	ds_bpermute_b32 v10, v12, v7
	;; [unrolled: 1-line block ×3, first 2 shown]
	s_wait_dscnt 0x2
	v_dual_add_f32 v5, v5, v8 :: v_dual_add_f32 v6, v6, v9
	s_wait_dscnt 0x0
	v_dual_add_f32 v7, v7, v10 :: v_dual_add_f32 v8, v2, v11
	ds_bpermute_b32 v9, v12, v6
	v_xor_b32_e32 v12, 2, v1
	s_delay_alu instid0(VALU_DEP_1) | instskip(SKIP_2) | instid1(VALU_DEP_1)
	v_cmp_gt_i32_e32 vcc_lo, 32, v12
	s_wait_alu 0xfffd
	v_cndmask_b32_e32 v12, v1, v12, vcc_lo
	v_lshlrev_b32_e32 v12, 2, v12
	s_wait_dscnt 0x0
	v_add_f32_e32 v6, v6, v9
	ds_bpermute_b32 v2, v12, v5
	ds_bpermute_b32 v10, v12, v7
	;; [unrolled: 1-line block ×4, first 2 shown]
	v_xor_b32_e32 v12, 1, v1
	s_delay_alu instid0(VALU_DEP_1) | instskip(SKIP_4) | instid1(VALU_DEP_2)
	v_cmp_gt_i32_e32 vcc_lo, 32, v12
	s_wait_alu 0xfffd
	v_cndmask_b32_e32 v1, v1, v12, vcc_lo
	v_cmp_eq_u32_e32 vcc_lo, 63, v0
	s_wait_dscnt 0x3
	v_dual_add_f32 v1, v5, v2 :: v_dual_lshlrev_b32 v12, 2, v1
	s_wait_dscnt 0x0
	v_dual_add_f32 v5, v7, v10 :: v_dual_add_f32 v2, v6, v9
	v_add_f32_e32 v6, v8, v11
	ds_bpermute_b32 v7, v12, v1
	ds_bpermute_b32 v9, v12, v5
	;; [unrolled: 1-line block ×4, first 2 shown]
	s_and_b32 exec_lo, exec_lo, vcc_lo
	s_cbranch_execz .LBB89_10
; %bb.40:
	s_load_b64 s[0:1], s[0:1], 0x58
	s_wait_dscnt 0x1
	v_dual_add_f32 v0, v1, v7 :: v_dual_add_f32 v1, v2, v8
	s_wait_dscnt 0x0
	v_add_f32_e32 v6, v6, v10
	s_cmp_eq_f32 s16, 0
	s_delay_alu instid0(VALU_DEP_2) | instskip(SKIP_3) | instid1(VALU_DEP_3)
	v_dual_mul_f32 v0, s12, v0 :: v_dual_mul_f32 v1, s12, v1
	v_add_f32_e32 v2, v5, v9
	v_lshlrev_b64_e32 v[4:5], 4, v[3:4]
	v_mul_f32_e32 v3, s12, v6
	v_mul_f32_e32 v2, s12, v2
	s_cbranch_scc0 .LBB89_42
; %bb.41:
	s_wait_kmcnt 0x0
	s_delay_alu instid0(VALU_DEP_3)
	v_add_co_u32 v6, vcc_lo, s0, v4
	s_wait_alu 0xfffd
	v_add_co_ci_u32_e64 v7, null, s1, v5, vcc_lo
	s_mov_b32 s2, 0
	global_store_b128 v[6:7], v[0:3], off
.LBB89_42:
	s_wait_alu 0xfffe
	s_and_not1_b32 vcc_lo, exec_lo, s2
	s_wait_alu 0xfffe
	s_cbranch_vccnz .LBB89_10
; %bb.43:
	s_wait_kmcnt 0x0
	v_add_co_u32 v8, vcc_lo, s0, v4
	s_wait_alu 0xfffd
	v_add_co_ci_u32_e64 v9, null, s1, v5, vcc_lo
	global_load_b128 v[4:7], v[8:9], off
	s_wait_loadcnt 0x0
	v_dual_fmac_f32 v0, s16, v4 :: v_dual_fmac_f32 v1, s16, v5
	v_dual_fmac_f32 v2, s16, v6 :: v_dual_fmac_f32 v3, s16, v7
	global_store_b128 v[8:9], v[0:3], off
	s_nop 0
	s_sendmsg sendmsg(MSG_DEALLOC_VGPRS)
	s_endpgm
	.section	.rodata,"a",@progbits
	.p2align	6, 0x0
	.amdhsa_kernel _ZN9rocsparseL18bsrxmvn_4x4_kernelILj128ELj64EfllaafEEvT3_20rocsparse_direction_NS_24const_host_device_scalarIT1_EES1_PKS1_PKT2_SA_S7_PKT4_PKT5_S5_PT6_21rocsparse_index_base_b
		.amdhsa_group_segment_fixed_size 0
		.amdhsa_private_segment_fixed_size 0
		.amdhsa_kernarg_size 104
		.amdhsa_user_sgpr_count 2
		.amdhsa_user_sgpr_dispatch_ptr 0
		.amdhsa_user_sgpr_queue_ptr 0
		.amdhsa_user_sgpr_kernarg_segment_ptr 1
		.amdhsa_user_sgpr_dispatch_id 0
		.amdhsa_user_sgpr_private_segment_size 0
		.amdhsa_wavefront_size32 1
		.amdhsa_uses_dynamic_stack 0
		.amdhsa_enable_private_segment 0
		.amdhsa_system_sgpr_workgroup_id_x 1
		.amdhsa_system_sgpr_workgroup_id_y 0
		.amdhsa_system_sgpr_workgroup_id_z 0
		.amdhsa_system_sgpr_workgroup_info 0
		.amdhsa_system_vgpr_workitem_id 0
		.amdhsa_next_free_vgpr 103
		.amdhsa_next_free_sgpr 18
		.amdhsa_reserve_vcc 1
		.amdhsa_float_round_mode_32 0
		.amdhsa_float_round_mode_16_64 0
		.amdhsa_float_denorm_mode_32 3
		.amdhsa_float_denorm_mode_16_64 3
		.amdhsa_fp16_overflow 0
		.amdhsa_workgroup_processor_mode 1
		.amdhsa_memory_ordered 1
		.amdhsa_forward_progress 1
		.amdhsa_inst_pref_size 51
		.amdhsa_round_robin_scheduling 0
		.amdhsa_exception_fp_ieee_invalid_op 0
		.amdhsa_exception_fp_denorm_src 0
		.amdhsa_exception_fp_ieee_div_zero 0
		.amdhsa_exception_fp_ieee_overflow 0
		.amdhsa_exception_fp_ieee_underflow 0
		.amdhsa_exception_fp_ieee_inexact 0
		.amdhsa_exception_int_div_zero 0
	.end_amdhsa_kernel
	.section	.text._ZN9rocsparseL18bsrxmvn_4x4_kernelILj128ELj64EfllaafEEvT3_20rocsparse_direction_NS_24const_host_device_scalarIT1_EES1_PKS1_PKT2_SA_S7_PKT4_PKT5_S5_PT6_21rocsparse_index_base_b,"axG",@progbits,_ZN9rocsparseL18bsrxmvn_4x4_kernelILj128ELj64EfllaafEEvT3_20rocsparse_direction_NS_24const_host_device_scalarIT1_EES1_PKS1_PKT2_SA_S7_PKT4_PKT5_S5_PT6_21rocsparse_index_base_b,comdat
.Lfunc_end89:
	.size	_ZN9rocsparseL18bsrxmvn_4x4_kernelILj128ELj64EfllaafEEvT3_20rocsparse_direction_NS_24const_host_device_scalarIT1_EES1_PKS1_PKT2_SA_S7_PKT4_PKT5_S5_PT6_21rocsparse_index_base_b, .Lfunc_end89-_ZN9rocsparseL18bsrxmvn_4x4_kernelILj128ELj64EfllaafEEvT3_20rocsparse_direction_NS_24const_host_device_scalarIT1_EES1_PKS1_PKT2_SA_S7_PKT4_PKT5_S5_PT6_21rocsparse_index_base_b
                                        ; -- End function
	.set _ZN9rocsparseL18bsrxmvn_4x4_kernelILj128ELj64EfllaafEEvT3_20rocsparse_direction_NS_24const_host_device_scalarIT1_EES1_PKS1_PKT2_SA_S7_PKT4_PKT5_S5_PT6_21rocsparse_index_base_b.num_vgpr, 103
	.set _ZN9rocsparseL18bsrxmvn_4x4_kernelILj128ELj64EfllaafEEvT3_20rocsparse_direction_NS_24const_host_device_scalarIT1_EES1_PKS1_PKT2_SA_S7_PKT4_PKT5_S5_PT6_21rocsparse_index_base_b.num_agpr, 0
	.set _ZN9rocsparseL18bsrxmvn_4x4_kernelILj128ELj64EfllaafEEvT3_20rocsparse_direction_NS_24const_host_device_scalarIT1_EES1_PKS1_PKT2_SA_S7_PKT4_PKT5_S5_PT6_21rocsparse_index_base_b.numbered_sgpr, 18
	.set _ZN9rocsparseL18bsrxmvn_4x4_kernelILj128ELj64EfllaafEEvT3_20rocsparse_direction_NS_24const_host_device_scalarIT1_EES1_PKS1_PKT2_SA_S7_PKT4_PKT5_S5_PT6_21rocsparse_index_base_b.num_named_barrier, 0
	.set _ZN9rocsparseL18bsrxmvn_4x4_kernelILj128ELj64EfllaafEEvT3_20rocsparse_direction_NS_24const_host_device_scalarIT1_EES1_PKS1_PKT2_SA_S7_PKT4_PKT5_S5_PT6_21rocsparse_index_base_b.private_seg_size, 0
	.set _ZN9rocsparseL18bsrxmvn_4x4_kernelILj128ELj64EfllaafEEvT3_20rocsparse_direction_NS_24const_host_device_scalarIT1_EES1_PKS1_PKT2_SA_S7_PKT4_PKT5_S5_PT6_21rocsparse_index_base_b.uses_vcc, 1
	.set _ZN9rocsparseL18bsrxmvn_4x4_kernelILj128ELj64EfllaafEEvT3_20rocsparse_direction_NS_24const_host_device_scalarIT1_EES1_PKS1_PKT2_SA_S7_PKT4_PKT5_S5_PT6_21rocsparse_index_base_b.uses_flat_scratch, 0
	.set _ZN9rocsparseL18bsrxmvn_4x4_kernelILj128ELj64EfllaafEEvT3_20rocsparse_direction_NS_24const_host_device_scalarIT1_EES1_PKS1_PKT2_SA_S7_PKT4_PKT5_S5_PT6_21rocsparse_index_base_b.has_dyn_sized_stack, 0
	.set _ZN9rocsparseL18bsrxmvn_4x4_kernelILj128ELj64EfllaafEEvT3_20rocsparse_direction_NS_24const_host_device_scalarIT1_EES1_PKS1_PKT2_SA_S7_PKT4_PKT5_S5_PT6_21rocsparse_index_base_b.has_recursion, 0
	.set _ZN9rocsparseL18bsrxmvn_4x4_kernelILj128ELj64EfllaafEEvT3_20rocsparse_direction_NS_24const_host_device_scalarIT1_EES1_PKS1_PKT2_SA_S7_PKT4_PKT5_S5_PT6_21rocsparse_index_base_b.has_indirect_call, 0
	.section	.AMDGPU.csdata,"",@progbits
; Kernel info:
; codeLenInByte = 6468
; TotalNumSgprs: 20
; NumVgprs: 103
; ScratchSize: 0
; MemoryBound: 0
; FloatMode: 240
; IeeeMode: 1
; LDSByteSize: 0 bytes/workgroup (compile time only)
; SGPRBlocks: 0
; VGPRBlocks: 12
; NumSGPRsForWavesPerEU: 20
; NumVGPRsForWavesPerEU: 103
; Occupancy: 12
; WaveLimiterHint : 1
; COMPUTE_PGM_RSRC2:SCRATCH_EN: 0
; COMPUTE_PGM_RSRC2:USER_SGPR: 2
; COMPUTE_PGM_RSRC2:TRAP_HANDLER: 0
; COMPUTE_PGM_RSRC2:TGID_X_EN: 1
; COMPUTE_PGM_RSRC2:TGID_Y_EN: 0
; COMPUTE_PGM_RSRC2:TGID_Z_EN: 0
; COMPUTE_PGM_RSRC2:TIDIG_COMP_CNT: 0
	.section	.text._ZN9rocsparseL18bsrxmvn_4x4_kernelILj128ELj4EfiiDF16_DF16_fEEvT3_20rocsparse_direction_NS_24const_host_device_scalarIT1_EES1_PKS1_PKT2_SA_S7_PKT4_PKT5_S5_PT6_21rocsparse_index_base_b,"axG",@progbits,_ZN9rocsparseL18bsrxmvn_4x4_kernelILj128ELj4EfiiDF16_DF16_fEEvT3_20rocsparse_direction_NS_24const_host_device_scalarIT1_EES1_PKS1_PKT2_SA_S7_PKT4_PKT5_S5_PT6_21rocsparse_index_base_b,comdat
	.globl	_ZN9rocsparseL18bsrxmvn_4x4_kernelILj128ELj4EfiiDF16_DF16_fEEvT3_20rocsparse_direction_NS_24const_host_device_scalarIT1_EES1_PKS1_PKT2_SA_S7_PKT4_PKT5_S5_PT6_21rocsparse_index_base_b ; -- Begin function _ZN9rocsparseL18bsrxmvn_4x4_kernelILj128ELj4EfiiDF16_DF16_fEEvT3_20rocsparse_direction_NS_24const_host_device_scalarIT1_EES1_PKS1_PKT2_SA_S7_PKT4_PKT5_S5_PT6_21rocsparse_index_base_b
	.p2align	8
	.type	_ZN9rocsparseL18bsrxmvn_4x4_kernelILj128ELj4EfiiDF16_DF16_fEEvT3_20rocsparse_direction_NS_24const_host_device_scalarIT1_EES1_PKS1_PKT2_SA_S7_PKT4_PKT5_S5_PT6_21rocsparse_index_base_b,@function
_ZN9rocsparseL18bsrxmvn_4x4_kernelILj128ELj4EfiiDF16_DF16_fEEvT3_20rocsparse_direction_NS_24const_host_device_scalarIT1_EES1_PKS1_PKT2_SA_S7_PKT4_PKT5_S5_PT6_21rocsparse_index_base_b: ; @_ZN9rocsparseL18bsrxmvn_4x4_kernelILj128ELj4EfiiDF16_DF16_fEEvT3_20rocsparse_direction_NS_24const_host_device_scalarIT1_EES1_PKS1_PKT2_SA_S7_PKT4_PKT5_S5_PT6_21rocsparse_index_base_b
; %bb.0:
	s_clause 0x2
	s_load_b64 s[16:17], s[0:1], 0x58
	s_load_b64 s[14:15], s[0:1], 0x8
	;; [unrolled: 1-line block ×3, first 2 shown]
	s_wait_kmcnt 0x0
	s_bitcmp1_b32 s17, 0
	s_cselect_b32 s2, -1, 0
	s_delay_alu instid0(SALU_CYCLE_1)
	s_and_b32 vcc_lo, exec_lo, s2
	s_xor_b32 s2, s2, -1
	s_cbranch_vccnz .LBB90_2
; %bb.1:
	s_load_b32 s14, s[14:15], 0x0
.LBB90_2:
	s_and_not1_b32 vcc_lo, exec_lo, s2
	s_cbranch_vccnz .LBB90_4
; %bb.3:
	s_load_b32 s12, s[12:13], 0x0
.LBB90_4:
	s_wait_kmcnt 0x0
	s_cmp_neq_f32 s14, 0
	s_mov_b32 s6, 0
	s_cselect_b32 s2, -1, 0
	s_cmp_neq_f32 s12, 1.0
	s_cselect_b32 s3, -1, 0
	s_delay_alu instid0(SALU_CYCLE_1) | instskip(NEXT) | instid1(SALU_CYCLE_1)
	s_or_b32 s2, s2, s3
	s_and_not1_b32 vcc_lo, exec_lo, s2
	s_cbranch_vccnz .LBB90_10
; %bb.5:
	s_clause 0x1
	s_load_b64 s[4:5], s[0:1], 0x18
	s_load_b64 s[2:3], s[0:1], 0x0
	v_lshrrev_b32_e32 v1, 2, v0
	s_delay_alu instid0(VALU_DEP_1)
	v_lshl_or_b32 v4, ttmp9, 5, v1
	s_wait_kmcnt 0x0
	s_cmp_lg_u64 s[4:5], 0
	s_cbranch_scc0 .LBB90_11
; %bb.6:
	s_load_b32 s6, s[0:1], 0x10
	s_mov_b32 s7, 0
                                        ; implicit-def: $vgpr1
	s_wait_kmcnt 0x0
	v_cmp_gt_i32_e32 vcc_lo, s6, v4
	s_mov_b32 s6, 0
	s_and_saveexec_b32 s8, vcc_lo
	s_delay_alu instid0(SALU_CYCLE_1)
	s_xor_b32 s8, exec_lo, s8
	s_cbranch_execz .LBB90_8
; %bb.7:
	v_ashrrev_i32_e32 v5, 31, v4
	s_mov_b32 s6, exec_lo
	s_delay_alu instid0(VALU_DEP_1) | instskip(NEXT) | instid1(VALU_DEP_1)
	v_lshlrev_b64_e32 v[1:2], 2, v[4:5]
	v_add_co_u32 v1, vcc_lo, s4, v1
	s_delay_alu instid0(VALU_DEP_1)
	v_add_co_ci_u32_e64 v2, null, s5, v2, vcc_lo
	global_load_b32 v1, v[1:2], off
	s_wait_loadcnt 0x0
	v_subrev_nc_u32_e32 v1, s16, v1
.LBB90_8:
	s_or_b32 exec_lo, exec_lo, s8
	s_delay_alu instid0(SALU_CYCLE_1)
	s_and_b32 vcc_lo, exec_lo, s7
	s_wait_alu 0xfffe
	s_cbranch_vccz .LBB90_12
.LBB90_9:
	v_cmp_gt_i32_e32 vcc_lo, s2, v4
	s_and_not1_b32 s2, s6, exec_lo
	s_and_b32 s4, vcc_lo, exec_lo
	s_wait_alu 0xfffe
	s_or_b32 s6, s2, s4
	s_wait_alu 0xfffe
	s_and_saveexec_b32 s2, s6
	s_cbranch_execnz .LBB90_13
.LBB90_10:
	s_endpgm
.LBB90_11:
                                        ; implicit-def: $vgpr1
	s_cbranch_execnz .LBB90_9
.LBB90_12:
	v_mov_b32_e32 v4, v1
	s_and_saveexec_b32 s2, s6
	s_cbranch_execz .LBB90_10
.LBB90_13:
	s_load_b256 s[4:11], s[0:1], 0x20
	s_delay_alu instid0(VALU_DEP_1) | instskip(SKIP_1) | instid1(VALU_DEP_2)
	v_ashrrev_i32_e32 v5, 31, v4
	v_and_b32_e32 v9, 3, v0
	v_lshlrev_b64_e32 v[1:2], 2, v[4:5]
	s_wait_kmcnt 0x0
	s_delay_alu instid0(VALU_DEP_1) | instskip(SKIP_1) | instid1(VALU_DEP_2)
	v_add_co_u32 v5, vcc_lo, s4, v1
	s_wait_alu 0xfffd
	v_add_co_ci_u32_e64 v6, null, s5, v2, vcc_lo
	v_add_co_u32 v1, vcc_lo, s6, v1
	s_wait_alu 0xfffd
	v_add_co_ci_u32_e64 v2, null, s7, v2, vcc_lo
	global_load_b32 v15, v[5:6], off
	v_add_co_u32 v3, vcc_lo, v5, 4
	s_wait_alu 0xfffd
	v_add_co_ci_u32_e64 v5, null, 0, v6, vcc_lo
	s_cmp_eq_u64 s[6:7], 0
	s_load_b64 s[4:5], s[0:1], 0x40
	s_cselect_b32 vcc_lo, -1, 0
	s_cmp_eq_u32 s3, 1
	s_wait_alu 0xfffe
	v_dual_cndmask_b32 v2, v2, v5 :: v_dual_cndmask_b32 v1, v1, v3
	global_load_b32 v5, v[1:2], off
	s_wait_loadcnt 0x1
	v_subrev_nc_u32_e32 v0, s16, v15
	s_delay_alu instid0(VALU_DEP_1) | instskip(NEXT) | instid1(VALU_DEP_1)
	v_add_nc_u32_e32 v0, v0, v9
	v_ashrrev_i32_e32 v1, 31, v0
	s_wait_loadcnt 0x0
	v_subrev_nc_u32_e32 v10, s16, v5
	s_delay_alu instid0(VALU_DEP_2) | instskip(NEXT) | instid1(VALU_DEP_2)
	v_lshlrev_b64_e32 v[2:3], 5, v[0:1]
	v_cmp_lt_i32_e64 s2, v0, v10
	s_delay_alu instid0(VALU_DEP_2) | instskip(SKIP_1) | instid1(VALU_DEP_3)
	v_add_co_u32 v2, vcc_lo, s10, v2
	s_wait_alu 0xfffd
	v_add_co_ci_u32_e64 v3, null, s11, v3, vcc_lo
	s_cbranch_scc1 .LBB90_25
; %bb.14:
	v_dual_mov_b32 v11, 0 :: v_dual_mov_b32 v14, 0
	v_dual_mov_b32 v13, 0 :: v_dual_mov_b32 v12, 0
	s_and_saveexec_b32 s3, s2
	s_cbranch_execz .LBB90_24
; %bb.15:
	v_dual_mov_b32 v12, 0 :: v_dual_add_nc_u32 v1, v15, v9
	v_not_b32_e32 v5, v15
	v_dual_mov_b32 v11, 0 :: v_dual_mov_b32 v8, v3
	s_delay_alu instid0(VALU_DEP_3) | instskip(SKIP_3) | instid1(VALU_DEP_3)
	v_subrev_nc_u32_e32 v1, s16, v1
	v_mov_b32_e32 v7, v2
	s_mov_b32 s6, exec_lo
	v_dual_mov_b32 v14, 0 :: v_dual_mov_b32 v13, 0
	v_add_nc_u32_e32 v1, 4, v1
	s_delay_alu instid0(VALU_DEP_1) | instskip(NEXT) | instid1(VALU_DEP_1)
	v_max_i32_e32 v1, v1, v10
	v_add3_u32 v1, s16, v1, v5
	v_mov_b32_e32 v5, v0
	s_delay_alu instid0(VALU_DEP_2) | instskip(NEXT) | instid1(VALU_DEP_1)
	v_sub_nc_u32_e32 v1, v1, v9
	v_and_b32_e32 v6, 12, v1
	s_delay_alu instid0(VALU_DEP_1)
	v_cmpx_ne_u32_e32 12, v6
	s_cbranch_execz .LBB90_19
; %bb.16:
	v_lshrrev_b32_e32 v5, 2, v1
	v_mov_b32_e32 v13, 0
	s_mov_b32 s7, 0
	v_dual_mov_b32 v8, v3 :: v_dual_mov_b32 v7, v2
	s_delay_alu instid0(VALU_DEP_3) | instskip(SKIP_1) | instid1(VALU_DEP_2)
	v_dual_mov_b32 v14, 0 :: v_dual_add_nc_u32 v5, 1, v5
	v_dual_mov_b32 v11, 0 :: v_dual_mov_b32 v12, 0
	v_dual_mov_b32 v5, v0 :: v_dual_and_b32 v6, 3, v5
	s_delay_alu instid0(VALU_DEP_1)
	v_sub_nc_u32_e32 v16, 0, v6
.LBB90_17:                              ; =>This Inner Loop Header: Depth=1
	s_delay_alu instid0(VALU_DEP_2) | instskip(NEXT) | instid1(VALU_DEP_2)
	v_ashrrev_i32_e32 v6, 31, v5
	v_add_co_u32 v16, s10, v16, 1
	s_wait_alu 0xfffe
	s_or_b32 s7, s10, s7
	s_delay_alu instid0(VALU_DEP_2) | instskip(SKIP_1) | instid1(VALU_DEP_2)
	v_lshlrev_b64_e32 v[17:18], 2, v[5:6]
	v_add_nc_u32_e32 v5, 4, v5
	v_add_co_u32 v17, vcc_lo, s8, v17
	s_wait_alu 0xfffd
	s_delay_alu instid0(VALU_DEP_3)
	v_add_co_ci_u32_e64 v18, null, s9, v18, vcc_lo
	global_load_b32 v6, v[17:18], off
	s_clause 0x1
	global_load_b128 v[17:20], v[7:8], off
	global_load_b128 v[21:24], v[7:8], off offset:16
	s_wait_loadcnt 0x2
	v_subrev_nc_u32_e32 v6, s16, v6
	s_delay_alu instid0(VALU_DEP_1) | instskip(NEXT) | instid1(VALU_DEP_1)
	v_lshlrev_b32_e32 v25, 2, v6
	v_ashrrev_i32_e32 v26, 31, v25
	s_delay_alu instid0(VALU_DEP_1) | instskip(SKIP_1) | instid1(VALU_DEP_1)
	v_lshlrev_b64_e32 v[25:26], 1, v[25:26]
	s_wait_kmcnt 0x0
	v_add_co_u32 v25, vcc_lo, s4, v25
	s_wait_alu 0xfffd
	s_delay_alu instid0(VALU_DEP_2)
	v_add_co_ci_u32_e64 v26, null, s5, v26, vcc_lo
	v_add_co_u32 v7, vcc_lo, 0x80, v7
	s_wait_alu 0xfffd
	v_add_co_ci_u32_e64 v8, null, 0, v8, vcc_lo
	global_load_b64 v[25:26], v[25:26], off
	s_wait_loadcnt 0x0
	v_fma_mix_f32 v6, v17, v25, v12 op_sel_hi:[1,1,0]
	v_fma_mix_f32 v12, v19, v25, v14 op_sel_hi:[1,1,0]
	;; [unrolled: 1-line block ×4, first 2 shown]
	s_delay_alu instid0(VALU_DEP_4) | instskip(NEXT) | instid1(VALU_DEP_4)
	v_fma_mix_f32 v6, v17, v25, v6 op_sel:[1,1,0] op_sel_hi:[1,1,0]
	v_fma_mix_f32 v12, v19, v25, v12 op_sel:[1,1,0] op_sel_hi:[1,1,0]
	s_delay_alu instid0(VALU_DEP_4) | instskip(NEXT) | instid1(VALU_DEP_4)
	v_fma_mix_f32 v13, v21, v25, v13 op_sel:[1,1,0] op_sel_hi:[1,1,0]
	v_fma_mix_f32 v11, v23, v25, v11 op_sel:[1,1,0] op_sel_hi:[1,1,0]
	s_delay_alu instid0(VALU_DEP_4) | instskip(NEXT) | instid1(VALU_DEP_4)
	v_fma_mix_f32 v6, v18, v26, v6 op_sel_hi:[1,1,0]
	v_fma_mix_f32 v14, v20, v26, v12 op_sel_hi:[1,1,0]
	s_delay_alu instid0(VALU_DEP_4) | instskip(NEXT) | instid1(VALU_DEP_4)
	v_fma_mix_f32 v13, v22, v26, v13 op_sel_hi:[1,1,0]
	v_fma_mix_f32 v11, v24, v26, v11 op_sel_hi:[1,1,0]
	s_delay_alu instid0(VALU_DEP_4) | instskip(NEXT) | instid1(VALU_DEP_4)
	v_fma_mix_f32 v12, v18, v26, v6 op_sel:[1,1,0] op_sel_hi:[1,1,0]
	v_fma_mix_f32 v14, v20, v26, v14 op_sel:[1,1,0] op_sel_hi:[1,1,0]
	s_delay_alu instid0(VALU_DEP_4) | instskip(NEXT) | instid1(VALU_DEP_4)
	v_fma_mix_f32 v13, v22, v26, v13 op_sel:[1,1,0] op_sel_hi:[1,1,0]
	v_fma_mix_f32 v11, v24, v26, v11 op_sel:[1,1,0] op_sel_hi:[1,1,0]
	s_wait_alu 0xfffe
	s_and_not1_b32 exec_lo, exec_lo, s7
	s_cbranch_execnz .LBB90_17
; %bb.18:
	s_or_b32 exec_lo, exec_lo, s7
.LBB90_19:
	s_wait_alu 0xfffe
	s_or_b32 exec_lo, exec_lo, s6
	s_delay_alu instid0(SALU_CYCLE_1)
	s_mov_b32 s6, exec_lo
	v_cmpx_lt_u32_e32 11, v1
	s_cbranch_execz .LBB90_23
; %bb.20:
	s_mov_b32 s7, 0
.LBB90_21:                              ; =>This Inner Loop Header: Depth=1
	v_ashrrev_i32_e32 v6, 31, v5
	s_delay_alu instid0(VALU_DEP_1) | instskip(SKIP_1) | instid1(VALU_DEP_2)
	v_lshlrev_b64_e32 v[16:17], 2, v[5:6]
	v_add_nc_u32_e32 v5, 16, v5
	v_add_co_u32 v16, vcc_lo, s8, v16
	s_wait_alu 0xfffd
	s_delay_alu instid0(VALU_DEP_3)
	v_add_co_ci_u32_e64 v17, null, s9, v17, vcc_lo
	s_clause 0x3
	global_load_b32 v1, v[16:17], off
	global_load_b32 v6, v[16:17], off offset:16
	global_load_b32 v48, v[16:17], off offset:32
	;; [unrolled: 1-line block ×3, first 2 shown]
	s_clause 0x7
	global_load_b128 v[16:19], v[7:8], off
	global_load_b128 v[20:23], v[7:8], off offset:16
	global_load_b128 v[24:27], v[7:8], off offset:128
	;; [unrolled: 1-line block ×7, first 2 shown]
	s_wait_loadcnt 0xb
	v_subrev_nc_u32_e32 v1, s16, v1
	s_wait_loadcnt 0xa
	v_subrev_nc_u32_e32 v6, s16, v6
	;; [unrolled: 2-line block ×4, first 2 shown]
	v_lshlrev_b32_e32 v48, 2, v1
	v_lshlrev_b32_e32 v50, 2, v6
	;; [unrolled: 1-line block ×3, first 2 shown]
	s_delay_alu instid0(VALU_DEP_4) | instskip(NEXT) | instid1(VALU_DEP_4)
	v_lshlrev_b32_e32 v54, 2, v49
	v_ashrrev_i32_e32 v49, 31, v48
	s_delay_alu instid0(VALU_DEP_4) | instskip(NEXT) | instid1(VALU_DEP_4)
	v_ashrrev_i32_e32 v51, 31, v50
	v_ashrrev_i32_e32 v53, 31, v52
	s_delay_alu instid0(VALU_DEP_4) | instskip(NEXT) | instid1(VALU_DEP_4)
	v_ashrrev_i32_e32 v55, 31, v54
	v_lshlrev_b64_e32 v[48:49], 1, v[48:49]
	s_delay_alu instid0(VALU_DEP_4) | instskip(NEXT) | instid1(VALU_DEP_4)
	v_lshlrev_b64_e32 v[50:51], 1, v[50:51]
	v_lshlrev_b64_e32 v[52:53], 1, v[52:53]
	s_delay_alu instid0(VALU_DEP_4) | instskip(SKIP_1) | instid1(VALU_DEP_4)
	v_lshlrev_b64_e32 v[54:55], 1, v[54:55]
	s_wait_kmcnt 0x0
	v_add_co_u32 v48, vcc_lo, s4, v48
	s_wait_alu 0xfffd
	v_add_co_ci_u32_e64 v49, null, s5, v49, vcc_lo
	v_add_co_u32 v50, vcc_lo, s4, v50
	s_wait_alu 0xfffd
	v_add_co_ci_u32_e64 v51, null, s5, v51, vcc_lo
	global_load_b64 v[48:49], v[48:49], off
	v_add_co_u32 v52, vcc_lo, s4, v52
	global_load_b64 v[50:51], v[50:51], off
	s_wait_alu 0xfffd
	v_add_co_ci_u32_e64 v53, null, s5, v53, vcc_lo
	v_add_co_u32 v54, vcc_lo, s4, v54
	s_wait_alu 0xfffd
	v_add_co_ci_u32_e64 v55, null, s5, v55, vcc_lo
	global_load_b64 v[52:53], v[52:53], off
	v_add_co_u32 v7, vcc_lo, 0x200, v7
	global_load_b64 v[54:55], v[54:55], off
	s_wait_alu 0xfffd
	v_add_co_ci_u32_e64 v8, null, 0, v8, vcc_lo
	v_cmp_ge_i32_e32 vcc_lo, v5, v10
	s_wait_alu 0xfffe
	s_or_b32 s7, vcc_lo, s7
	s_wait_loadcnt 0x3
	v_fma_mix_f32 v1, v16, v48, v12 op_sel_hi:[1,1,0]
	v_fma_mix_f32 v6, v18, v48, v14 op_sel_hi:[1,1,0]
	v_fma_mix_f32 v12, v20, v48, v13 op_sel_hi:[1,1,0]
	v_fma_mix_f32 v11, v22, v48, v11 op_sel_hi:[1,1,0]
	s_delay_alu instid0(VALU_DEP_4) | instskip(NEXT) | instid1(VALU_DEP_4)
	v_fma_mix_f32 v1, v16, v48, v1 op_sel:[1,1,0] op_sel_hi:[1,1,0]
	v_fma_mix_f32 v6, v18, v48, v6 op_sel:[1,1,0] op_sel_hi:[1,1,0]
	s_delay_alu instid0(VALU_DEP_4) | instskip(NEXT) | instid1(VALU_DEP_4)
	v_fma_mix_f32 v12, v20, v48, v12 op_sel:[1,1,0] op_sel_hi:[1,1,0]
	v_fma_mix_f32 v11, v22, v48, v11 op_sel:[1,1,0] op_sel_hi:[1,1,0]
	s_delay_alu instid0(VALU_DEP_4) | instskip(NEXT) | instid1(VALU_DEP_4)
	v_fma_mix_f32 v1, v17, v49, v1 op_sel_hi:[1,1,0]
	v_fma_mix_f32 v6, v19, v49, v6 op_sel_hi:[1,1,0]
	s_delay_alu instid0(VALU_DEP_4) | instskip(NEXT) | instid1(VALU_DEP_4)
	v_fma_mix_f32 v12, v21, v49, v12 op_sel_hi:[1,1,0]
	v_fma_mix_f32 v11, v23, v49, v11 op_sel_hi:[1,1,0]
	s_delay_alu instid0(VALU_DEP_4) | instskip(NEXT) | instid1(VALU_DEP_4)
	v_fma_mix_f32 v1, v17, v49, v1 op_sel:[1,1,0] op_sel_hi:[1,1,0]
	v_fma_mix_f32 v6, v19, v49, v6 op_sel:[1,1,0] op_sel_hi:[1,1,0]
	s_delay_alu instid0(VALU_DEP_4) | instskip(NEXT) | instid1(VALU_DEP_4)
	v_fma_mix_f32 v12, v21, v49, v12 op_sel:[1,1,0] op_sel_hi:[1,1,0]
	v_fma_mix_f32 v11, v23, v49, v11 op_sel:[1,1,0] op_sel_hi:[1,1,0]
	s_wait_loadcnt 0x2
	v_fma_mix_f32 v1, v24, v50, v1 op_sel_hi:[1,1,0]
	v_fma_mix_f32 v6, v26, v50, v6 op_sel_hi:[1,1,0]
	v_fma_mix_f32 v12, v28, v50, v12 op_sel_hi:[1,1,0]
	v_fma_mix_f32 v11, v30, v50, v11 op_sel_hi:[1,1,0]
	s_delay_alu instid0(VALU_DEP_4) | instskip(NEXT) | instid1(VALU_DEP_4)
	v_fma_mix_f32 v1, v24, v50, v1 op_sel:[1,1,0] op_sel_hi:[1,1,0]
	v_fma_mix_f32 v6, v26, v50, v6 op_sel:[1,1,0] op_sel_hi:[1,1,0]
	s_delay_alu instid0(VALU_DEP_4) | instskip(NEXT) | instid1(VALU_DEP_4)
	v_fma_mix_f32 v12, v28, v50, v12 op_sel:[1,1,0] op_sel_hi:[1,1,0]
	v_fma_mix_f32 v11, v30, v50, v11 op_sel:[1,1,0] op_sel_hi:[1,1,0]
	s_delay_alu instid0(VALU_DEP_4) | instskip(NEXT) | instid1(VALU_DEP_4)
	v_fma_mix_f32 v1, v25, v51, v1 op_sel_hi:[1,1,0]
	v_fma_mix_f32 v6, v27, v51, v6 op_sel_hi:[1,1,0]
	s_delay_alu instid0(VALU_DEP_4) | instskip(NEXT) | instid1(VALU_DEP_4)
	v_fma_mix_f32 v12, v29, v51, v12 op_sel_hi:[1,1,0]
	v_fma_mix_f32 v11, v31, v51, v11 op_sel_hi:[1,1,0]
	s_delay_alu instid0(VALU_DEP_4) | instskip(NEXT) | instid1(VALU_DEP_4)
	v_fma_mix_f32 v1, v25, v51, v1 op_sel:[1,1,0] op_sel_hi:[1,1,0]
	v_fma_mix_f32 v6, v27, v51, v6 op_sel:[1,1,0] op_sel_hi:[1,1,0]
	s_delay_alu instid0(VALU_DEP_4) | instskip(NEXT) | instid1(VALU_DEP_4)
	v_fma_mix_f32 v12, v29, v51, v12 op_sel:[1,1,0] op_sel_hi:[1,1,0]
	v_fma_mix_f32 v11, v31, v51, v11 op_sel:[1,1,0] op_sel_hi:[1,1,0]
	;; [unrolled: 23-line block ×4, first 2 shown]
	s_wait_alu 0xfffe
	s_and_not1_b32 exec_lo, exec_lo, s7
	s_cbranch_execnz .LBB90_21
; %bb.22:
	s_or_b32 exec_lo, exec_lo, s7
.LBB90_23:
	s_wait_alu 0xfffe
	s_or_b32 exec_lo, exec_lo, s6
.LBB90_24:
	s_wait_alu 0xfffe
	s_or_b32 exec_lo, exec_lo, s3
	s_cbranch_execz .LBB90_26
	s_branch .LBB90_37
.LBB90_25:
                                        ; implicit-def: $vgpr11
                                        ; implicit-def: $vgpr13
                                        ; implicit-def: $vgpr14
                                        ; implicit-def: $vgpr12
.LBB90_26:
	v_dual_mov_b32 v11, 0 :: v_dual_mov_b32 v14, 0
	v_dual_mov_b32 v13, 0 :: v_dual_mov_b32 v12, 0
	s_and_saveexec_b32 s3, s2
	s_cbranch_execz .LBB90_36
; %bb.27:
	v_dual_mov_b32 v12, 0 :: v_dual_add_nc_u32 v1, v15, v9
	v_not_b32_e32 v5, v15
	v_mov_b32_e32 v13, 0
	v_mov_b32_e32 v11, 0
	s_delay_alu instid0(VALU_DEP_4) | instskip(SKIP_1) | instid1(VALU_DEP_1)
	v_subrev_nc_u32_e32 v1, s16, v1
	s_mov_b32 s2, exec_lo
	v_dual_mov_b32 v14, 0 :: v_dual_add_nc_u32 v1, 4, v1
	s_delay_alu instid0(VALU_DEP_1) | instskip(NEXT) | instid1(VALU_DEP_1)
	v_max_i32_e32 v1, v1, v10
	v_add3_u32 v1, s16, v1, v5
	s_delay_alu instid0(VALU_DEP_1) | instskip(NEXT) | instid1(VALU_DEP_1)
	v_sub_nc_u32_e32 v5, v1, v9
	v_and_b32_e32 v1, 12, v5
	s_delay_alu instid0(VALU_DEP_1)
	v_cmpx_ne_u32_e32 12, v1
	s_cbranch_execz .LBB90_31
; %bb.28:
	v_lshrrev_b32_e32 v1, 2, v5
	v_mov_b32_e32 v11, 0
	v_mov_b32_e32 v13, 0
	s_mov_b32 s6, 0
	s_delay_alu instid0(VALU_DEP_3) | instskip(NEXT) | instid1(VALU_DEP_1)
	v_dual_mov_b32 v14, 0 :: v_dual_add_nc_u32 v1, 1, v1
	v_dual_mov_b32 v12, 0 :: v_dual_and_b32 v1, 3, v1
	s_delay_alu instid0(VALU_DEP_1)
	v_sub_nc_u32_e32 v6, 0, v1
.LBB90_29:                              ; =>This Inner Loop Header: Depth=1
	v_ashrrev_i32_e32 v1, 31, v0
	s_delay_alu instid0(VALU_DEP_2) | instskip(SKIP_2) | instid1(VALU_DEP_2)
	v_add_co_u32 v6, s7, v6, 1
	s_wait_alu 0xfffe
	s_or_b32 s6, s7, s6
	v_lshlrev_b64_e32 v[7:8], 2, v[0:1]
	v_add_nc_u32_e32 v0, 4, v0
	s_delay_alu instid0(VALU_DEP_2) | instskip(SKIP_1) | instid1(VALU_DEP_3)
	v_add_co_u32 v7, vcc_lo, s8, v7
	s_wait_alu 0xfffd
	v_add_co_ci_u32_e64 v8, null, s9, v8, vcc_lo
	global_load_b32 v1, v[7:8], off
	global_load_b128 v[15:18], v[2:3], off
	s_wait_loadcnt 0x1
	v_subrev_nc_u32_e32 v1, s16, v1
	s_delay_alu instid0(VALU_DEP_1) | instskip(NEXT) | instid1(VALU_DEP_1)
	v_lshlrev_b32_e32 v7, 2, v1
	v_ashrrev_i32_e32 v8, 31, v7
	s_delay_alu instid0(VALU_DEP_1) | instskip(SKIP_1) | instid1(VALU_DEP_1)
	v_lshlrev_b64_e32 v[7:8], 1, v[7:8]
	s_wait_kmcnt 0x0
	v_add_co_u32 v7, vcc_lo, s4, v7
	s_wait_alu 0xfffd
	s_delay_alu instid0(VALU_DEP_2)
	v_add_co_ci_u32_e64 v8, null, s5, v8, vcc_lo
	global_load_b64 v[7:8], v[7:8], off
	global_load_b128 v[19:22], v[2:3], off offset:16
	v_add_co_u32 v2, vcc_lo, 0x80, v2
	s_wait_alu 0xfffd
	v_add_co_ci_u32_e64 v3, null, 0, v3, vcc_lo
	s_wait_loadcnt 0x1
	v_fma_mix_f32 v1, v15, v7, v12 op_sel_hi:[1,1,0]
	v_fma_mix_f32 v12, v15, v7, v14 op_sel:[1,0,0] op_sel_hi:[1,1,0]
	v_fma_mix_f32 v13, v16, v7, v13 op_sel_hi:[1,1,0]
	v_fma_mix_f32 v11, v16, v7, v11 op_sel:[1,0,0] op_sel_hi:[1,1,0]
	s_delay_alu instid0(VALU_DEP_4) | instskip(NEXT) | instid1(VALU_DEP_4)
	v_fma_mix_f32 v1, v17, v7, v1 op_sel:[0,1,0] op_sel_hi:[1,1,0]
	v_fma_mix_f32 v12, v17, v7, v12 op_sel:[1,1,0] op_sel_hi:[1,1,0]
	s_delay_alu instid0(VALU_DEP_4) | instskip(NEXT) | instid1(VALU_DEP_4)
	v_fma_mix_f32 v13, v18, v7, v13 op_sel:[0,1,0] op_sel_hi:[1,1,0]
	v_fma_mix_f32 v7, v18, v7, v11 op_sel:[1,1,0] op_sel_hi:[1,1,0]
	s_wait_loadcnt 0x0
	v_fma_mix_f32 v1, v19, v8, v1 op_sel_hi:[1,1,0]
	v_fma_mix_f32 v11, v19, v8, v12 op_sel:[1,0,0] op_sel_hi:[1,1,0]
	v_fma_mix_f32 v13, v20, v8, v13 op_sel_hi:[1,1,0]
	v_fma_mix_f32 v7, v20, v8, v7 op_sel:[1,0,0] op_sel_hi:[1,1,0]
	s_delay_alu instid0(VALU_DEP_4) | instskip(NEXT) | instid1(VALU_DEP_4)
	v_fma_mix_f32 v12, v21, v8, v1 op_sel:[0,1,0] op_sel_hi:[1,1,0]
	v_fma_mix_f32 v14, v21, v8, v11 op_sel:[1,1,0] op_sel_hi:[1,1,0]
	s_delay_alu instid0(VALU_DEP_4) | instskip(NEXT) | instid1(VALU_DEP_4)
	v_fma_mix_f32 v13, v22, v8, v13 op_sel:[0,1,0] op_sel_hi:[1,1,0]
	v_fma_mix_f32 v11, v22, v8, v7 op_sel:[1,1,0] op_sel_hi:[1,1,0]
	s_wait_alu 0xfffe
	s_and_not1_b32 exec_lo, exec_lo, s6
	s_cbranch_execnz .LBB90_29
; %bb.30:
	s_or_b32 exec_lo, exec_lo, s6
.LBB90_31:
	s_wait_alu 0xfffe
	s_or_b32 exec_lo, exec_lo, s2
	s_delay_alu instid0(SALU_CYCLE_1)
	s_mov_b32 s2, exec_lo
	v_cmpx_lt_u32_e32 11, v5
	s_cbranch_execz .LBB90_35
; %bb.32:
	s_mov_b32 s6, 0
.LBB90_33:                              ; =>This Inner Loop Header: Depth=1
	v_ashrrev_i32_e32 v1, 31, v0
	s_delay_alu instid0(VALU_DEP_1) | instskip(SKIP_1) | instid1(VALU_DEP_2)
	v_lshlrev_b64_e32 v[5:6], 2, v[0:1]
	v_add_nc_u32_e32 v0, 16, v0
	v_add_co_u32 v5, vcc_lo, s8, v5
	s_wait_alu 0xfffd
	s_delay_alu instid0(VALU_DEP_3)
	v_add_co_ci_u32_e64 v6, null, s9, v6, vcc_lo
	s_clause 0x3
	global_load_b32 v1, v[5:6], off
	global_load_b32 v39, v[5:6], off offset:16
	global_load_b32 v40, v[5:6], off offset:32
	;; [unrolled: 1-line block ×3, first 2 shown]
	s_clause 0x6
	global_load_b128 v[5:8], v[2:3], off
	global_load_b128 v[15:18], v[2:3], off offset:16
	global_load_b128 v[19:22], v[2:3], off offset:128
	;; [unrolled: 1-line block ×6, first 2 shown]
	s_wait_loadcnt 0xa
	v_subrev_nc_u32_e32 v1, s16, v1
	s_wait_loadcnt 0x9
	v_subrev_nc_u32_e32 v42, s16, v39
	;; [unrolled: 2-line block ×4, first 2 shown]
	v_lshlrev_b32_e32 v39, 2, v1
	v_lshlrev_b32_e32 v41, 2, v42
	;; [unrolled: 1-line block ×3, first 2 shown]
	s_delay_alu instid0(VALU_DEP_4) | instskip(NEXT) | instid1(VALU_DEP_4)
	v_lshlrev_b32_e32 v45, 2, v44
	v_ashrrev_i32_e32 v40, 31, v39
	s_delay_alu instid0(VALU_DEP_4) | instskip(NEXT) | instid1(VALU_DEP_4)
	v_ashrrev_i32_e32 v42, 31, v41
	v_ashrrev_i32_e32 v44, 31, v43
	s_delay_alu instid0(VALU_DEP_4) | instskip(NEXT) | instid1(VALU_DEP_4)
	v_ashrrev_i32_e32 v46, 31, v45
	v_lshlrev_b64_e32 v[39:40], 1, v[39:40]
	s_wait_kmcnt 0x0
	s_delay_alu instid0(VALU_DEP_1) | instskip(SKIP_1) | instid1(VALU_DEP_2)
	v_add_co_u32 v39, vcc_lo, s4, v39
	s_wait_alu 0xfffd
	v_add_co_ci_u32_e64 v40, null, s5, v40, vcc_lo
	global_load_b64 v[47:48], v[39:40], off
	v_lshlrev_b64_e32 v[39:40], 1, v[41:42]
	s_delay_alu instid0(VALU_DEP_1) | instskip(SKIP_1) | instid1(VALU_DEP_2)
	v_add_co_u32 v39, vcc_lo, s4, v39
	s_wait_alu 0xfffd
	v_add_co_ci_u32_e64 v40, null, s5, v40, vcc_lo
	global_load_b64 v[49:50], v[39:40], off
	v_lshlrev_b64_e32 v[39:40], 1, v[43:44]
	;; [unrolled: 6-line block ×3, first 2 shown]
	s_delay_alu instid0(VALU_DEP_1) | instskip(SKIP_1) | instid1(VALU_DEP_2)
	v_add_co_u32 v39, vcc_lo, s4, v39
	s_wait_alu 0xfffd
	v_add_co_ci_u32_e64 v40, null, s5, v40, vcc_lo
	global_load_b64 v[45:46], v[39:40], off
	global_load_b128 v[39:42], v[2:3], off offset:400
	v_add_co_u32 v2, vcc_lo, 0x200, v2
	s_wait_alu 0xfffd
	v_add_co_ci_u32_e64 v3, null, 0, v3, vcc_lo
	v_cmp_ge_i32_e32 vcc_lo, v0, v10
	s_wait_alu 0xfffe
	s_or_b32 s6, vcc_lo, s6
	s_wait_loadcnt 0x4
	v_fma_mix_f32 v1, v5, v47, v12 op_sel_hi:[1,1,0]
	v_fma_mix_f32 v5, v5, v47, v14 op_sel:[1,0,0] op_sel_hi:[1,1,0]
	v_fma_mix_f32 v12, v6, v47, v13 op_sel_hi:[1,1,0]
	v_fma_mix_f32 v6, v6, v47, v11 op_sel:[1,0,0] op_sel_hi:[1,1,0]
	s_delay_alu instid0(VALU_DEP_4) | instskip(NEXT) | instid1(VALU_DEP_4)
	v_fma_mix_f32 v1, v7, v47, v1 op_sel:[0,1,0] op_sel_hi:[1,1,0]
	v_fma_mix_f32 v5, v7, v47, v5 op_sel:[1,1,0] op_sel_hi:[1,1,0]
	s_delay_alu instid0(VALU_DEP_4) | instskip(NEXT) | instid1(VALU_DEP_4)
	v_fma_mix_f32 v7, v8, v47, v12 op_sel:[0,1,0] op_sel_hi:[1,1,0]
	v_fma_mix_f32 v6, v8, v47, v6 op_sel:[1,1,0] op_sel_hi:[1,1,0]
	s_delay_alu instid0(VALU_DEP_4) | instskip(NEXT) | instid1(VALU_DEP_4)
	v_fma_mix_f32 v1, v15, v48, v1 op_sel_hi:[1,1,0]
	v_fma_mix_f32 v5, v15, v48, v5 op_sel:[1,0,0] op_sel_hi:[1,1,0]
	s_delay_alu instid0(VALU_DEP_4) | instskip(NEXT) | instid1(VALU_DEP_4)
	v_fma_mix_f32 v7, v16, v48, v7 op_sel_hi:[1,1,0]
	v_fma_mix_f32 v6, v16, v48, v6 op_sel:[1,0,0] op_sel_hi:[1,1,0]
	s_delay_alu instid0(VALU_DEP_4) | instskip(NEXT) | instid1(VALU_DEP_4)
	v_fma_mix_f32 v1, v17, v48, v1 op_sel:[0,1,0] op_sel_hi:[1,1,0]
	v_fma_mix_f32 v5, v17, v48, v5 op_sel:[1,1,0] op_sel_hi:[1,1,0]
	s_delay_alu instid0(VALU_DEP_4) | instskip(NEXT) | instid1(VALU_DEP_4)
	v_fma_mix_f32 v7, v18, v48, v7 op_sel:[0,1,0] op_sel_hi:[1,1,0]
	v_fma_mix_f32 v6, v18, v48, v6 op_sel:[1,1,0] op_sel_hi:[1,1,0]
	s_wait_loadcnt 0x3
	v_fma_mix_f32 v1, v19, v49, v1 op_sel_hi:[1,1,0]
	v_fma_mix_f32 v5, v19, v49, v5 op_sel:[1,0,0] op_sel_hi:[1,1,0]
	v_fma_mix_f32 v7, v20, v49, v7 op_sel_hi:[1,1,0]
	v_fma_mix_f32 v6, v20, v49, v6 op_sel:[1,0,0] op_sel_hi:[1,1,0]
	s_delay_alu instid0(VALU_DEP_4) | instskip(NEXT) | instid1(VALU_DEP_4)
	v_fma_mix_f32 v1, v21, v49, v1 op_sel:[0,1,0] op_sel_hi:[1,1,0]
	v_fma_mix_f32 v5, v21, v49, v5 op_sel:[1,1,0] op_sel_hi:[1,1,0]
	s_delay_alu instid0(VALU_DEP_4) | instskip(NEXT) | instid1(VALU_DEP_4)
	v_fma_mix_f32 v7, v22, v49, v7 op_sel:[0,1,0] op_sel_hi:[1,1,0]
	v_fma_mix_f32 v6, v22, v49, v6 op_sel:[1,1,0] op_sel_hi:[1,1,0]
	s_delay_alu instid0(VALU_DEP_4) | instskip(NEXT) | instid1(VALU_DEP_4)
	v_fma_mix_f32 v1, v23, v50, v1 op_sel_hi:[1,1,0]
	v_fma_mix_f32 v5, v23, v50, v5 op_sel:[1,0,0] op_sel_hi:[1,1,0]
	s_delay_alu instid0(VALU_DEP_4) | instskip(NEXT) | instid1(VALU_DEP_4)
	v_fma_mix_f32 v7, v24, v50, v7 op_sel_hi:[1,1,0]
	v_fma_mix_f32 v6, v24, v50, v6 op_sel:[1,0,0] op_sel_hi:[1,1,0]
	s_delay_alu instid0(VALU_DEP_4) | instskip(NEXT) | instid1(VALU_DEP_4)
	v_fma_mix_f32 v1, v25, v50, v1 op_sel:[0,1,0] op_sel_hi:[1,1,0]
	v_fma_mix_f32 v5, v25, v50, v5 op_sel:[1,1,0] op_sel_hi:[1,1,0]
	s_delay_alu instid0(VALU_DEP_4) | instskip(NEXT) | instid1(VALU_DEP_4)
	v_fma_mix_f32 v7, v26, v50, v7 op_sel:[0,1,0] op_sel_hi:[1,1,0]
	v_fma_mix_f32 v6, v26, v50, v6 op_sel:[1,1,0] op_sel_hi:[1,1,0]
	;; [unrolled: 23-line block ×3, first 2 shown]
	s_wait_loadcnt 0x1
	v_fma_mix_f32 v1, v35, v45, v1 op_sel_hi:[1,1,0]
	v_fma_mix_f32 v5, v35, v45, v5 op_sel:[1,0,0] op_sel_hi:[1,1,0]
	v_fma_mix_f32 v7, v36, v45, v7 op_sel_hi:[1,1,0]
	v_fma_mix_f32 v6, v36, v45, v6 op_sel:[1,0,0] op_sel_hi:[1,1,0]
	s_delay_alu instid0(VALU_DEP_4) | instskip(NEXT) | instid1(VALU_DEP_4)
	v_fma_mix_f32 v1, v37, v45, v1 op_sel:[0,1,0] op_sel_hi:[1,1,0]
	v_fma_mix_f32 v5, v37, v45, v5 op_sel:[1,1,0] op_sel_hi:[1,1,0]
	s_delay_alu instid0(VALU_DEP_4) | instskip(NEXT) | instid1(VALU_DEP_4)
	v_fma_mix_f32 v7, v38, v45, v7 op_sel:[0,1,0] op_sel_hi:[1,1,0]
	v_fma_mix_f32 v6, v38, v45, v6 op_sel:[1,1,0] op_sel_hi:[1,1,0]
	s_wait_loadcnt 0x0
	v_fma_mix_f32 v1, v39, v46, v1 op_sel_hi:[1,1,0]
	v_fma_mix_f32 v5, v39, v46, v5 op_sel:[1,0,0] op_sel_hi:[1,1,0]
	v_fma_mix_f32 v7, v40, v46, v7 op_sel_hi:[1,1,0]
	v_fma_mix_f32 v6, v40, v46, v6 op_sel:[1,0,0] op_sel_hi:[1,1,0]
	s_delay_alu instid0(VALU_DEP_4) | instskip(NEXT) | instid1(VALU_DEP_4)
	v_fma_mix_f32 v12, v41, v46, v1 op_sel:[0,1,0] op_sel_hi:[1,1,0]
	v_fma_mix_f32 v14, v41, v46, v5 op_sel:[1,1,0] op_sel_hi:[1,1,0]
	s_delay_alu instid0(VALU_DEP_4) | instskip(NEXT) | instid1(VALU_DEP_4)
	v_fma_mix_f32 v13, v42, v46, v7 op_sel:[0,1,0] op_sel_hi:[1,1,0]
	v_fma_mix_f32 v11, v42, v46, v6 op_sel:[1,1,0] op_sel_hi:[1,1,0]
	s_wait_alu 0xfffe
	s_and_not1_b32 exec_lo, exec_lo, s6
	s_cbranch_execnz .LBB90_33
; %bb.34:
	s_or_b32 exec_lo, exec_lo, s6
.LBB90_35:
	s_wait_alu 0xfffe
	s_or_b32 exec_lo, exec_lo, s2
.LBB90_36:
	s_wait_alu 0xfffe
	s_or_b32 exec_lo, exec_lo, s3
.LBB90_37:
	v_mbcnt_lo_u32_b32 v0, -1, 0
	s_mov_b32 s2, -1
	s_delay_alu instid0(VALU_DEP_1) | instskip(NEXT) | instid1(VALU_DEP_1)
	v_xor_b32_e32 v1, 2, v0
	v_cmp_gt_i32_e32 vcc_lo, 32, v1
	s_wait_alu 0xfffd
	v_cndmask_b32_e32 v1, v0, v1, vcc_lo
	s_delay_alu instid0(VALU_DEP_1)
	v_lshlrev_b32_e32 v1, 2, v1
	ds_bpermute_b32 v2, v1, v12
	ds_bpermute_b32 v3, v1, v14
	;; [unrolled: 1-line block ×4, first 2 shown]
	v_xor_b32_e32 v1, 1, v0
	s_delay_alu instid0(VALU_DEP_1) | instskip(SKIP_4) | instid1(VALU_DEP_2)
	v_cmp_gt_i32_e32 vcc_lo, 32, v1
	s_wait_alu 0xfffd
	v_cndmask_b32_e32 v0, v0, v1, vcc_lo
	v_cmp_eq_u32_e32 vcc_lo, 3, v9
	s_wait_dscnt 0x2
	v_dual_add_f32 v1, v14, v3 :: v_dual_lshlrev_b32 v8, 2, v0
	v_add_f32_e32 v0, v12, v2
	s_wait_dscnt 0x0
	v_dual_add_f32 v2, v13, v5 :: v_dual_add_f32 v3, v11, v6
	ds_bpermute_b32 v6, v8, v1
	ds_bpermute_b32 v5, v8, v0
	;; [unrolled: 1-line block ×4, first 2 shown]
	s_and_b32 exec_lo, exec_lo, vcc_lo
	s_cbranch_execz .LBB90_10
; %bb.38:
	s_load_b64 s[0:1], s[0:1], 0x50
	s_wait_dscnt 0x2
	v_dual_add_f32 v0, v0, v5 :: v_dual_add_f32 v1, v1, v6
	s_wait_dscnt 0x0
	v_dual_add_f32 v2, v2, v7 :: v_dual_add_f32 v3, v3, v8
	v_lshlrev_b32_e32 v4, 2, v4
	s_delay_alu instid0(VALU_DEP_3) | instskip(NEXT) | instid1(VALU_DEP_3)
	v_dual_mul_f32 v0, s14, v0 :: v_dual_mul_f32 v1, s14, v1
	v_dual_mul_f32 v2, s14, v2 :: v_dual_mul_f32 v3, s14, v3
	s_cmp_eq_f32 s12, 0
	s_cbranch_scc0 .LBB90_40
; %bb.39:
	v_ashrrev_i32_e32 v5, 31, v4
	s_mov_b32 s2, 0
	s_delay_alu instid0(VALU_DEP_1) | instskip(SKIP_1) | instid1(VALU_DEP_1)
	v_lshlrev_b64_e32 v[5:6], 2, v[4:5]
	s_wait_kmcnt 0x0
	v_add_co_u32 v5, vcc_lo, s0, v5
	s_wait_alu 0xfffd
	s_delay_alu instid0(VALU_DEP_2)
	v_add_co_ci_u32_e64 v6, null, s1, v6, vcc_lo
	global_store_b128 v[5:6], v[0:3], off
.LBB90_40:
	s_wait_alu 0xfffe
	s_and_not1_b32 vcc_lo, exec_lo, s2
	s_wait_alu 0xfffe
	s_cbranch_vccnz .LBB90_10
; %bb.41:
	v_ashrrev_i32_e32 v5, 31, v4
	s_delay_alu instid0(VALU_DEP_1) | instskip(SKIP_1) | instid1(VALU_DEP_1)
	v_lshlrev_b64_e32 v[4:5], 2, v[4:5]
	s_wait_kmcnt 0x0
	v_add_co_u32 v8, vcc_lo, s0, v4
	s_wait_alu 0xfffd
	s_delay_alu instid0(VALU_DEP_2)
	v_add_co_ci_u32_e64 v9, null, s1, v5, vcc_lo
	global_load_b128 v[4:7], v[8:9], off
	s_wait_loadcnt 0x0
	v_dual_fmac_f32 v0, s12, v4 :: v_dual_fmac_f32 v1, s12, v5
	v_dual_fmac_f32 v2, s12, v6 :: v_dual_fmac_f32 v3, s12, v7
	global_store_b128 v[8:9], v[0:3], off
	s_endpgm
	.section	.rodata,"a",@progbits
	.p2align	6, 0x0
	.amdhsa_kernel _ZN9rocsparseL18bsrxmvn_4x4_kernelILj128ELj4EfiiDF16_DF16_fEEvT3_20rocsparse_direction_NS_24const_host_device_scalarIT1_EES1_PKS1_PKT2_SA_S7_PKT4_PKT5_S5_PT6_21rocsparse_index_base_b
		.amdhsa_group_segment_fixed_size 0
		.amdhsa_private_segment_fixed_size 0
		.amdhsa_kernarg_size 96
		.amdhsa_user_sgpr_count 2
		.amdhsa_user_sgpr_dispatch_ptr 0
		.amdhsa_user_sgpr_queue_ptr 0
		.amdhsa_user_sgpr_kernarg_segment_ptr 1
		.amdhsa_user_sgpr_dispatch_id 0
		.amdhsa_user_sgpr_private_segment_size 0
		.amdhsa_wavefront_size32 1
		.amdhsa_uses_dynamic_stack 0
		.amdhsa_enable_private_segment 0
		.amdhsa_system_sgpr_workgroup_id_x 1
		.amdhsa_system_sgpr_workgroup_id_y 0
		.amdhsa_system_sgpr_workgroup_id_z 0
		.amdhsa_system_sgpr_workgroup_info 0
		.amdhsa_system_vgpr_workitem_id 0
		.amdhsa_next_free_vgpr 56
		.amdhsa_next_free_sgpr 18
		.amdhsa_reserve_vcc 1
		.amdhsa_float_round_mode_32 0
		.amdhsa_float_round_mode_16_64 0
		.amdhsa_float_denorm_mode_32 3
		.amdhsa_float_denorm_mode_16_64 3
		.amdhsa_fp16_overflow 0
		.amdhsa_workgroup_processor_mode 1
		.amdhsa_memory_ordered 1
		.amdhsa_forward_progress 1
		.amdhsa_inst_pref_size 34
		.amdhsa_round_robin_scheduling 0
		.amdhsa_exception_fp_ieee_invalid_op 0
		.amdhsa_exception_fp_denorm_src 0
		.amdhsa_exception_fp_ieee_div_zero 0
		.amdhsa_exception_fp_ieee_overflow 0
		.amdhsa_exception_fp_ieee_underflow 0
		.amdhsa_exception_fp_ieee_inexact 0
		.amdhsa_exception_int_div_zero 0
	.end_amdhsa_kernel
	.section	.text._ZN9rocsparseL18bsrxmvn_4x4_kernelILj128ELj4EfiiDF16_DF16_fEEvT3_20rocsparse_direction_NS_24const_host_device_scalarIT1_EES1_PKS1_PKT2_SA_S7_PKT4_PKT5_S5_PT6_21rocsparse_index_base_b,"axG",@progbits,_ZN9rocsparseL18bsrxmvn_4x4_kernelILj128ELj4EfiiDF16_DF16_fEEvT3_20rocsparse_direction_NS_24const_host_device_scalarIT1_EES1_PKS1_PKT2_SA_S7_PKT4_PKT5_S5_PT6_21rocsparse_index_base_b,comdat
.Lfunc_end90:
	.size	_ZN9rocsparseL18bsrxmvn_4x4_kernelILj128ELj4EfiiDF16_DF16_fEEvT3_20rocsparse_direction_NS_24const_host_device_scalarIT1_EES1_PKS1_PKT2_SA_S7_PKT4_PKT5_S5_PT6_21rocsparse_index_base_b, .Lfunc_end90-_ZN9rocsparseL18bsrxmvn_4x4_kernelILj128ELj4EfiiDF16_DF16_fEEvT3_20rocsparse_direction_NS_24const_host_device_scalarIT1_EES1_PKS1_PKT2_SA_S7_PKT4_PKT5_S5_PT6_21rocsparse_index_base_b
                                        ; -- End function
	.set _ZN9rocsparseL18bsrxmvn_4x4_kernelILj128ELj4EfiiDF16_DF16_fEEvT3_20rocsparse_direction_NS_24const_host_device_scalarIT1_EES1_PKS1_PKT2_SA_S7_PKT4_PKT5_S5_PT6_21rocsparse_index_base_b.num_vgpr, 56
	.set _ZN9rocsparseL18bsrxmvn_4x4_kernelILj128ELj4EfiiDF16_DF16_fEEvT3_20rocsparse_direction_NS_24const_host_device_scalarIT1_EES1_PKS1_PKT2_SA_S7_PKT4_PKT5_S5_PT6_21rocsparse_index_base_b.num_agpr, 0
	.set _ZN9rocsparseL18bsrxmvn_4x4_kernelILj128ELj4EfiiDF16_DF16_fEEvT3_20rocsparse_direction_NS_24const_host_device_scalarIT1_EES1_PKS1_PKT2_SA_S7_PKT4_PKT5_S5_PT6_21rocsparse_index_base_b.numbered_sgpr, 18
	.set _ZN9rocsparseL18bsrxmvn_4x4_kernelILj128ELj4EfiiDF16_DF16_fEEvT3_20rocsparse_direction_NS_24const_host_device_scalarIT1_EES1_PKS1_PKT2_SA_S7_PKT4_PKT5_S5_PT6_21rocsparse_index_base_b.num_named_barrier, 0
	.set _ZN9rocsparseL18bsrxmvn_4x4_kernelILj128ELj4EfiiDF16_DF16_fEEvT3_20rocsparse_direction_NS_24const_host_device_scalarIT1_EES1_PKS1_PKT2_SA_S7_PKT4_PKT5_S5_PT6_21rocsparse_index_base_b.private_seg_size, 0
	.set _ZN9rocsparseL18bsrxmvn_4x4_kernelILj128ELj4EfiiDF16_DF16_fEEvT3_20rocsparse_direction_NS_24const_host_device_scalarIT1_EES1_PKS1_PKT2_SA_S7_PKT4_PKT5_S5_PT6_21rocsparse_index_base_b.uses_vcc, 1
	.set _ZN9rocsparseL18bsrxmvn_4x4_kernelILj128ELj4EfiiDF16_DF16_fEEvT3_20rocsparse_direction_NS_24const_host_device_scalarIT1_EES1_PKS1_PKT2_SA_S7_PKT4_PKT5_S5_PT6_21rocsparse_index_base_b.uses_flat_scratch, 0
	.set _ZN9rocsparseL18bsrxmvn_4x4_kernelILj128ELj4EfiiDF16_DF16_fEEvT3_20rocsparse_direction_NS_24const_host_device_scalarIT1_EES1_PKS1_PKT2_SA_S7_PKT4_PKT5_S5_PT6_21rocsparse_index_base_b.has_dyn_sized_stack, 0
	.set _ZN9rocsparseL18bsrxmvn_4x4_kernelILj128ELj4EfiiDF16_DF16_fEEvT3_20rocsparse_direction_NS_24const_host_device_scalarIT1_EES1_PKS1_PKT2_SA_S7_PKT4_PKT5_S5_PT6_21rocsparse_index_base_b.has_recursion, 0
	.set _ZN9rocsparseL18bsrxmvn_4x4_kernelILj128ELj4EfiiDF16_DF16_fEEvT3_20rocsparse_direction_NS_24const_host_device_scalarIT1_EES1_PKS1_PKT2_SA_S7_PKT4_PKT5_S5_PT6_21rocsparse_index_base_b.has_indirect_call, 0
	.section	.AMDGPU.csdata,"",@progbits
; Kernel info:
; codeLenInByte = 4280
; TotalNumSgprs: 20
; NumVgprs: 56
; ScratchSize: 0
; MemoryBound: 0
; FloatMode: 240
; IeeeMode: 1
; LDSByteSize: 0 bytes/workgroup (compile time only)
; SGPRBlocks: 0
; VGPRBlocks: 6
; NumSGPRsForWavesPerEU: 20
; NumVGPRsForWavesPerEU: 56
; Occupancy: 16
; WaveLimiterHint : 1
; COMPUTE_PGM_RSRC2:SCRATCH_EN: 0
; COMPUTE_PGM_RSRC2:USER_SGPR: 2
; COMPUTE_PGM_RSRC2:TRAP_HANDLER: 0
; COMPUTE_PGM_RSRC2:TGID_X_EN: 1
; COMPUTE_PGM_RSRC2:TGID_Y_EN: 0
; COMPUTE_PGM_RSRC2:TGID_Z_EN: 0
; COMPUTE_PGM_RSRC2:TIDIG_COMP_CNT: 0
	.section	.text._ZN9rocsparseL18bsrxmvn_4x4_kernelILj128ELj8EfiiDF16_DF16_fEEvT3_20rocsparse_direction_NS_24const_host_device_scalarIT1_EES1_PKS1_PKT2_SA_S7_PKT4_PKT5_S5_PT6_21rocsparse_index_base_b,"axG",@progbits,_ZN9rocsparseL18bsrxmvn_4x4_kernelILj128ELj8EfiiDF16_DF16_fEEvT3_20rocsparse_direction_NS_24const_host_device_scalarIT1_EES1_PKS1_PKT2_SA_S7_PKT4_PKT5_S5_PT6_21rocsparse_index_base_b,comdat
	.globl	_ZN9rocsparseL18bsrxmvn_4x4_kernelILj128ELj8EfiiDF16_DF16_fEEvT3_20rocsparse_direction_NS_24const_host_device_scalarIT1_EES1_PKS1_PKT2_SA_S7_PKT4_PKT5_S5_PT6_21rocsparse_index_base_b ; -- Begin function _ZN9rocsparseL18bsrxmvn_4x4_kernelILj128ELj8EfiiDF16_DF16_fEEvT3_20rocsparse_direction_NS_24const_host_device_scalarIT1_EES1_PKS1_PKT2_SA_S7_PKT4_PKT5_S5_PT6_21rocsparse_index_base_b
	.p2align	8
	.type	_ZN9rocsparseL18bsrxmvn_4x4_kernelILj128ELj8EfiiDF16_DF16_fEEvT3_20rocsparse_direction_NS_24const_host_device_scalarIT1_EES1_PKS1_PKT2_SA_S7_PKT4_PKT5_S5_PT6_21rocsparse_index_base_b,@function
_ZN9rocsparseL18bsrxmvn_4x4_kernelILj128ELj8EfiiDF16_DF16_fEEvT3_20rocsparse_direction_NS_24const_host_device_scalarIT1_EES1_PKS1_PKT2_SA_S7_PKT4_PKT5_S5_PT6_21rocsparse_index_base_b: ; @_ZN9rocsparseL18bsrxmvn_4x4_kernelILj128ELj8EfiiDF16_DF16_fEEvT3_20rocsparse_direction_NS_24const_host_device_scalarIT1_EES1_PKS1_PKT2_SA_S7_PKT4_PKT5_S5_PT6_21rocsparse_index_base_b
; %bb.0:
	s_clause 0x2
	s_load_b64 s[16:17], s[0:1], 0x58
	s_load_b64 s[14:15], s[0:1], 0x8
	;; [unrolled: 1-line block ×3, first 2 shown]
	s_wait_kmcnt 0x0
	s_bitcmp1_b32 s17, 0
	s_cselect_b32 s2, -1, 0
	s_delay_alu instid0(SALU_CYCLE_1)
	s_and_b32 vcc_lo, exec_lo, s2
	s_xor_b32 s2, s2, -1
	s_cbranch_vccnz .LBB91_2
; %bb.1:
	s_load_b32 s14, s[14:15], 0x0
.LBB91_2:
	s_and_not1_b32 vcc_lo, exec_lo, s2
	s_cbranch_vccnz .LBB91_4
; %bb.3:
	s_load_b32 s12, s[12:13], 0x0
.LBB91_4:
	s_wait_kmcnt 0x0
	s_cmp_neq_f32 s14, 0
	s_mov_b32 s6, 0
	s_cselect_b32 s2, -1, 0
	s_cmp_neq_f32 s12, 1.0
	s_cselect_b32 s3, -1, 0
	s_delay_alu instid0(SALU_CYCLE_1) | instskip(NEXT) | instid1(SALU_CYCLE_1)
	s_or_b32 s2, s2, s3
	s_and_not1_b32 vcc_lo, exec_lo, s2
	s_cbranch_vccnz .LBB91_10
; %bb.5:
	s_clause 0x1
	s_load_b64 s[4:5], s[0:1], 0x18
	s_load_b64 s[2:3], s[0:1], 0x0
	v_lshrrev_b32_e32 v1, 3, v0
	s_delay_alu instid0(VALU_DEP_1)
	v_lshl_or_b32 v4, ttmp9, 4, v1
	s_wait_kmcnt 0x0
	s_cmp_lg_u64 s[4:5], 0
	s_cbranch_scc0 .LBB91_11
; %bb.6:
	s_load_b32 s6, s[0:1], 0x10
	s_mov_b32 s7, 0
                                        ; implicit-def: $vgpr1
	s_wait_kmcnt 0x0
	v_cmp_gt_i32_e32 vcc_lo, s6, v4
	s_mov_b32 s6, 0
	s_and_saveexec_b32 s8, vcc_lo
	s_delay_alu instid0(SALU_CYCLE_1)
	s_xor_b32 s8, exec_lo, s8
	s_cbranch_execz .LBB91_8
; %bb.7:
	v_ashrrev_i32_e32 v5, 31, v4
	s_mov_b32 s6, exec_lo
	s_delay_alu instid0(VALU_DEP_1) | instskip(NEXT) | instid1(VALU_DEP_1)
	v_lshlrev_b64_e32 v[1:2], 2, v[4:5]
	v_add_co_u32 v1, vcc_lo, s4, v1
	s_delay_alu instid0(VALU_DEP_1)
	v_add_co_ci_u32_e64 v2, null, s5, v2, vcc_lo
	global_load_b32 v1, v[1:2], off
	s_wait_loadcnt 0x0
	v_subrev_nc_u32_e32 v1, s16, v1
.LBB91_8:
	s_or_b32 exec_lo, exec_lo, s8
	s_delay_alu instid0(SALU_CYCLE_1)
	s_and_b32 vcc_lo, exec_lo, s7
	s_wait_alu 0xfffe
	s_cbranch_vccz .LBB91_12
.LBB91_9:
	v_cmp_gt_i32_e32 vcc_lo, s2, v4
	s_and_not1_b32 s2, s6, exec_lo
	s_and_b32 s4, vcc_lo, exec_lo
	s_wait_alu 0xfffe
	s_or_b32 s6, s2, s4
	s_wait_alu 0xfffe
	s_and_saveexec_b32 s2, s6
	s_cbranch_execnz .LBB91_13
.LBB91_10:
	s_endpgm
.LBB91_11:
                                        ; implicit-def: $vgpr1
	s_cbranch_execnz .LBB91_9
.LBB91_12:
	v_mov_b32_e32 v4, v1
	s_and_saveexec_b32 s2, s6
	s_cbranch_execz .LBB91_10
.LBB91_13:
	s_load_b256 s[4:11], s[0:1], 0x20
	s_delay_alu instid0(VALU_DEP_1) | instskip(SKIP_1) | instid1(VALU_DEP_2)
	v_ashrrev_i32_e32 v5, 31, v4
	v_and_b32_e32 v9, 7, v0
	v_lshlrev_b64_e32 v[1:2], 2, v[4:5]
	s_wait_kmcnt 0x0
	s_delay_alu instid0(VALU_DEP_1) | instskip(SKIP_1) | instid1(VALU_DEP_2)
	v_add_co_u32 v5, vcc_lo, s4, v1
	s_wait_alu 0xfffd
	v_add_co_ci_u32_e64 v6, null, s5, v2, vcc_lo
	v_add_co_u32 v1, vcc_lo, s6, v1
	s_wait_alu 0xfffd
	v_add_co_ci_u32_e64 v2, null, s7, v2, vcc_lo
	global_load_b32 v15, v[5:6], off
	v_add_co_u32 v3, vcc_lo, v5, 4
	s_wait_alu 0xfffd
	v_add_co_ci_u32_e64 v5, null, 0, v6, vcc_lo
	s_cmp_eq_u64 s[6:7], 0
	s_load_b64 s[4:5], s[0:1], 0x40
	s_cselect_b32 vcc_lo, -1, 0
	s_cmp_eq_u32 s3, 1
	s_wait_alu 0xfffe
	v_dual_cndmask_b32 v2, v2, v5 :: v_dual_cndmask_b32 v1, v1, v3
	global_load_b32 v5, v[1:2], off
	s_wait_loadcnt 0x1
	v_subrev_nc_u32_e32 v0, s16, v15
	s_delay_alu instid0(VALU_DEP_1) | instskip(NEXT) | instid1(VALU_DEP_1)
	v_add_nc_u32_e32 v0, v0, v9
	v_ashrrev_i32_e32 v1, 31, v0
	s_wait_loadcnt 0x0
	v_subrev_nc_u32_e32 v10, s16, v5
	s_delay_alu instid0(VALU_DEP_2) | instskip(NEXT) | instid1(VALU_DEP_2)
	v_lshlrev_b64_e32 v[2:3], 5, v[0:1]
	v_cmp_lt_i32_e64 s2, v0, v10
	s_delay_alu instid0(VALU_DEP_2) | instskip(SKIP_1) | instid1(VALU_DEP_3)
	v_add_co_u32 v2, vcc_lo, s10, v2
	s_wait_alu 0xfffd
	v_add_co_ci_u32_e64 v3, null, s11, v3, vcc_lo
	s_cbranch_scc1 .LBB91_25
; %bb.14:
	v_dual_mov_b32 v11, 0 :: v_dual_mov_b32 v14, 0
	v_dual_mov_b32 v13, 0 :: v_dual_mov_b32 v12, 0
	s_and_saveexec_b32 s3, s2
	s_cbranch_execz .LBB91_24
; %bb.15:
	v_dual_mov_b32 v12, 0 :: v_dual_add_nc_u32 v1, v15, v9
	v_not_b32_e32 v5, v15
	v_dual_mov_b32 v11, 0 :: v_dual_mov_b32 v8, v3
	s_delay_alu instid0(VALU_DEP_3) | instskip(SKIP_3) | instid1(VALU_DEP_3)
	v_subrev_nc_u32_e32 v1, s16, v1
	v_mov_b32_e32 v7, v2
	s_mov_b32 s6, exec_lo
	v_dual_mov_b32 v14, 0 :: v_dual_mov_b32 v13, 0
	v_add_nc_u32_e32 v1, 8, v1
	s_delay_alu instid0(VALU_DEP_1) | instskip(NEXT) | instid1(VALU_DEP_1)
	v_max_i32_e32 v1, v1, v10
	v_add3_u32 v1, s16, v1, v5
	v_mov_b32_e32 v5, v0
	s_delay_alu instid0(VALU_DEP_2) | instskip(NEXT) | instid1(VALU_DEP_1)
	v_sub_nc_u32_e32 v1, v1, v9
	v_and_b32_e32 v6, 24, v1
	s_delay_alu instid0(VALU_DEP_1)
	v_cmpx_ne_u32_e32 24, v6
	s_cbranch_execz .LBB91_19
; %bb.16:
	v_lshrrev_b32_e32 v5, 3, v1
	v_mov_b32_e32 v13, 0
	s_mov_b32 s7, 0
	v_dual_mov_b32 v8, v3 :: v_dual_mov_b32 v7, v2
	s_delay_alu instid0(VALU_DEP_3) | instskip(SKIP_1) | instid1(VALU_DEP_2)
	v_dual_mov_b32 v14, 0 :: v_dual_add_nc_u32 v5, 1, v5
	v_dual_mov_b32 v11, 0 :: v_dual_mov_b32 v12, 0
	v_dual_mov_b32 v5, v0 :: v_dual_and_b32 v6, 3, v5
	s_delay_alu instid0(VALU_DEP_1)
	v_sub_nc_u32_e32 v16, 0, v6
.LBB91_17:                              ; =>This Inner Loop Header: Depth=1
	s_delay_alu instid0(VALU_DEP_2) | instskip(NEXT) | instid1(VALU_DEP_2)
	v_ashrrev_i32_e32 v6, 31, v5
	v_add_co_u32 v16, s10, v16, 1
	s_wait_alu 0xfffe
	s_or_b32 s7, s10, s7
	s_delay_alu instid0(VALU_DEP_2) | instskip(SKIP_1) | instid1(VALU_DEP_2)
	v_lshlrev_b64_e32 v[17:18], 2, v[5:6]
	v_add_nc_u32_e32 v5, 8, v5
	v_add_co_u32 v17, vcc_lo, s8, v17
	s_wait_alu 0xfffd
	s_delay_alu instid0(VALU_DEP_3)
	v_add_co_ci_u32_e64 v18, null, s9, v18, vcc_lo
	global_load_b32 v6, v[17:18], off
	s_clause 0x1
	global_load_b128 v[17:20], v[7:8], off
	global_load_b128 v[21:24], v[7:8], off offset:16
	s_wait_loadcnt 0x2
	v_subrev_nc_u32_e32 v6, s16, v6
	s_delay_alu instid0(VALU_DEP_1) | instskip(NEXT) | instid1(VALU_DEP_1)
	v_lshlrev_b32_e32 v25, 2, v6
	v_ashrrev_i32_e32 v26, 31, v25
	s_delay_alu instid0(VALU_DEP_1) | instskip(SKIP_1) | instid1(VALU_DEP_1)
	v_lshlrev_b64_e32 v[25:26], 1, v[25:26]
	s_wait_kmcnt 0x0
	v_add_co_u32 v25, vcc_lo, s4, v25
	s_wait_alu 0xfffd
	s_delay_alu instid0(VALU_DEP_2)
	v_add_co_ci_u32_e64 v26, null, s5, v26, vcc_lo
	v_add_co_u32 v7, vcc_lo, 0x100, v7
	s_wait_alu 0xfffd
	v_add_co_ci_u32_e64 v8, null, 0, v8, vcc_lo
	global_load_b64 v[25:26], v[25:26], off
	s_wait_loadcnt 0x0
	v_fma_mix_f32 v6, v17, v25, v12 op_sel_hi:[1,1,0]
	v_fma_mix_f32 v12, v19, v25, v14 op_sel_hi:[1,1,0]
	;; [unrolled: 1-line block ×4, first 2 shown]
	s_delay_alu instid0(VALU_DEP_4) | instskip(NEXT) | instid1(VALU_DEP_4)
	v_fma_mix_f32 v6, v17, v25, v6 op_sel:[1,1,0] op_sel_hi:[1,1,0]
	v_fma_mix_f32 v12, v19, v25, v12 op_sel:[1,1,0] op_sel_hi:[1,1,0]
	s_delay_alu instid0(VALU_DEP_4) | instskip(NEXT) | instid1(VALU_DEP_4)
	v_fma_mix_f32 v13, v21, v25, v13 op_sel:[1,1,0] op_sel_hi:[1,1,0]
	v_fma_mix_f32 v11, v23, v25, v11 op_sel:[1,1,0] op_sel_hi:[1,1,0]
	s_delay_alu instid0(VALU_DEP_4) | instskip(NEXT) | instid1(VALU_DEP_4)
	v_fma_mix_f32 v6, v18, v26, v6 op_sel_hi:[1,1,0]
	v_fma_mix_f32 v14, v20, v26, v12 op_sel_hi:[1,1,0]
	s_delay_alu instid0(VALU_DEP_4) | instskip(NEXT) | instid1(VALU_DEP_4)
	v_fma_mix_f32 v13, v22, v26, v13 op_sel_hi:[1,1,0]
	v_fma_mix_f32 v11, v24, v26, v11 op_sel_hi:[1,1,0]
	s_delay_alu instid0(VALU_DEP_4) | instskip(NEXT) | instid1(VALU_DEP_4)
	v_fma_mix_f32 v12, v18, v26, v6 op_sel:[1,1,0] op_sel_hi:[1,1,0]
	v_fma_mix_f32 v14, v20, v26, v14 op_sel:[1,1,0] op_sel_hi:[1,1,0]
	s_delay_alu instid0(VALU_DEP_4) | instskip(NEXT) | instid1(VALU_DEP_4)
	v_fma_mix_f32 v13, v22, v26, v13 op_sel:[1,1,0] op_sel_hi:[1,1,0]
	v_fma_mix_f32 v11, v24, v26, v11 op_sel:[1,1,0] op_sel_hi:[1,1,0]
	s_wait_alu 0xfffe
	s_and_not1_b32 exec_lo, exec_lo, s7
	s_cbranch_execnz .LBB91_17
; %bb.18:
	s_or_b32 exec_lo, exec_lo, s7
.LBB91_19:
	s_wait_alu 0xfffe
	s_or_b32 exec_lo, exec_lo, s6
	s_delay_alu instid0(SALU_CYCLE_1)
	s_mov_b32 s6, exec_lo
	v_cmpx_lt_u32_e32 23, v1
	s_cbranch_execz .LBB91_23
; %bb.20:
	s_mov_b32 s7, 0
.LBB91_21:                              ; =>This Inner Loop Header: Depth=1
	v_ashrrev_i32_e32 v6, 31, v5
	s_delay_alu instid0(VALU_DEP_1) | instskip(SKIP_1) | instid1(VALU_DEP_2)
	v_lshlrev_b64_e32 v[16:17], 2, v[5:6]
	v_add_nc_u32_e32 v5, 32, v5
	v_add_co_u32 v16, vcc_lo, s8, v16
	s_wait_alu 0xfffd
	s_delay_alu instid0(VALU_DEP_3)
	v_add_co_ci_u32_e64 v17, null, s9, v17, vcc_lo
	s_clause 0x3
	global_load_b32 v1, v[16:17], off
	global_load_b32 v6, v[16:17], off offset:32
	global_load_b32 v48, v[16:17], off offset:64
	;; [unrolled: 1-line block ×3, first 2 shown]
	s_clause 0x7
	global_load_b128 v[16:19], v[7:8], off
	global_load_b128 v[20:23], v[7:8], off offset:16
	global_load_b128 v[24:27], v[7:8], off offset:256
	;; [unrolled: 1-line block ×7, first 2 shown]
	s_wait_loadcnt 0xb
	v_subrev_nc_u32_e32 v1, s16, v1
	s_wait_loadcnt 0xa
	v_subrev_nc_u32_e32 v6, s16, v6
	s_wait_loadcnt 0x9
	v_subrev_nc_u32_e32 v51, s16, v48
	s_wait_loadcnt 0x8
	v_subrev_nc_u32_e32 v49, s16, v49
	v_lshlrev_b32_e32 v48, 2, v1
	v_lshlrev_b32_e32 v50, 2, v6
	;; [unrolled: 1-line block ×3, first 2 shown]
	s_delay_alu instid0(VALU_DEP_4) | instskip(NEXT) | instid1(VALU_DEP_4)
	v_lshlrev_b32_e32 v54, 2, v49
	v_ashrrev_i32_e32 v49, 31, v48
	s_delay_alu instid0(VALU_DEP_4) | instskip(NEXT) | instid1(VALU_DEP_4)
	v_ashrrev_i32_e32 v51, 31, v50
	v_ashrrev_i32_e32 v53, 31, v52
	s_delay_alu instid0(VALU_DEP_4) | instskip(NEXT) | instid1(VALU_DEP_4)
	v_ashrrev_i32_e32 v55, 31, v54
	v_lshlrev_b64_e32 v[48:49], 1, v[48:49]
	s_delay_alu instid0(VALU_DEP_4) | instskip(NEXT) | instid1(VALU_DEP_4)
	v_lshlrev_b64_e32 v[50:51], 1, v[50:51]
	v_lshlrev_b64_e32 v[52:53], 1, v[52:53]
	s_delay_alu instid0(VALU_DEP_4) | instskip(SKIP_1) | instid1(VALU_DEP_4)
	v_lshlrev_b64_e32 v[54:55], 1, v[54:55]
	s_wait_kmcnt 0x0
	v_add_co_u32 v48, vcc_lo, s4, v48
	s_wait_alu 0xfffd
	v_add_co_ci_u32_e64 v49, null, s5, v49, vcc_lo
	v_add_co_u32 v50, vcc_lo, s4, v50
	s_wait_alu 0xfffd
	v_add_co_ci_u32_e64 v51, null, s5, v51, vcc_lo
	global_load_b64 v[48:49], v[48:49], off
	v_add_co_u32 v52, vcc_lo, s4, v52
	global_load_b64 v[50:51], v[50:51], off
	s_wait_alu 0xfffd
	v_add_co_ci_u32_e64 v53, null, s5, v53, vcc_lo
	v_add_co_u32 v54, vcc_lo, s4, v54
	s_wait_alu 0xfffd
	v_add_co_ci_u32_e64 v55, null, s5, v55, vcc_lo
	global_load_b64 v[52:53], v[52:53], off
	v_add_co_u32 v7, vcc_lo, 0x400, v7
	global_load_b64 v[54:55], v[54:55], off
	s_wait_alu 0xfffd
	v_add_co_ci_u32_e64 v8, null, 0, v8, vcc_lo
	v_cmp_ge_i32_e32 vcc_lo, v5, v10
	s_wait_alu 0xfffe
	s_or_b32 s7, vcc_lo, s7
	s_wait_loadcnt 0x3
	v_fma_mix_f32 v1, v16, v48, v12 op_sel_hi:[1,1,0]
	v_fma_mix_f32 v6, v18, v48, v14 op_sel_hi:[1,1,0]
	v_fma_mix_f32 v12, v20, v48, v13 op_sel_hi:[1,1,0]
	v_fma_mix_f32 v11, v22, v48, v11 op_sel_hi:[1,1,0]
	s_delay_alu instid0(VALU_DEP_4) | instskip(NEXT) | instid1(VALU_DEP_4)
	v_fma_mix_f32 v1, v16, v48, v1 op_sel:[1,1,0] op_sel_hi:[1,1,0]
	v_fma_mix_f32 v6, v18, v48, v6 op_sel:[1,1,0] op_sel_hi:[1,1,0]
	s_delay_alu instid0(VALU_DEP_4) | instskip(NEXT) | instid1(VALU_DEP_4)
	v_fma_mix_f32 v12, v20, v48, v12 op_sel:[1,1,0] op_sel_hi:[1,1,0]
	v_fma_mix_f32 v11, v22, v48, v11 op_sel:[1,1,0] op_sel_hi:[1,1,0]
	s_delay_alu instid0(VALU_DEP_4) | instskip(NEXT) | instid1(VALU_DEP_4)
	v_fma_mix_f32 v1, v17, v49, v1 op_sel_hi:[1,1,0]
	v_fma_mix_f32 v6, v19, v49, v6 op_sel_hi:[1,1,0]
	s_delay_alu instid0(VALU_DEP_4) | instskip(NEXT) | instid1(VALU_DEP_4)
	v_fma_mix_f32 v12, v21, v49, v12 op_sel_hi:[1,1,0]
	v_fma_mix_f32 v11, v23, v49, v11 op_sel_hi:[1,1,0]
	s_delay_alu instid0(VALU_DEP_4) | instskip(NEXT) | instid1(VALU_DEP_4)
	v_fma_mix_f32 v1, v17, v49, v1 op_sel:[1,1,0] op_sel_hi:[1,1,0]
	v_fma_mix_f32 v6, v19, v49, v6 op_sel:[1,1,0] op_sel_hi:[1,1,0]
	s_delay_alu instid0(VALU_DEP_4) | instskip(NEXT) | instid1(VALU_DEP_4)
	v_fma_mix_f32 v12, v21, v49, v12 op_sel:[1,1,0] op_sel_hi:[1,1,0]
	v_fma_mix_f32 v11, v23, v49, v11 op_sel:[1,1,0] op_sel_hi:[1,1,0]
	s_wait_loadcnt 0x2
	v_fma_mix_f32 v1, v24, v50, v1 op_sel_hi:[1,1,0]
	v_fma_mix_f32 v6, v26, v50, v6 op_sel_hi:[1,1,0]
	v_fma_mix_f32 v12, v28, v50, v12 op_sel_hi:[1,1,0]
	v_fma_mix_f32 v11, v30, v50, v11 op_sel_hi:[1,1,0]
	s_delay_alu instid0(VALU_DEP_4) | instskip(NEXT) | instid1(VALU_DEP_4)
	v_fma_mix_f32 v1, v24, v50, v1 op_sel:[1,1,0] op_sel_hi:[1,1,0]
	v_fma_mix_f32 v6, v26, v50, v6 op_sel:[1,1,0] op_sel_hi:[1,1,0]
	s_delay_alu instid0(VALU_DEP_4) | instskip(NEXT) | instid1(VALU_DEP_4)
	v_fma_mix_f32 v12, v28, v50, v12 op_sel:[1,1,0] op_sel_hi:[1,1,0]
	v_fma_mix_f32 v11, v30, v50, v11 op_sel:[1,1,0] op_sel_hi:[1,1,0]
	s_delay_alu instid0(VALU_DEP_4) | instskip(NEXT) | instid1(VALU_DEP_4)
	v_fma_mix_f32 v1, v25, v51, v1 op_sel_hi:[1,1,0]
	v_fma_mix_f32 v6, v27, v51, v6 op_sel_hi:[1,1,0]
	s_delay_alu instid0(VALU_DEP_4) | instskip(NEXT) | instid1(VALU_DEP_4)
	v_fma_mix_f32 v12, v29, v51, v12 op_sel_hi:[1,1,0]
	v_fma_mix_f32 v11, v31, v51, v11 op_sel_hi:[1,1,0]
	s_delay_alu instid0(VALU_DEP_4) | instskip(NEXT) | instid1(VALU_DEP_4)
	v_fma_mix_f32 v1, v25, v51, v1 op_sel:[1,1,0] op_sel_hi:[1,1,0]
	v_fma_mix_f32 v6, v27, v51, v6 op_sel:[1,1,0] op_sel_hi:[1,1,0]
	s_delay_alu instid0(VALU_DEP_4) | instskip(NEXT) | instid1(VALU_DEP_4)
	v_fma_mix_f32 v12, v29, v51, v12 op_sel:[1,1,0] op_sel_hi:[1,1,0]
	v_fma_mix_f32 v11, v31, v51, v11 op_sel:[1,1,0] op_sel_hi:[1,1,0]
	;; [unrolled: 23-line block ×4, first 2 shown]
	s_wait_alu 0xfffe
	s_and_not1_b32 exec_lo, exec_lo, s7
	s_cbranch_execnz .LBB91_21
; %bb.22:
	s_or_b32 exec_lo, exec_lo, s7
.LBB91_23:
	s_wait_alu 0xfffe
	s_or_b32 exec_lo, exec_lo, s6
.LBB91_24:
	s_wait_alu 0xfffe
	s_or_b32 exec_lo, exec_lo, s3
	s_cbranch_execz .LBB91_26
	s_branch .LBB91_37
.LBB91_25:
                                        ; implicit-def: $vgpr11
                                        ; implicit-def: $vgpr13
                                        ; implicit-def: $vgpr14
                                        ; implicit-def: $vgpr12
.LBB91_26:
	v_dual_mov_b32 v11, 0 :: v_dual_mov_b32 v14, 0
	v_dual_mov_b32 v13, 0 :: v_dual_mov_b32 v12, 0
	s_and_saveexec_b32 s3, s2
	s_cbranch_execz .LBB91_36
; %bb.27:
	v_dual_mov_b32 v12, 0 :: v_dual_add_nc_u32 v1, v15, v9
	v_not_b32_e32 v5, v15
	v_mov_b32_e32 v13, 0
	v_mov_b32_e32 v11, 0
	s_delay_alu instid0(VALU_DEP_4) | instskip(SKIP_1) | instid1(VALU_DEP_1)
	v_subrev_nc_u32_e32 v1, s16, v1
	s_mov_b32 s2, exec_lo
	v_dual_mov_b32 v14, 0 :: v_dual_add_nc_u32 v1, 8, v1
	s_delay_alu instid0(VALU_DEP_1) | instskip(NEXT) | instid1(VALU_DEP_1)
	v_max_i32_e32 v1, v1, v10
	v_add3_u32 v1, s16, v1, v5
	s_delay_alu instid0(VALU_DEP_1) | instskip(NEXT) | instid1(VALU_DEP_1)
	v_sub_nc_u32_e32 v5, v1, v9
	v_and_b32_e32 v1, 24, v5
	s_delay_alu instid0(VALU_DEP_1)
	v_cmpx_ne_u32_e32 24, v1
	s_cbranch_execz .LBB91_31
; %bb.28:
	v_lshrrev_b32_e32 v1, 3, v5
	v_mov_b32_e32 v11, 0
	v_mov_b32_e32 v13, 0
	s_mov_b32 s6, 0
	s_delay_alu instid0(VALU_DEP_3) | instskip(NEXT) | instid1(VALU_DEP_1)
	v_dual_mov_b32 v14, 0 :: v_dual_add_nc_u32 v1, 1, v1
	v_dual_mov_b32 v12, 0 :: v_dual_and_b32 v1, 3, v1
	s_delay_alu instid0(VALU_DEP_1)
	v_sub_nc_u32_e32 v6, 0, v1
.LBB91_29:                              ; =>This Inner Loop Header: Depth=1
	v_ashrrev_i32_e32 v1, 31, v0
	s_delay_alu instid0(VALU_DEP_2) | instskip(SKIP_2) | instid1(VALU_DEP_2)
	v_add_co_u32 v6, s7, v6, 1
	s_wait_alu 0xfffe
	s_or_b32 s6, s7, s6
	v_lshlrev_b64_e32 v[7:8], 2, v[0:1]
	v_add_nc_u32_e32 v0, 8, v0
	s_delay_alu instid0(VALU_DEP_2) | instskip(SKIP_1) | instid1(VALU_DEP_3)
	v_add_co_u32 v7, vcc_lo, s8, v7
	s_wait_alu 0xfffd
	v_add_co_ci_u32_e64 v8, null, s9, v8, vcc_lo
	global_load_b32 v1, v[7:8], off
	global_load_b128 v[15:18], v[2:3], off
	s_wait_loadcnt 0x1
	v_subrev_nc_u32_e32 v1, s16, v1
	s_delay_alu instid0(VALU_DEP_1) | instskip(NEXT) | instid1(VALU_DEP_1)
	v_lshlrev_b32_e32 v7, 2, v1
	v_ashrrev_i32_e32 v8, 31, v7
	s_delay_alu instid0(VALU_DEP_1) | instskip(SKIP_1) | instid1(VALU_DEP_1)
	v_lshlrev_b64_e32 v[7:8], 1, v[7:8]
	s_wait_kmcnt 0x0
	v_add_co_u32 v7, vcc_lo, s4, v7
	s_wait_alu 0xfffd
	s_delay_alu instid0(VALU_DEP_2)
	v_add_co_ci_u32_e64 v8, null, s5, v8, vcc_lo
	global_load_b64 v[7:8], v[7:8], off
	global_load_b128 v[19:22], v[2:3], off offset:16
	v_add_co_u32 v2, vcc_lo, 0x100, v2
	s_wait_alu 0xfffd
	v_add_co_ci_u32_e64 v3, null, 0, v3, vcc_lo
	s_wait_loadcnt 0x1
	v_fma_mix_f32 v1, v15, v7, v12 op_sel_hi:[1,1,0]
	v_fma_mix_f32 v12, v15, v7, v14 op_sel:[1,0,0] op_sel_hi:[1,1,0]
	v_fma_mix_f32 v13, v16, v7, v13 op_sel_hi:[1,1,0]
	v_fma_mix_f32 v11, v16, v7, v11 op_sel:[1,0,0] op_sel_hi:[1,1,0]
	s_delay_alu instid0(VALU_DEP_4) | instskip(NEXT) | instid1(VALU_DEP_4)
	v_fma_mix_f32 v1, v17, v7, v1 op_sel:[0,1,0] op_sel_hi:[1,1,0]
	v_fma_mix_f32 v12, v17, v7, v12 op_sel:[1,1,0] op_sel_hi:[1,1,0]
	s_delay_alu instid0(VALU_DEP_4) | instskip(NEXT) | instid1(VALU_DEP_4)
	v_fma_mix_f32 v13, v18, v7, v13 op_sel:[0,1,0] op_sel_hi:[1,1,0]
	v_fma_mix_f32 v7, v18, v7, v11 op_sel:[1,1,0] op_sel_hi:[1,1,0]
	s_wait_loadcnt 0x0
	v_fma_mix_f32 v1, v19, v8, v1 op_sel_hi:[1,1,0]
	v_fma_mix_f32 v11, v19, v8, v12 op_sel:[1,0,0] op_sel_hi:[1,1,0]
	v_fma_mix_f32 v13, v20, v8, v13 op_sel_hi:[1,1,0]
	v_fma_mix_f32 v7, v20, v8, v7 op_sel:[1,0,0] op_sel_hi:[1,1,0]
	s_delay_alu instid0(VALU_DEP_4) | instskip(NEXT) | instid1(VALU_DEP_4)
	v_fma_mix_f32 v12, v21, v8, v1 op_sel:[0,1,0] op_sel_hi:[1,1,0]
	v_fma_mix_f32 v14, v21, v8, v11 op_sel:[1,1,0] op_sel_hi:[1,1,0]
	s_delay_alu instid0(VALU_DEP_4) | instskip(NEXT) | instid1(VALU_DEP_4)
	v_fma_mix_f32 v13, v22, v8, v13 op_sel:[0,1,0] op_sel_hi:[1,1,0]
	v_fma_mix_f32 v11, v22, v8, v7 op_sel:[1,1,0] op_sel_hi:[1,1,0]
	s_wait_alu 0xfffe
	s_and_not1_b32 exec_lo, exec_lo, s6
	s_cbranch_execnz .LBB91_29
; %bb.30:
	s_or_b32 exec_lo, exec_lo, s6
.LBB91_31:
	s_wait_alu 0xfffe
	s_or_b32 exec_lo, exec_lo, s2
	s_delay_alu instid0(SALU_CYCLE_1)
	s_mov_b32 s2, exec_lo
	v_cmpx_lt_u32_e32 23, v5
	s_cbranch_execz .LBB91_35
; %bb.32:
	s_mov_b32 s6, 0
.LBB91_33:                              ; =>This Inner Loop Header: Depth=1
	v_ashrrev_i32_e32 v1, 31, v0
	s_delay_alu instid0(VALU_DEP_1) | instskip(SKIP_1) | instid1(VALU_DEP_2)
	v_lshlrev_b64_e32 v[5:6], 2, v[0:1]
	v_add_nc_u32_e32 v0, 32, v0
	v_add_co_u32 v5, vcc_lo, s8, v5
	s_wait_alu 0xfffd
	s_delay_alu instid0(VALU_DEP_3)
	v_add_co_ci_u32_e64 v6, null, s9, v6, vcc_lo
	s_clause 0x3
	global_load_b32 v1, v[5:6], off
	global_load_b32 v39, v[5:6], off offset:32
	global_load_b32 v40, v[5:6], off offset:64
	;; [unrolled: 1-line block ×3, first 2 shown]
	s_clause 0x6
	global_load_b128 v[5:8], v[2:3], off
	global_load_b128 v[15:18], v[2:3], off offset:16
	global_load_b128 v[19:22], v[2:3], off offset:256
	;; [unrolled: 1-line block ×6, first 2 shown]
	s_wait_loadcnt 0xa
	v_subrev_nc_u32_e32 v1, s16, v1
	s_wait_loadcnt 0x9
	v_subrev_nc_u32_e32 v42, s16, v39
	s_wait_loadcnt 0x8
	v_subrev_nc_u32_e32 v40, s16, v40
	s_wait_loadcnt 0x7
	v_subrev_nc_u32_e32 v44, s16, v41
	v_lshlrev_b32_e32 v39, 2, v1
	v_lshlrev_b32_e32 v41, 2, v42
	;; [unrolled: 1-line block ×3, first 2 shown]
	s_delay_alu instid0(VALU_DEP_4) | instskip(NEXT) | instid1(VALU_DEP_4)
	v_lshlrev_b32_e32 v45, 2, v44
	v_ashrrev_i32_e32 v40, 31, v39
	s_delay_alu instid0(VALU_DEP_4) | instskip(NEXT) | instid1(VALU_DEP_4)
	v_ashrrev_i32_e32 v42, 31, v41
	v_ashrrev_i32_e32 v44, 31, v43
	s_delay_alu instid0(VALU_DEP_4) | instskip(NEXT) | instid1(VALU_DEP_4)
	v_ashrrev_i32_e32 v46, 31, v45
	v_lshlrev_b64_e32 v[39:40], 1, v[39:40]
	s_wait_kmcnt 0x0
	s_delay_alu instid0(VALU_DEP_1) | instskip(SKIP_1) | instid1(VALU_DEP_2)
	v_add_co_u32 v39, vcc_lo, s4, v39
	s_wait_alu 0xfffd
	v_add_co_ci_u32_e64 v40, null, s5, v40, vcc_lo
	global_load_b64 v[47:48], v[39:40], off
	v_lshlrev_b64_e32 v[39:40], 1, v[41:42]
	s_delay_alu instid0(VALU_DEP_1) | instskip(SKIP_1) | instid1(VALU_DEP_2)
	v_add_co_u32 v39, vcc_lo, s4, v39
	s_wait_alu 0xfffd
	v_add_co_ci_u32_e64 v40, null, s5, v40, vcc_lo
	global_load_b64 v[49:50], v[39:40], off
	v_lshlrev_b64_e32 v[39:40], 1, v[43:44]
	;; [unrolled: 6-line block ×3, first 2 shown]
	s_delay_alu instid0(VALU_DEP_1) | instskip(SKIP_1) | instid1(VALU_DEP_2)
	v_add_co_u32 v39, vcc_lo, s4, v39
	s_wait_alu 0xfffd
	v_add_co_ci_u32_e64 v40, null, s5, v40, vcc_lo
	global_load_b64 v[45:46], v[39:40], off
	global_load_b128 v[39:42], v[2:3], off offset:784
	v_add_co_u32 v2, vcc_lo, 0x400, v2
	s_wait_alu 0xfffd
	v_add_co_ci_u32_e64 v3, null, 0, v3, vcc_lo
	v_cmp_ge_i32_e32 vcc_lo, v0, v10
	s_wait_alu 0xfffe
	s_or_b32 s6, vcc_lo, s6
	s_wait_loadcnt 0x4
	v_fma_mix_f32 v1, v5, v47, v12 op_sel_hi:[1,1,0]
	v_fma_mix_f32 v5, v5, v47, v14 op_sel:[1,0,0] op_sel_hi:[1,1,0]
	v_fma_mix_f32 v12, v6, v47, v13 op_sel_hi:[1,1,0]
	v_fma_mix_f32 v6, v6, v47, v11 op_sel:[1,0,0] op_sel_hi:[1,1,0]
	s_delay_alu instid0(VALU_DEP_4) | instskip(NEXT) | instid1(VALU_DEP_4)
	v_fma_mix_f32 v1, v7, v47, v1 op_sel:[0,1,0] op_sel_hi:[1,1,0]
	v_fma_mix_f32 v5, v7, v47, v5 op_sel:[1,1,0] op_sel_hi:[1,1,0]
	s_delay_alu instid0(VALU_DEP_4) | instskip(NEXT) | instid1(VALU_DEP_4)
	v_fma_mix_f32 v7, v8, v47, v12 op_sel:[0,1,0] op_sel_hi:[1,1,0]
	v_fma_mix_f32 v6, v8, v47, v6 op_sel:[1,1,0] op_sel_hi:[1,1,0]
	s_delay_alu instid0(VALU_DEP_4) | instskip(NEXT) | instid1(VALU_DEP_4)
	v_fma_mix_f32 v1, v15, v48, v1 op_sel_hi:[1,1,0]
	v_fma_mix_f32 v5, v15, v48, v5 op_sel:[1,0,0] op_sel_hi:[1,1,0]
	s_delay_alu instid0(VALU_DEP_4) | instskip(NEXT) | instid1(VALU_DEP_4)
	v_fma_mix_f32 v7, v16, v48, v7 op_sel_hi:[1,1,0]
	v_fma_mix_f32 v6, v16, v48, v6 op_sel:[1,0,0] op_sel_hi:[1,1,0]
	s_delay_alu instid0(VALU_DEP_4) | instskip(NEXT) | instid1(VALU_DEP_4)
	v_fma_mix_f32 v1, v17, v48, v1 op_sel:[0,1,0] op_sel_hi:[1,1,0]
	v_fma_mix_f32 v5, v17, v48, v5 op_sel:[1,1,0] op_sel_hi:[1,1,0]
	s_delay_alu instid0(VALU_DEP_4) | instskip(NEXT) | instid1(VALU_DEP_4)
	v_fma_mix_f32 v7, v18, v48, v7 op_sel:[0,1,0] op_sel_hi:[1,1,0]
	v_fma_mix_f32 v6, v18, v48, v6 op_sel:[1,1,0] op_sel_hi:[1,1,0]
	s_wait_loadcnt 0x3
	v_fma_mix_f32 v1, v19, v49, v1 op_sel_hi:[1,1,0]
	v_fma_mix_f32 v5, v19, v49, v5 op_sel:[1,0,0] op_sel_hi:[1,1,0]
	v_fma_mix_f32 v7, v20, v49, v7 op_sel_hi:[1,1,0]
	v_fma_mix_f32 v6, v20, v49, v6 op_sel:[1,0,0] op_sel_hi:[1,1,0]
	s_delay_alu instid0(VALU_DEP_4) | instskip(NEXT) | instid1(VALU_DEP_4)
	v_fma_mix_f32 v1, v21, v49, v1 op_sel:[0,1,0] op_sel_hi:[1,1,0]
	v_fma_mix_f32 v5, v21, v49, v5 op_sel:[1,1,0] op_sel_hi:[1,1,0]
	s_delay_alu instid0(VALU_DEP_4) | instskip(NEXT) | instid1(VALU_DEP_4)
	v_fma_mix_f32 v7, v22, v49, v7 op_sel:[0,1,0] op_sel_hi:[1,1,0]
	v_fma_mix_f32 v6, v22, v49, v6 op_sel:[1,1,0] op_sel_hi:[1,1,0]
	s_delay_alu instid0(VALU_DEP_4) | instskip(NEXT) | instid1(VALU_DEP_4)
	v_fma_mix_f32 v1, v23, v50, v1 op_sel_hi:[1,1,0]
	v_fma_mix_f32 v5, v23, v50, v5 op_sel:[1,0,0] op_sel_hi:[1,1,0]
	s_delay_alu instid0(VALU_DEP_4) | instskip(NEXT) | instid1(VALU_DEP_4)
	v_fma_mix_f32 v7, v24, v50, v7 op_sel_hi:[1,1,0]
	v_fma_mix_f32 v6, v24, v50, v6 op_sel:[1,0,0] op_sel_hi:[1,1,0]
	s_delay_alu instid0(VALU_DEP_4) | instskip(NEXT) | instid1(VALU_DEP_4)
	v_fma_mix_f32 v1, v25, v50, v1 op_sel:[0,1,0] op_sel_hi:[1,1,0]
	v_fma_mix_f32 v5, v25, v50, v5 op_sel:[1,1,0] op_sel_hi:[1,1,0]
	s_delay_alu instid0(VALU_DEP_4) | instskip(NEXT) | instid1(VALU_DEP_4)
	v_fma_mix_f32 v7, v26, v50, v7 op_sel:[0,1,0] op_sel_hi:[1,1,0]
	v_fma_mix_f32 v6, v26, v50, v6 op_sel:[1,1,0] op_sel_hi:[1,1,0]
	;; [unrolled: 23-line block ×3, first 2 shown]
	s_wait_loadcnt 0x1
	v_fma_mix_f32 v1, v35, v45, v1 op_sel_hi:[1,1,0]
	v_fma_mix_f32 v5, v35, v45, v5 op_sel:[1,0,0] op_sel_hi:[1,1,0]
	v_fma_mix_f32 v7, v36, v45, v7 op_sel_hi:[1,1,0]
	v_fma_mix_f32 v6, v36, v45, v6 op_sel:[1,0,0] op_sel_hi:[1,1,0]
	s_delay_alu instid0(VALU_DEP_4) | instskip(NEXT) | instid1(VALU_DEP_4)
	v_fma_mix_f32 v1, v37, v45, v1 op_sel:[0,1,0] op_sel_hi:[1,1,0]
	v_fma_mix_f32 v5, v37, v45, v5 op_sel:[1,1,0] op_sel_hi:[1,1,0]
	s_delay_alu instid0(VALU_DEP_4) | instskip(NEXT) | instid1(VALU_DEP_4)
	v_fma_mix_f32 v7, v38, v45, v7 op_sel:[0,1,0] op_sel_hi:[1,1,0]
	v_fma_mix_f32 v6, v38, v45, v6 op_sel:[1,1,0] op_sel_hi:[1,1,0]
	s_wait_loadcnt 0x0
	v_fma_mix_f32 v1, v39, v46, v1 op_sel_hi:[1,1,0]
	v_fma_mix_f32 v5, v39, v46, v5 op_sel:[1,0,0] op_sel_hi:[1,1,0]
	v_fma_mix_f32 v7, v40, v46, v7 op_sel_hi:[1,1,0]
	v_fma_mix_f32 v6, v40, v46, v6 op_sel:[1,0,0] op_sel_hi:[1,1,0]
	s_delay_alu instid0(VALU_DEP_4) | instskip(NEXT) | instid1(VALU_DEP_4)
	v_fma_mix_f32 v12, v41, v46, v1 op_sel:[0,1,0] op_sel_hi:[1,1,0]
	v_fma_mix_f32 v14, v41, v46, v5 op_sel:[1,1,0] op_sel_hi:[1,1,0]
	s_delay_alu instid0(VALU_DEP_4) | instskip(NEXT) | instid1(VALU_DEP_4)
	v_fma_mix_f32 v13, v42, v46, v7 op_sel:[0,1,0] op_sel_hi:[1,1,0]
	v_fma_mix_f32 v11, v42, v46, v6 op_sel:[1,1,0] op_sel_hi:[1,1,0]
	s_wait_alu 0xfffe
	s_and_not1_b32 exec_lo, exec_lo, s6
	s_cbranch_execnz .LBB91_33
; %bb.34:
	s_or_b32 exec_lo, exec_lo, s6
.LBB91_35:
	s_wait_alu 0xfffe
	s_or_b32 exec_lo, exec_lo, s2
.LBB91_36:
	s_wait_alu 0xfffe
	s_or_b32 exec_lo, exec_lo, s3
.LBB91_37:
	v_mbcnt_lo_u32_b32 v0, -1, 0
	s_mov_b32 s2, -1
	s_delay_alu instid0(VALU_DEP_1) | instskip(SKIP_1) | instid1(VALU_DEP_2)
	v_xor_b32_e32 v1, 4, v0
	v_xor_b32_e32 v6, 2, v0
	v_cmp_gt_i32_e32 vcc_lo, 32, v1
	s_wait_alu 0xfffd
	v_cndmask_b32_e32 v1, v0, v1, vcc_lo
	s_delay_alu instid0(VALU_DEP_3) | instskip(SKIP_2) | instid1(VALU_DEP_1)
	v_cmp_gt_i32_e32 vcc_lo, 32, v6
	s_wait_alu 0xfffd
	v_cndmask_b32_e32 v6, v0, v6, vcc_lo
	v_lshlrev_b32_e32 v6, 2, v6
	v_lshlrev_b32_e32 v1, 2, v1
	ds_bpermute_b32 v2, v1, v12
	s_wait_dscnt 0x0
	v_add_f32_e32 v2, v12, v2
	ds_bpermute_b32 v3, v1, v14
	ds_bpermute_b32 v5, v1, v13
	;; [unrolled: 1-line block ×3, first 2 shown]
	s_wait_dscnt 0x2
	v_add_f32_e32 v3, v14, v3
	s_wait_dscnt 0x0
	v_add_f32_e32 v7, v11, v1
	v_xor_b32_e32 v11, 1, v0
	ds_bpermute_b32 v1, v6, v2
	ds_bpermute_b32 v8, v6, v3
	v_cmp_gt_i32_e32 vcc_lo, 32, v11
	s_wait_alu 0xfffd
	v_dual_add_f32 v5, v13, v5 :: v_dual_cndmask_b32 v0, v0, v11
	ds_bpermute_b32 v10, v6, v5
	v_cmp_eq_u32_e32 vcc_lo, 7, v9
	s_wait_dscnt 0x2
	v_dual_add_f32 v0, v2, v1 :: v_dual_lshlrev_b32 v11, 2, v0
	s_wait_dscnt 0x0
	v_dual_add_f32 v1, v3, v8 :: v_dual_add_f32 v2, v5, v10
	ds_bpermute_b32 v6, v6, v7
	ds_bpermute_b32 v5, v11, v0
	s_wait_dscnt 0x1
	v_add_f32_e32 v3, v7, v6
	ds_bpermute_b32 v6, v11, v1
	ds_bpermute_b32 v7, v11, v2
	;; [unrolled: 1-line block ×3, first 2 shown]
	s_and_b32 exec_lo, exec_lo, vcc_lo
	s_cbranch_execz .LBB91_10
; %bb.38:
	s_load_b64 s[0:1], s[0:1], 0x50
	s_wait_dscnt 0x2
	v_dual_add_f32 v0, v0, v5 :: v_dual_add_f32 v1, v1, v6
	s_wait_dscnt 0x0
	v_dual_add_f32 v2, v2, v7 :: v_dual_add_f32 v3, v3, v8
	v_lshlrev_b32_e32 v4, 2, v4
	s_delay_alu instid0(VALU_DEP_3) | instskip(NEXT) | instid1(VALU_DEP_3)
	v_dual_mul_f32 v0, s14, v0 :: v_dual_mul_f32 v1, s14, v1
	v_dual_mul_f32 v2, s14, v2 :: v_dual_mul_f32 v3, s14, v3
	s_cmp_eq_f32 s12, 0
	s_cbranch_scc0 .LBB91_40
; %bb.39:
	v_ashrrev_i32_e32 v5, 31, v4
	s_mov_b32 s2, 0
	s_delay_alu instid0(VALU_DEP_1) | instskip(SKIP_1) | instid1(VALU_DEP_1)
	v_lshlrev_b64_e32 v[5:6], 2, v[4:5]
	s_wait_kmcnt 0x0
	v_add_co_u32 v5, vcc_lo, s0, v5
	s_wait_alu 0xfffd
	s_delay_alu instid0(VALU_DEP_2)
	v_add_co_ci_u32_e64 v6, null, s1, v6, vcc_lo
	global_store_b128 v[5:6], v[0:3], off
.LBB91_40:
	s_wait_alu 0xfffe
	s_and_not1_b32 vcc_lo, exec_lo, s2
	s_wait_alu 0xfffe
	s_cbranch_vccnz .LBB91_10
; %bb.41:
	v_ashrrev_i32_e32 v5, 31, v4
	s_delay_alu instid0(VALU_DEP_1) | instskip(SKIP_1) | instid1(VALU_DEP_1)
	v_lshlrev_b64_e32 v[4:5], 2, v[4:5]
	s_wait_kmcnt 0x0
	v_add_co_u32 v8, vcc_lo, s0, v4
	s_wait_alu 0xfffd
	s_delay_alu instid0(VALU_DEP_2)
	v_add_co_ci_u32_e64 v9, null, s1, v5, vcc_lo
	global_load_b128 v[4:7], v[8:9], off
	s_wait_loadcnt 0x0
	v_dual_fmac_f32 v0, s12, v4 :: v_dual_fmac_f32 v1, s12, v5
	v_dual_fmac_f32 v2, s12, v6 :: v_dual_fmac_f32 v3, s12, v7
	global_store_b128 v[8:9], v[0:3], off
	s_endpgm
	.section	.rodata,"a",@progbits
	.p2align	6, 0x0
	.amdhsa_kernel _ZN9rocsparseL18bsrxmvn_4x4_kernelILj128ELj8EfiiDF16_DF16_fEEvT3_20rocsparse_direction_NS_24const_host_device_scalarIT1_EES1_PKS1_PKT2_SA_S7_PKT4_PKT5_S5_PT6_21rocsparse_index_base_b
		.amdhsa_group_segment_fixed_size 0
		.amdhsa_private_segment_fixed_size 0
		.amdhsa_kernarg_size 96
		.amdhsa_user_sgpr_count 2
		.amdhsa_user_sgpr_dispatch_ptr 0
		.amdhsa_user_sgpr_queue_ptr 0
		.amdhsa_user_sgpr_kernarg_segment_ptr 1
		.amdhsa_user_sgpr_dispatch_id 0
		.amdhsa_user_sgpr_private_segment_size 0
		.amdhsa_wavefront_size32 1
		.amdhsa_uses_dynamic_stack 0
		.amdhsa_enable_private_segment 0
		.amdhsa_system_sgpr_workgroup_id_x 1
		.amdhsa_system_sgpr_workgroup_id_y 0
		.amdhsa_system_sgpr_workgroup_id_z 0
		.amdhsa_system_sgpr_workgroup_info 0
		.amdhsa_system_vgpr_workitem_id 0
		.amdhsa_next_free_vgpr 56
		.amdhsa_next_free_sgpr 18
		.amdhsa_reserve_vcc 1
		.amdhsa_float_round_mode_32 0
		.amdhsa_float_round_mode_16_64 0
		.amdhsa_float_denorm_mode_32 3
		.amdhsa_float_denorm_mode_16_64 3
		.amdhsa_fp16_overflow 0
		.amdhsa_workgroup_processor_mode 1
		.amdhsa_memory_ordered 1
		.amdhsa_forward_progress 1
		.amdhsa_inst_pref_size 35
		.amdhsa_round_robin_scheduling 0
		.amdhsa_exception_fp_ieee_invalid_op 0
		.amdhsa_exception_fp_denorm_src 0
		.amdhsa_exception_fp_ieee_div_zero 0
		.amdhsa_exception_fp_ieee_overflow 0
		.amdhsa_exception_fp_ieee_underflow 0
		.amdhsa_exception_fp_ieee_inexact 0
		.amdhsa_exception_int_div_zero 0
	.end_amdhsa_kernel
	.section	.text._ZN9rocsparseL18bsrxmvn_4x4_kernelILj128ELj8EfiiDF16_DF16_fEEvT3_20rocsparse_direction_NS_24const_host_device_scalarIT1_EES1_PKS1_PKT2_SA_S7_PKT4_PKT5_S5_PT6_21rocsparse_index_base_b,"axG",@progbits,_ZN9rocsparseL18bsrxmvn_4x4_kernelILj128ELj8EfiiDF16_DF16_fEEvT3_20rocsparse_direction_NS_24const_host_device_scalarIT1_EES1_PKS1_PKT2_SA_S7_PKT4_PKT5_S5_PT6_21rocsparse_index_base_b,comdat
.Lfunc_end91:
	.size	_ZN9rocsparseL18bsrxmvn_4x4_kernelILj128ELj8EfiiDF16_DF16_fEEvT3_20rocsparse_direction_NS_24const_host_device_scalarIT1_EES1_PKS1_PKT2_SA_S7_PKT4_PKT5_S5_PT6_21rocsparse_index_base_b, .Lfunc_end91-_ZN9rocsparseL18bsrxmvn_4x4_kernelILj128ELj8EfiiDF16_DF16_fEEvT3_20rocsparse_direction_NS_24const_host_device_scalarIT1_EES1_PKS1_PKT2_SA_S7_PKT4_PKT5_S5_PT6_21rocsparse_index_base_b
                                        ; -- End function
	.set _ZN9rocsparseL18bsrxmvn_4x4_kernelILj128ELj8EfiiDF16_DF16_fEEvT3_20rocsparse_direction_NS_24const_host_device_scalarIT1_EES1_PKS1_PKT2_SA_S7_PKT4_PKT5_S5_PT6_21rocsparse_index_base_b.num_vgpr, 56
	.set _ZN9rocsparseL18bsrxmvn_4x4_kernelILj128ELj8EfiiDF16_DF16_fEEvT3_20rocsparse_direction_NS_24const_host_device_scalarIT1_EES1_PKS1_PKT2_SA_S7_PKT4_PKT5_S5_PT6_21rocsparse_index_base_b.num_agpr, 0
	.set _ZN9rocsparseL18bsrxmvn_4x4_kernelILj128ELj8EfiiDF16_DF16_fEEvT3_20rocsparse_direction_NS_24const_host_device_scalarIT1_EES1_PKS1_PKT2_SA_S7_PKT4_PKT5_S5_PT6_21rocsparse_index_base_b.numbered_sgpr, 18
	.set _ZN9rocsparseL18bsrxmvn_4x4_kernelILj128ELj8EfiiDF16_DF16_fEEvT3_20rocsparse_direction_NS_24const_host_device_scalarIT1_EES1_PKS1_PKT2_SA_S7_PKT4_PKT5_S5_PT6_21rocsparse_index_base_b.num_named_barrier, 0
	.set _ZN9rocsparseL18bsrxmvn_4x4_kernelILj128ELj8EfiiDF16_DF16_fEEvT3_20rocsparse_direction_NS_24const_host_device_scalarIT1_EES1_PKS1_PKT2_SA_S7_PKT4_PKT5_S5_PT6_21rocsparse_index_base_b.private_seg_size, 0
	.set _ZN9rocsparseL18bsrxmvn_4x4_kernelILj128ELj8EfiiDF16_DF16_fEEvT3_20rocsparse_direction_NS_24const_host_device_scalarIT1_EES1_PKS1_PKT2_SA_S7_PKT4_PKT5_S5_PT6_21rocsparse_index_base_b.uses_vcc, 1
	.set _ZN9rocsparseL18bsrxmvn_4x4_kernelILj128ELj8EfiiDF16_DF16_fEEvT3_20rocsparse_direction_NS_24const_host_device_scalarIT1_EES1_PKS1_PKT2_SA_S7_PKT4_PKT5_S5_PT6_21rocsparse_index_base_b.uses_flat_scratch, 0
	.set _ZN9rocsparseL18bsrxmvn_4x4_kernelILj128ELj8EfiiDF16_DF16_fEEvT3_20rocsparse_direction_NS_24const_host_device_scalarIT1_EES1_PKS1_PKT2_SA_S7_PKT4_PKT5_S5_PT6_21rocsparse_index_base_b.has_dyn_sized_stack, 0
	.set _ZN9rocsparseL18bsrxmvn_4x4_kernelILj128ELj8EfiiDF16_DF16_fEEvT3_20rocsparse_direction_NS_24const_host_device_scalarIT1_EES1_PKS1_PKT2_SA_S7_PKT4_PKT5_S5_PT6_21rocsparse_index_base_b.has_recursion, 0
	.set _ZN9rocsparseL18bsrxmvn_4x4_kernelILj128ELj8EfiiDF16_DF16_fEEvT3_20rocsparse_direction_NS_24const_host_device_scalarIT1_EES1_PKS1_PKT2_SA_S7_PKT4_PKT5_S5_PT6_21rocsparse_index_base_b.has_indirect_call, 0
	.section	.AMDGPU.csdata,"",@progbits
; Kernel info:
; codeLenInByte = 4360
; TotalNumSgprs: 20
; NumVgprs: 56
; ScratchSize: 0
; MemoryBound: 0
; FloatMode: 240
; IeeeMode: 1
; LDSByteSize: 0 bytes/workgroup (compile time only)
; SGPRBlocks: 0
; VGPRBlocks: 6
; NumSGPRsForWavesPerEU: 20
; NumVGPRsForWavesPerEU: 56
; Occupancy: 16
; WaveLimiterHint : 1
; COMPUTE_PGM_RSRC2:SCRATCH_EN: 0
; COMPUTE_PGM_RSRC2:USER_SGPR: 2
; COMPUTE_PGM_RSRC2:TRAP_HANDLER: 0
; COMPUTE_PGM_RSRC2:TGID_X_EN: 1
; COMPUTE_PGM_RSRC2:TGID_Y_EN: 0
; COMPUTE_PGM_RSRC2:TGID_Z_EN: 0
; COMPUTE_PGM_RSRC2:TIDIG_COMP_CNT: 0
	.section	.text._ZN9rocsparseL18bsrxmvn_4x4_kernelILj128ELj16EfiiDF16_DF16_fEEvT3_20rocsparse_direction_NS_24const_host_device_scalarIT1_EES1_PKS1_PKT2_SA_S7_PKT4_PKT5_S5_PT6_21rocsparse_index_base_b,"axG",@progbits,_ZN9rocsparseL18bsrxmvn_4x4_kernelILj128ELj16EfiiDF16_DF16_fEEvT3_20rocsparse_direction_NS_24const_host_device_scalarIT1_EES1_PKS1_PKT2_SA_S7_PKT4_PKT5_S5_PT6_21rocsparse_index_base_b,comdat
	.globl	_ZN9rocsparseL18bsrxmvn_4x4_kernelILj128ELj16EfiiDF16_DF16_fEEvT3_20rocsparse_direction_NS_24const_host_device_scalarIT1_EES1_PKS1_PKT2_SA_S7_PKT4_PKT5_S5_PT6_21rocsparse_index_base_b ; -- Begin function _ZN9rocsparseL18bsrxmvn_4x4_kernelILj128ELj16EfiiDF16_DF16_fEEvT3_20rocsparse_direction_NS_24const_host_device_scalarIT1_EES1_PKS1_PKT2_SA_S7_PKT4_PKT5_S5_PT6_21rocsparse_index_base_b
	.p2align	8
	.type	_ZN9rocsparseL18bsrxmvn_4x4_kernelILj128ELj16EfiiDF16_DF16_fEEvT3_20rocsparse_direction_NS_24const_host_device_scalarIT1_EES1_PKS1_PKT2_SA_S7_PKT4_PKT5_S5_PT6_21rocsparse_index_base_b,@function
_ZN9rocsparseL18bsrxmvn_4x4_kernelILj128ELj16EfiiDF16_DF16_fEEvT3_20rocsparse_direction_NS_24const_host_device_scalarIT1_EES1_PKS1_PKT2_SA_S7_PKT4_PKT5_S5_PT6_21rocsparse_index_base_b: ; @_ZN9rocsparseL18bsrxmvn_4x4_kernelILj128ELj16EfiiDF16_DF16_fEEvT3_20rocsparse_direction_NS_24const_host_device_scalarIT1_EES1_PKS1_PKT2_SA_S7_PKT4_PKT5_S5_PT6_21rocsparse_index_base_b
; %bb.0:
	s_clause 0x2
	s_load_b64 s[16:17], s[0:1], 0x58
	s_load_b64 s[14:15], s[0:1], 0x8
	;; [unrolled: 1-line block ×3, first 2 shown]
	s_wait_kmcnt 0x0
	s_bitcmp1_b32 s17, 0
	s_cselect_b32 s2, -1, 0
	s_delay_alu instid0(SALU_CYCLE_1)
	s_and_b32 vcc_lo, exec_lo, s2
	s_xor_b32 s2, s2, -1
	s_cbranch_vccnz .LBB92_2
; %bb.1:
	s_load_b32 s14, s[14:15], 0x0
.LBB92_2:
	s_and_not1_b32 vcc_lo, exec_lo, s2
	s_cbranch_vccnz .LBB92_4
; %bb.3:
	s_load_b32 s12, s[12:13], 0x0
.LBB92_4:
	s_wait_kmcnt 0x0
	s_cmp_neq_f32 s14, 0
	s_mov_b32 s6, 0
	s_cselect_b32 s2, -1, 0
	s_cmp_neq_f32 s12, 1.0
	s_cselect_b32 s3, -1, 0
	s_delay_alu instid0(SALU_CYCLE_1) | instskip(NEXT) | instid1(SALU_CYCLE_1)
	s_or_b32 s2, s2, s3
	s_and_not1_b32 vcc_lo, exec_lo, s2
	s_cbranch_vccnz .LBB92_10
; %bb.5:
	s_clause 0x1
	s_load_b64 s[4:5], s[0:1], 0x18
	s_load_b64 s[2:3], s[0:1], 0x0
	v_lshrrev_b32_e32 v1, 4, v0
	s_delay_alu instid0(VALU_DEP_1)
	v_lshl_or_b32 v4, ttmp9, 3, v1
	s_wait_kmcnt 0x0
	s_cmp_lg_u64 s[4:5], 0
	s_cbranch_scc0 .LBB92_11
; %bb.6:
	s_load_b32 s6, s[0:1], 0x10
	s_mov_b32 s7, 0
                                        ; implicit-def: $vgpr1
	s_wait_kmcnt 0x0
	v_cmp_gt_i32_e32 vcc_lo, s6, v4
	s_mov_b32 s6, 0
	s_and_saveexec_b32 s8, vcc_lo
	s_delay_alu instid0(SALU_CYCLE_1)
	s_xor_b32 s8, exec_lo, s8
	s_cbranch_execz .LBB92_8
; %bb.7:
	v_ashrrev_i32_e32 v5, 31, v4
	s_mov_b32 s6, exec_lo
	s_delay_alu instid0(VALU_DEP_1) | instskip(NEXT) | instid1(VALU_DEP_1)
	v_lshlrev_b64_e32 v[1:2], 2, v[4:5]
	v_add_co_u32 v1, vcc_lo, s4, v1
	s_delay_alu instid0(VALU_DEP_1)
	v_add_co_ci_u32_e64 v2, null, s5, v2, vcc_lo
	global_load_b32 v1, v[1:2], off
	s_wait_loadcnt 0x0
	v_subrev_nc_u32_e32 v1, s16, v1
.LBB92_8:
	s_or_b32 exec_lo, exec_lo, s8
	s_delay_alu instid0(SALU_CYCLE_1)
	s_and_b32 vcc_lo, exec_lo, s7
	s_wait_alu 0xfffe
	s_cbranch_vccz .LBB92_12
.LBB92_9:
	v_cmp_gt_i32_e32 vcc_lo, s2, v4
	s_and_not1_b32 s2, s6, exec_lo
	s_and_b32 s4, vcc_lo, exec_lo
	s_wait_alu 0xfffe
	s_or_b32 s6, s2, s4
	s_wait_alu 0xfffe
	s_and_saveexec_b32 s2, s6
	s_cbranch_execnz .LBB92_13
.LBB92_10:
	s_endpgm
.LBB92_11:
                                        ; implicit-def: $vgpr1
	s_cbranch_execnz .LBB92_9
.LBB92_12:
	v_mov_b32_e32 v4, v1
	s_and_saveexec_b32 s2, s6
	s_cbranch_execz .LBB92_10
.LBB92_13:
	s_load_b256 s[4:11], s[0:1], 0x20
	s_delay_alu instid0(VALU_DEP_1) | instskip(SKIP_1) | instid1(VALU_DEP_2)
	v_ashrrev_i32_e32 v5, 31, v4
	v_and_b32_e32 v9, 15, v0
	v_lshlrev_b64_e32 v[1:2], 2, v[4:5]
	s_wait_kmcnt 0x0
	s_delay_alu instid0(VALU_DEP_1) | instskip(SKIP_1) | instid1(VALU_DEP_2)
	v_add_co_u32 v5, vcc_lo, s4, v1
	s_wait_alu 0xfffd
	v_add_co_ci_u32_e64 v6, null, s5, v2, vcc_lo
	v_add_co_u32 v1, vcc_lo, s6, v1
	s_wait_alu 0xfffd
	v_add_co_ci_u32_e64 v2, null, s7, v2, vcc_lo
	global_load_b32 v15, v[5:6], off
	v_add_co_u32 v3, vcc_lo, v5, 4
	s_wait_alu 0xfffd
	v_add_co_ci_u32_e64 v5, null, 0, v6, vcc_lo
	s_cmp_eq_u64 s[6:7], 0
	s_load_b64 s[4:5], s[0:1], 0x40
	s_cselect_b32 vcc_lo, -1, 0
	s_cmp_eq_u32 s3, 1
	s_wait_alu 0xfffe
	v_dual_cndmask_b32 v2, v2, v5 :: v_dual_cndmask_b32 v1, v1, v3
	global_load_b32 v5, v[1:2], off
	s_wait_loadcnt 0x1
	v_subrev_nc_u32_e32 v0, s16, v15
	s_delay_alu instid0(VALU_DEP_1) | instskip(NEXT) | instid1(VALU_DEP_1)
	v_add_nc_u32_e32 v0, v0, v9
	v_ashrrev_i32_e32 v1, 31, v0
	s_wait_loadcnt 0x0
	v_subrev_nc_u32_e32 v10, s16, v5
	s_delay_alu instid0(VALU_DEP_2) | instskip(NEXT) | instid1(VALU_DEP_2)
	v_lshlrev_b64_e32 v[2:3], 5, v[0:1]
	v_cmp_lt_i32_e64 s2, v0, v10
	s_delay_alu instid0(VALU_DEP_2) | instskip(SKIP_1) | instid1(VALU_DEP_3)
	v_add_co_u32 v2, vcc_lo, s10, v2
	s_wait_alu 0xfffd
	v_add_co_ci_u32_e64 v3, null, s11, v3, vcc_lo
	s_cbranch_scc1 .LBB92_25
; %bb.14:
	v_dual_mov_b32 v11, 0 :: v_dual_mov_b32 v14, 0
	v_dual_mov_b32 v13, 0 :: v_dual_mov_b32 v12, 0
	s_and_saveexec_b32 s3, s2
	s_cbranch_execz .LBB92_24
; %bb.15:
	v_dual_mov_b32 v12, 0 :: v_dual_add_nc_u32 v1, v15, v9
	v_not_b32_e32 v5, v15
	v_dual_mov_b32 v11, 0 :: v_dual_mov_b32 v8, v3
	s_delay_alu instid0(VALU_DEP_3) | instskip(SKIP_3) | instid1(VALU_DEP_3)
	v_subrev_nc_u32_e32 v1, s16, v1
	v_mov_b32_e32 v7, v2
	s_mov_b32 s6, exec_lo
	v_dual_mov_b32 v14, 0 :: v_dual_mov_b32 v13, 0
	v_add_nc_u32_e32 v1, 16, v1
	s_delay_alu instid0(VALU_DEP_1) | instskip(NEXT) | instid1(VALU_DEP_1)
	v_max_i32_e32 v1, v1, v10
	v_add3_u32 v1, s16, v1, v5
	v_mov_b32_e32 v5, v0
	s_delay_alu instid0(VALU_DEP_2) | instskip(NEXT) | instid1(VALU_DEP_1)
	v_sub_nc_u32_e32 v1, v1, v9
	v_and_b32_e32 v6, 48, v1
	s_delay_alu instid0(VALU_DEP_1)
	v_cmpx_ne_u32_e32 48, v6
	s_cbranch_execz .LBB92_19
; %bb.16:
	v_lshrrev_b32_e32 v5, 4, v1
	v_mov_b32_e32 v13, 0
	s_mov_b32 s7, 0
	v_dual_mov_b32 v8, v3 :: v_dual_mov_b32 v7, v2
	s_delay_alu instid0(VALU_DEP_3) | instskip(SKIP_1) | instid1(VALU_DEP_2)
	v_dual_mov_b32 v14, 0 :: v_dual_add_nc_u32 v5, 1, v5
	v_dual_mov_b32 v11, 0 :: v_dual_mov_b32 v12, 0
	v_dual_mov_b32 v5, v0 :: v_dual_and_b32 v6, 3, v5
	s_delay_alu instid0(VALU_DEP_1)
	v_sub_nc_u32_e32 v16, 0, v6
.LBB92_17:                              ; =>This Inner Loop Header: Depth=1
	s_delay_alu instid0(VALU_DEP_2) | instskip(NEXT) | instid1(VALU_DEP_2)
	v_ashrrev_i32_e32 v6, 31, v5
	v_add_co_u32 v16, s10, v16, 1
	s_wait_alu 0xfffe
	s_or_b32 s7, s10, s7
	s_delay_alu instid0(VALU_DEP_2) | instskip(SKIP_1) | instid1(VALU_DEP_2)
	v_lshlrev_b64_e32 v[17:18], 2, v[5:6]
	v_add_nc_u32_e32 v5, 16, v5
	v_add_co_u32 v17, vcc_lo, s8, v17
	s_wait_alu 0xfffd
	s_delay_alu instid0(VALU_DEP_3)
	v_add_co_ci_u32_e64 v18, null, s9, v18, vcc_lo
	global_load_b32 v6, v[17:18], off
	s_clause 0x1
	global_load_b128 v[17:20], v[7:8], off
	global_load_b128 v[21:24], v[7:8], off offset:16
	s_wait_loadcnt 0x2
	v_subrev_nc_u32_e32 v6, s16, v6
	s_delay_alu instid0(VALU_DEP_1) | instskip(NEXT) | instid1(VALU_DEP_1)
	v_lshlrev_b32_e32 v25, 2, v6
	v_ashrrev_i32_e32 v26, 31, v25
	s_delay_alu instid0(VALU_DEP_1) | instskip(SKIP_1) | instid1(VALU_DEP_1)
	v_lshlrev_b64_e32 v[25:26], 1, v[25:26]
	s_wait_kmcnt 0x0
	v_add_co_u32 v25, vcc_lo, s4, v25
	s_wait_alu 0xfffd
	s_delay_alu instid0(VALU_DEP_2)
	v_add_co_ci_u32_e64 v26, null, s5, v26, vcc_lo
	v_add_co_u32 v7, vcc_lo, 0x200, v7
	s_wait_alu 0xfffd
	v_add_co_ci_u32_e64 v8, null, 0, v8, vcc_lo
	global_load_b64 v[25:26], v[25:26], off
	s_wait_loadcnt 0x0
	v_fma_mix_f32 v6, v17, v25, v12 op_sel_hi:[1,1,0]
	v_fma_mix_f32 v12, v19, v25, v14 op_sel_hi:[1,1,0]
	;; [unrolled: 1-line block ×4, first 2 shown]
	s_delay_alu instid0(VALU_DEP_4) | instskip(NEXT) | instid1(VALU_DEP_4)
	v_fma_mix_f32 v6, v17, v25, v6 op_sel:[1,1,0] op_sel_hi:[1,1,0]
	v_fma_mix_f32 v12, v19, v25, v12 op_sel:[1,1,0] op_sel_hi:[1,1,0]
	s_delay_alu instid0(VALU_DEP_4) | instskip(NEXT) | instid1(VALU_DEP_4)
	v_fma_mix_f32 v13, v21, v25, v13 op_sel:[1,1,0] op_sel_hi:[1,1,0]
	v_fma_mix_f32 v11, v23, v25, v11 op_sel:[1,1,0] op_sel_hi:[1,1,0]
	s_delay_alu instid0(VALU_DEP_4) | instskip(NEXT) | instid1(VALU_DEP_4)
	v_fma_mix_f32 v6, v18, v26, v6 op_sel_hi:[1,1,0]
	v_fma_mix_f32 v14, v20, v26, v12 op_sel_hi:[1,1,0]
	s_delay_alu instid0(VALU_DEP_4) | instskip(NEXT) | instid1(VALU_DEP_4)
	v_fma_mix_f32 v13, v22, v26, v13 op_sel_hi:[1,1,0]
	v_fma_mix_f32 v11, v24, v26, v11 op_sel_hi:[1,1,0]
	s_delay_alu instid0(VALU_DEP_4) | instskip(NEXT) | instid1(VALU_DEP_4)
	v_fma_mix_f32 v12, v18, v26, v6 op_sel:[1,1,0] op_sel_hi:[1,1,0]
	v_fma_mix_f32 v14, v20, v26, v14 op_sel:[1,1,0] op_sel_hi:[1,1,0]
	s_delay_alu instid0(VALU_DEP_4) | instskip(NEXT) | instid1(VALU_DEP_4)
	v_fma_mix_f32 v13, v22, v26, v13 op_sel:[1,1,0] op_sel_hi:[1,1,0]
	v_fma_mix_f32 v11, v24, v26, v11 op_sel:[1,1,0] op_sel_hi:[1,1,0]
	s_wait_alu 0xfffe
	s_and_not1_b32 exec_lo, exec_lo, s7
	s_cbranch_execnz .LBB92_17
; %bb.18:
	s_or_b32 exec_lo, exec_lo, s7
.LBB92_19:
	s_wait_alu 0xfffe
	s_or_b32 exec_lo, exec_lo, s6
	s_delay_alu instid0(SALU_CYCLE_1)
	s_mov_b32 s6, exec_lo
	v_cmpx_lt_u32_e32 47, v1
	s_cbranch_execz .LBB92_23
; %bb.20:
	s_mov_b32 s7, 0
.LBB92_21:                              ; =>This Inner Loop Header: Depth=1
	v_ashrrev_i32_e32 v6, 31, v5
	s_delay_alu instid0(VALU_DEP_1) | instskip(SKIP_1) | instid1(VALU_DEP_2)
	v_lshlrev_b64_e32 v[16:17], 2, v[5:6]
	v_add_nc_u32_e32 v5, 64, v5
	v_add_co_u32 v16, vcc_lo, s8, v16
	s_wait_alu 0xfffd
	s_delay_alu instid0(VALU_DEP_3)
	v_add_co_ci_u32_e64 v17, null, s9, v17, vcc_lo
	s_clause 0x3
	global_load_b32 v1, v[16:17], off
	global_load_b32 v6, v[16:17], off offset:64
	global_load_b32 v48, v[16:17], off offset:128
	;; [unrolled: 1-line block ×3, first 2 shown]
	s_clause 0x7
	global_load_b128 v[16:19], v[7:8], off
	global_load_b128 v[20:23], v[7:8], off offset:16
	global_load_b128 v[24:27], v[7:8], off offset:512
	;; [unrolled: 1-line block ×7, first 2 shown]
	s_wait_loadcnt 0xb
	v_subrev_nc_u32_e32 v1, s16, v1
	s_wait_loadcnt 0xa
	v_subrev_nc_u32_e32 v6, s16, v6
	;; [unrolled: 2-line block ×4, first 2 shown]
	v_lshlrev_b32_e32 v48, 2, v1
	v_lshlrev_b32_e32 v50, 2, v6
	;; [unrolled: 1-line block ×3, first 2 shown]
	s_delay_alu instid0(VALU_DEP_4) | instskip(NEXT) | instid1(VALU_DEP_4)
	v_lshlrev_b32_e32 v54, 2, v49
	v_ashrrev_i32_e32 v49, 31, v48
	s_delay_alu instid0(VALU_DEP_4) | instskip(NEXT) | instid1(VALU_DEP_4)
	v_ashrrev_i32_e32 v51, 31, v50
	v_ashrrev_i32_e32 v53, 31, v52
	s_delay_alu instid0(VALU_DEP_4) | instskip(NEXT) | instid1(VALU_DEP_4)
	v_ashrrev_i32_e32 v55, 31, v54
	v_lshlrev_b64_e32 v[48:49], 1, v[48:49]
	s_delay_alu instid0(VALU_DEP_4) | instskip(NEXT) | instid1(VALU_DEP_4)
	v_lshlrev_b64_e32 v[50:51], 1, v[50:51]
	v_lshlrev_b64_e32 v[52:53], 1, v[52:53]
	s_delay_alu instid0(VALU_DEP_4) | instskip(SKIP_1) | instid1(VALU_DEP_4)
	v_lshlrev_b64_e32 v[54:55], 1, v[54:55]
	s_wait_kmcnt 0x0
	v_add_co_u32 v48, vcc_lo, s4, v48
	s_wait_alu 0xfffd
	v_add_co_ci_u32_e64 v49, null, s5, v49, vcc_lo
	v_add_co_u32 v50, vcc_lo, s4, v50
	s_wait_alu 0xfffd
	v_add_co_ci_u32_e64 v51, null, s5, v51, vcc_lo
	global_load_b64 v[48:49], v[48:49], off
	v_add_co_u32 v52, vcc_lo, s4, v52
	global_load_b64 v[50:51], v[50:51], off
	s_wait_alu 0xfffd
	v_add_co_ci_u32_e64 v53, null, s5, v53, vcc_lo
	v_add_co_u32 v54, vcc_lo, s4, v54
	s_wait_alu 0xfffd
	v_add_co_ci_u32_e64 v55, null, s5, v55, vcc_lo
	global_load_b64 v[52:53], v[52:53], off
	v_add_co_u32 v7, vcc_lo, 0x800, v7
	global_load_b64 v[54:55], v[54:55], off
	s_wait_alu 0xfffd
	v_add_co_ci_u32_e64 v8, null, 0, v8, vcc_lo
	v_cmp_ge_i32_e32 vcc_lo, v5, v10
	s_wait_alu 0xfffe
	s_or_b32 s7, vcc_lo, s7
	s_wait_loadcnt 0x3
	v_fma_mix_f32 v1, v16, v48, v12 op_sel_hi:[1,1,0]
	v_fma_mix_f32 v6, v18, v48, v14 op_sel_hi:[1,1,0]
	v_fma_mix_f32 v12, v20, v48, v13 op_sel_hi:[1,1,0]
	v_fma_mix_f32 v11, v22, v48, v11 op_sel_hi:[1,1,0]
	s_delay_alu instid0(VALU_DEP_4) | instskip(NEXT) | instid1(VALU_DEP_4)
	v_fma_mix_f32 v1, v16, v48, v1 op_sel:[1,1,0] op_sel_hi:[1,1,0]
	v_fma_mix_f32 v6, v18, v48, v6 op_sel:[1,1,0] op_sel_hi:[1,1,0]
	s_delay_alu instid0(VALU_DEP_4) | instskip(NEXT) | instid1(VALU_DEP_4)
	v_fma_mix_f32 v12, v20, v48, v12 op_sel:[1,1,0] op_sel_hi:[1,1,0]
	v_fma_mix_f32 v11, v22, v48, v11 op_sel:[1,1,0] op_sel_hi:[1,1,0]
	s_delay_alu instid0(VALU_DEP_4) | instskip(NEXT) | instid1(VALU_DEP_4)
	v_fma_mix_f32 v1, v17, v49, v1 op_sel_hi:[1,1,0]
	v_fma_mix_f32 v6, v19, v49, v6 op_sel_hi:[1,1,0]
	s_delay_alu instid0(VALU_DEP_4) | instskip(NEXT) | instid1(VALU_DEP_4)
	v_fma_mix_f32 v12, v21, v49, v12 op_sel_hi:[1,1,0]
	v_fma_mix_f32 v11, v23, v49, v11 op_sel_hi:[1,1,0]
	s_delay_alu instid0(VALU_DEP_4) | instskip(NEXT) | instid1(VALU_DEP_4)
	v_fma_mix_f32 v1, v17, v49, v1 op_sel:[1,1,0] op_sel_hi:[1,1,0]
	v_fma_mix_f32 v6, v19, v49, v6 op_sel:[1,1,0] op_sel_hi:[1,1,0]
	s_delay_alu instid0(VALU_DEP_4) | instskip(NEXT) | instid1(VALU_DEP_4)
	v_fma_mix_f32 v12, v21, v49, v12 op_sel:[1,1,0] op_sel_hi:[1,1,0]
	v_fma_mix_f32 v11, v23, v49, v11 op_sel:[1,1,0] op_sel_hi:[1,1,0]
	s_wait_loadcnt 0x2
	v_fma_mix_f32 v1, v24, v50, v1 op_sel_hi:[1,1,0]
	v_fma_mix_f32 v6, v26, v50, v6 op_sel_hi:[1,1,0]
	v_fma_mix_f32 v12, v28, v50, v12 op_sel_hi:[1,1,0]
	v_fma_mix_f32 v11, v30, v50, v11 op_sel_hi:[1,1,0]
	s_delay_alu instid0(VALU_DEP_4) | instskip(NEXT) | instid1(VALU_DEP_4)
	v_fma_mix_f32 v1, v24, v50, v1 op_sel:[1,1,0] op_sel_hi:[1,1,0]
	v_fma_mix_f32 v6, v26, v50, v6 op_sel:[1,1,0] op_sel_hi:[1,1,0]
	s_delay_alu instid0(VALU_DEP_4) | instskip(NEXT) | instid1(VALU_DEP_4)
	v_fma_mix_f32 v12, v28, v50, v12 op_sel:[1,1,0] op_sel_hi:[1,1,0]
	v_fma_mix_f32 v11, v30, v50, v11 op_sel:[1,1,0] op_sel_hi:[1,1,0]
	s_delay_alu instid0(VALU_DEP_4) | instskip(NEXT) | instid1(VALU_DEP_4)
	v_fma_mix_f32 v1, v25, v51, v1 op_sel_hi:[1,1,0]
	v_fma_mix_f32 v6, v27, v51, v6 op_sel_hi:[1,1,0]
	s_delay_alu instid0(VALU_DEP_4) | instskip(NEXT) | instid1(VALU_DEP_4)
	v_fma_mix_f32 v12, v29, v51, v12 op_sel_hi:[1,1,0]
	v_fma_mix_f32 v11, v31, v51, v11 op_sel_hi:[1,1,0]
	s_delay_alu instid0(VALU_DEP_4) | instskip(NEXT) | instid1(VALU_DEP_4)
	v_fma_mix_f32 v1, v25, v51, v1 op_sel:[1,1,0] op_sel_hi:[1,1,0]
	v_fma_mix_f32 v6, v27, v51, v6 op_sel:[1,1,0] op_sel_hi:[1,1,0]
	s_delay_alu instid0(VALU_DEP_4) | instskip(NEXT) | instid1(VALU_DEP_4)
	v_fma_mix_f32 v12, v29, v51, v12 op_sel:[1,1,0] op_sel_hi:[1,1,0]
	v_fma_mix_f32 v11, v31, v51, v11 op_sel:[1,1,0] op_sel_hi:[1,1,0]
	;; [unrolled: 23-line block ×4, first 2 shown]
	s_wait_alu 0xfffe
	s_and_not1_b32 exec_lo, exec_lo, s7
	s_cbranch_execnz .LBB92_21
; %bb.22:
	s_or_b32 exec_lo, exec_lo, s7
.LBB92_23:
	s_wait_alu 0xfffe
	s_or_b32 exec_lo, exec_lo, s6
.LBB92_24:
	s_wait_alu 0xfffe
	s_or_b32 exec_lo, exec_lo, s3
	s_cbranch_execz .LBB92_26
	s_branch .LBB92_37
.LBB92_25:
                                        ; implicit-def: $vgpr11
                                        ; implicit-def: $vgpr13
                                        ; implicit-def: $vgpr14
                                        ; implicit-def: $vgpr12
.LBB92_26:
	v_dual_mov_b32 v11, 0 :: v_dual_mov_b32 v14, 0
	v_dual_mov_b32 v13, 0 :: v_dual_mov_b32 v12, 0
	s_and_saveexec_b32 s3, s2
	s_cbranch_execz .LBB92_36
; %bb.27:
	v_dual_mov_b32 v12, 0 :: v_dual_add_nc_u32 v1, v15, v9
	v_not_b32_e32 v5, v15
	v_mov_b32_e32 v13, 0
	v_mov_b32_e32 v11, 0
	s_delay_alu instid0(VALU_DEP_4) | instskip(SKIP_1) | instid1(VALU_DEP_1)
	v_subrev_nc_u32_e32 v1, s16, v1
	s_mov_b32 s2, exec_lo
	v_dual_mov_b32 v14, 0 :: v_dual_add_nc_u32 v1, 16, v1
	s_delay_alu instid0(VALU_DEP_1) | instskip(NEXT) | instid1(VALU_DEP_1)
	v_max_i32_e32 v1, v1, v10
	v_add3_u32 v1, s16, v1, v5
	s_delay_alu instid0(VALU_DEP_1) | instskip(NEXT) | instid1(VALU_DEP_1)
	v_sub_nc_u32_e32 v5, v1, v9
	v_and_b32_e32 v1, 48, v5
	s_delay_alu instid0(VALU_DEP_1)
	v_cmpx_ne_u32_e32 48, v1
	s_cbranch_execz .LBB92_31
; %bb.28:
	v_lshrrev_b32_e32 v1, 4, v5
	v_mov_b32_e32 v11, 0
	v_mov_b32_e32 v13, 0
	s_mov_b32 s6, 0
	s_delay_alu instid0(VALU_DEP_3) | instskip(NEXT) | instid1(VALU_DEP_1)
	v_dual_mov_b32 v14, 0 :: v_dual_add_nc_u32 v1, 1, v1
	v_dual_mov_b32 v12, 0 :: v_dual_and_b32 v1, 3, v1
	s_delay_alu instid0(VALU_DEP_1)
	v_sub_nc_u32_e32 v6, 0, v1
.LBB92_29:                              ; =>This Inner Loop Header: Depth=1
	v_ashrrev_i32_e32 v1, 31, v0
	s_delay_alu instid0(VALU_DEP_2) | instskip(SKIP_2) | instid1(VALU_DEP_2)
	v_add_co_u32 v6, s7, v6, 1
	s_wait_alu 0xfffe
	s_or_b32 s6, s7, s6
	v_lshlrev_b64_e32 v[7:8], 2, v[0:1]
	v_add_nc_u32_e32 v0, 16, v0
	s_delay_alu instid0(VALU_DEP_2) | instskip(SKIP_1) | instid1(VALU_DEP_3)
	v_add_co_u32 v7, vcc_lo, s8, v7
	s_wait_alu 0xfffd
	v_add_co_ci_u32_e64 v8, null, s9, v8, vcc_lo
	global_load_b32 v1, v[7:8], off
	global_load_b128 v[15:18], v[2:3], off
	s_wait_loadcnt 0x1
	v_subrev_nc_u32_e32 v1, s16, v1
	s_delay_alu instid0(VALU_DEP_1) | instskip(NEXT) | instid1(VALU_DEP_1)
	v_lshlrev_b32_e32 v7, 2, v1
	v_ashrrev_i32_e32 v8, 31, v7
	s_delay_alu instid0(VALU_DEP_1) | instskip(SKIP_1) | instid1(VALU_DEP_1)
	v_lshlrev_b64_e32 v[7:8], 1, v[7:8]
	s_wait_kmcnt 0x0
	v_add_co_u32 v7, vcc_lo, s4, v7
	s_wait_alu 0xfffd
	s_delay_alu instid0(VALU_DEP_2)
	v_add_co_ci_u32_e64 v8, null, s5, v8, vcc_lo
	global_load_b64 v[7:8], v[7:8], off
	global_load_b128 v[19:22], v[2:3], off offset:16
	v_add_co_u32 v2, vcc_lo, 0x200, v2
	s_wait_alu 0xfffd
	v_add_co_ci_u32_e64 v3, null, 0, v3, vcc_lo
	s_wait_loadcnt 0x1
	v_fma_mix_f32 v1, v15, v7, v12 op_sel_hi:[1,1,0]
	v_fma_mix_f32 v12, v15, v7, v14 op_sel:[1,0,0] op_sel_hi:[1,1,0]
	v_fma_mix_f32 v13, v16, v7, v13 op_sel_hi:[1,1,0]
	v_fma_mix_f32 v11, v16, v7, v11 op_sel:[1,0,0] op_sel_hi:[1,1,0]
	s_delay_alu instid0(VALU_DEP_4) | instskip(NEXT) | instid1(VALU_DEP_4)
	v_fma_mix_f32 v1, v17, v7, v1 op_sel:[0,1,0] op_sel_hi:[1,1,0]
	v_fma_mix_f32 v12, v17, v7, v12 op_sel:[1,1,0] op_sel_hi:[1,1,0]
	s_delay_alu instid0(VALU_DEP_4) | instskip(NEXT) | instid1(VALU_DEP_4)
	v_fma_mix_f32 v13, v18, v7, v13 op_sel:[0,1,0] op_sel_hi:[1,1,0]
	v_fma_mix_f32 v7, v18, v7, v11 op_sel:[1,1,0] op_sel_hi:[1,1,0]
	s_wait_loadcnt 0x0
	v_fma_mix_f32 v1, v19, v8, v1 op_sel_hi:[1,1,0]
	v_fma_mix_f32 v11, v19, v8, v12 op_sel:[1,0,0] op_sel_hi:[1,1,0]
	v_fma_mix_f32 v13, v20, v8, v13 op_sel_hi:[1,1,0]
	v_fma_mix_f32 v7, v20, v8, v7 op_sel:[1,0,0] op_sel_hi:[1,1,0]
	s_delay_alu instid0(VALU_DEP_4) | instskip(NEXT) | instid1(VALU_DEP_4)
	v_fma_mix_f32 v12, v21, v8, v1 op_sel:[0,1,0] op_sel_hi:[1,1,0]
	v_fma_mix_f32 v14, v21, v8, v11 op_sel:[1,1,0] op_sel_hi:[1,1,0]
	s_delay_alu instid0(VALU_DEP_4) | instskip(NEXT) | instid1(VALU_DEP_4)
	v_fma_mix_f32 v13, v22, v8, v13 op_sel:[0,1,0] op_sel_hi:[1,1,0]
	v_fma_mix_f32 v11, v22, v8, v7 op_sel:[1,1,0] op_sel_hi:[1,1,0]
	s_wait_alu 0xfffe
	s_and_not1_b32 exec_lo, exec_lo, s6
	s_cbranch_execnz .LBB92_29
; %bb.30:
	s_or_b32 exec_lo, exec_lo, s6
.LBB92_31:
	s_wait_alu 0xfffe
	s_or_b32 exec_lo, exec_lo, s2
	s_delay_alu instid0(SALU_CYCLE_1)
	s_mov_b32 s2, exec_lo
	v_cmpx_lt_u32_e32 47, v5
	s_cbranch_execz .LBB92_35
; %bb.32:
	s_mov_b32 s6, 0
.LBB92_33:                              ; =>This Inner Loop Header: Depth=1
	v_ashrrev_i32_e32 v1, 31, v0
	s_delay_alu instid0(VALU_DEP_1) | instskip(SKIP_1) | instid1(VALU_DEP_2)
	v_lshlrev_b64_e32 v[5:6], 2, v[0:1]
	v_add_nc_u32_e32 v0, 64, v0
	v_add_co_u32 v5, vcc_lo, s8, v5
	s_wait_alu 0xfffd
	s_delay_alu instid0(VALU_DEP_3)
	v_add_co_ci_u32_e64 v6, null, s9, v6, vcc_lo
	s_clause 0x3
	global_load_b32 v1, v[5:6], off
	global_load_b32 v39, v[5:6], off offset:64
	global_load_b32 v40, v[5:6], off offset:128
	;; [unrolled: 1-line block ×3, first 2 shown]
	s_clause 0x6
	global_load_b128 v[5:8], v[2:3], off
	global_load_b128 v[15:18], v[2:3], off offset:16
	global_load_b128 v[19:22], v[2:3], off offset:512
	;; [unrolled: 1-line block ×6, first 2 shown]
	s_wait_loadcnt 0xa
	v_subrev_nc_u32_e32 v1, s16, v1
	s_wait_loadcnt 0x9
	v_subrev_nc_u32_e32 v42, s16, v39
	;; [unrolled: 2-line block ×4, first 2 shown]
	v_lshlrev_b32_e32 v39, 2, v1
	v_lshlrev_b32_e32 v41, 2, v42
	;; [unrolled: 1-line block ×3, first 2 shown]
	s_delay_alu instid0(VALU_DEP_4) | instskip(NEXT) | instid1(VALU_DEP_4)
	v_lshlrev_b32_e32 v45, 2, v44
	v_ashrrev_i32_e32 v40, 31, v39
	s_delay_alu instid0(VALU_DEP_4) | instskip(NEXT) | instid1(VALU_DEP_4)
	v_ashrrev_i32_e32 v42, 31, v41
	v_ashrrev_i32_e32 v44, 31, v43
	s_delay_alu instid0(VALU_DEP_4) | instskip(NEXT) | instid1(VALU_DEP_4)
	v_ashrrev_i32_e32 v46, 31, v45
	v_lshlrev_b64_e32 v[39:40], 1, v[39:40]
	s_wait_kmcnt 0x0
	s_delay_alu instid0(VALU_DEP_1) | instskip(SKIP_1) | instid1(VALU_DEP_2)
	v_add_co_u32 v39, vcc_lo, s4, v39
	s_wait_alu 0xfffd
	v_add_co_ci_u32_e64 v40, null, s5, v40, vcc_lo
	global_load_b64 v[47:48], v[39:40], off
	v_lshlrev_b64_e32 v[39:40], 1, v[41:42]
	s_delay_alu instid0(VALU_DEP_1) | instskip(SKIP_1) | instid1(VALU_DEP_2)
	v_add_co_u32 v39, vcc_lo, s4, v39
	s_wait_alu 0xfffd
	v_add_co_ci_u32_e64 v40, null, s5, v40, vcc_lo
	global_load_b64 v[49:50], v[39:40], off
	v_lshlrev_b64_e32 v[39:40], 1, v[43:44]
	;; [unrolled: 6-line block ×3, first 2 shown]
	s_delay_alu instid0(VALU_DEP_1) | instskip(SKIP_1) | instid1(VALU_DEP_2)
	v_add_co_u32 v39, vcc_lo, s4, v39
	s_wait_alu 0xfffd
	v_add_co_ci_u32_e64 v40, null, s5, v40, vcc_lo
	global_load_b64 v[45:46], v[39:40], off
	global_load_b128 v[39:42], v[2:3], off offset:1552
	v_add_co_u32 v2, vcc_lo, 0x800, v2
	s_wait_alu 0xfffd
	v_add_co_ci_u32_e64 v3, null, 0, v3, vcc_lo
	v_cmp_ge_i32_e32 vcc_lo, v0, v10
	s_wait_alu 0xfffe
	s_or_b32 s6, vcc_lo, s6
	s_wait_loadcnt 0x4
	v_fma_mix_f32 v1, v5, v47, v12 op_sel_hi:[1,1,0]
	v_fma_mix_f32 v5, v5, v47, v14 op_sel:[1,0,0] op_sel_hi:[1,1,0]
	v_fma_mix_f32 v12, v6, v47, v13 op_sel_hi:[1,1,0]
	v_fma_mix_f32 v6, v6, v47, v11 op_sel:[1,0,0] op_sel_hi:[1,1,0]
	s_delay_alu instid0(VALU_DEP_4) | instskip(NEXT) | instid1(VALU_DEP_4)
	v_fma_mix_f32 v1, v7, v47, v1 op_sel:[0,1,0] op_sel_hi:[1,1,0]
	v_fma_mix_f32 v5, v7, v47, v5 op_sel:[1,1,0] op_sel_hi:[1,1,0]
	s_delay_alu instid0(VALU_DEP_4) | instskip(NEXT) | instid1(VALU_DEP_4)
	v_fma_mix_f32 v7, v8, v47, v12 op_sel:[0,1,0] op_sel_hi:[1,1,0]
	v_fma_mix_f32 v6, v8, v47, v6 op_sel:[1,1,0] op_sel_hi:[1,1,0]
	s_delay_alu instid0(VALU_DEP_4) | instskip(NEXT) | instid1(VALU_DEP_4)
	v_fma_mix_f32 v1, v15, v48, v1 op_sel_hi:[1,1,0]
	v_fma_mix_f32 v5, v15, v48, v5 op_sel:[1,0,0] op_sel_hi:[1,1,0]
	s_delay_alu instid0(VALU_DEP_4) | instskip(NEXT) | instid1(VALU_DEP_4)
	v_fma_mix_f32 v7, v16, v48, v7 op_sel_hi:[1,1,0]
	v_fma_mix_f32 v6, v16, v48, v6 op_sel:[1,0,0] op_sel_hi:[1,1,0]
	s_delay_alu instid0(VALU_DEP_4) | instskip(NEXT) | instid1(VALU_DEP_4)
	v_fma_mix_f32 v1, v17, v48, v1 op_sel:[0,1,0] op_sel_hi:[1,1,0]
	v_fma_mix_f32 v5, v17, v48, v5 op_sel:[1,1,0] op_sel_hi:[1,1,0]
	s_delay_alu instid0(VALU_DEP_4) | instskip(NEXT) | instid1(VALU_DEP_4)
	v_fma_mix_f32 v7, v18, v48, v7 op_sel:[0,1,0] op_sel_hi:[1,1,0]
	v_fma_mix_f32 v6, v18, v48, v6 op_sel:[1,1,0] op_sel_hi:[1,1,0]
	s_wait_loadcnt 0x3
	v_fma_mix_f32 v1, v19, v49, v1 op_sel_hi:[1,1,0]
	v_fma_mix_f32 v5, v19, v49, v5 op_sel:[1,0,0] op_sel_hi:[1,1,0]
	v_fma_mix_f32 v7, v20, v49, v7 op_sel_hi:[1,1,0]
	v_fma_mix_f32 v6, v20, v49, v6 op_sel:[1,0,0] op_sel_hi:[1,1,0]
	s_delay_alu instid0(VALU_DEP_4) | instskip(NEXT) | instid1(VALU_DEP_4)
	v_fma_mix_f32 v1, v21, v49, v1 op_sel:[0,1,0] op_sel_hi:[1,1,0]
	v_fma_mix_f32 v5, v21, v49, v5 op_sel:[1,1,0] op_sel_hi:[1,1,0]
	s_delay_alu instid0(VALU_DEP_4) | instskip(NEXT) | instid1(VALU_DEP_4)
	v_fma_mix_f32 v7, v22, v49, v7 op_sel:[0,1,0] op_sel_hi:[1,1,0]
	v_fma_mix_f32 v6, v22, v49, v6 op_sel:[1,1,0] op_sel_hi:[1,1,0]
	s_delay_alu instid0(VALU_DEP_4) | instskip(NEXT) | instid1(VALU_DEP_4)
	v_fma_mix_f32 v1, v23, v50, v1 op_sel_hi:[1,1,0]
	v_fma_mix_f32 v5, v23, v50, v5 op_sel:[1,0,0] op_sel_hi:[1,1,0]
	s_delay_alu instid0(VALU_DEP_4) | instskip(NEXT) | instid1(VALU_DEP_4)
	v_fma_mix_f32 v7, v24, v50, v7 op_sel_hi:[1,1,0]
	v_fma_mix_f32 v6, v24, v50, v6 op_sel:[1,0,0] op_sel_hi:[1,1,0]
	s_delay_alu instid0(VALU_DEP_4) | instskip(NEXT) | instid1(VALU_DEP_4)
	v_fma_mix_f32 v1, v25, v50, v1 op_sel:[0,1,0] op_sel_hi:[1,1,0]
	v_fma_mix_f32 v5, v25, v50, v5 op_sel:[1,1,0] op_sel_hi:[1,1,0]
	s_delay_alu instid0(VALU_DEP_4) | instskip(NEXT) | instid1(VALU_DEP_4)
	v_fma_mix_f32 v7, v26, v50, v7 op_sel:[0,1,0] op_sel_hi:[1,1,0]
	v_fma_mix_f32 v6, v26, v50, v6 op_sel:[1,1,0] op_sel_hi:[1,1,0]
	;; [unrolled: 23-line block ×3, first 2 shown]
	s_wait_loadcnt 0x1
	v_fma_mix_f32 v1, v35, v45, v1 op_sel_hi:[1,1,0]
	v_fma_mix_f32 v5, v35, v45, v5 op_sel:[1,0,0] op_sel_hi:[1,1,0]
	v_fma_mix_f32 v7, v36, v45, v7 op_sel_hi:[1,1,0]
	v_fma_mix_f32 v6, v36, v45, v6 op_sel:[1,0,0] op_sel_hi:[1,1,0]
	s_delay_alu instid0(VALU_DEP_4) | instskip(NEXT) | instid1(VALU_DEP_4)
	v_fma_mix_f32 v1, v37, v45, v1 op_sel:[0,1,0] op_sel_hi:[1,1,0]
	v_fma_mix_f32 v5, v37, v45, v5 op_sel:[1,1,0] op_sel_hi:[1,1,0]
	s_delay_alu instid0(VALU_DEP_4) | instskip(NEXT) | instid1(VALU_DEP_4)
	v_fma_mix_f32 v7, v38, v45, v7 op_sel:[0,1,0] op_sel_hi:[1,1,0]
	v_fma_mix_f32 v6, v38, v45, v6 op_sel:[1,1,0] op_sel_hi:[1,1,0]
	s_wait_loadcnt 0x0
	v_fma_mix_f32 v1, v39, v46, v1 op_sel_hi:[1,1,0]
	v_fma_mix_f32 v5, v39, v46, v5 op_sel:[1,0,0] op_sel_hi:[1,1,0]
	v_fma_mix_f32 v7, v40, v46, v7 op_sel_hi:[1,1,0]
	v_fma_mix_f32 v6, v40, v46, v6 op_sel:[1,0,0] op_sel_hi:[1,1,0]
	s_delay_alu instid0(VALU_DEP_4) | instskip(NEXT) | instid1(VALU_DEP_4)
	v_fma_mix_f32 v12, v41, v46, v1 op_sel:[0,1,0] op_sel_hi:[1,1,0]
	v_fma_mix_f32 v14, v41, v46, v5 op_sel:[1,1,0] op_sel_hi:[1,1,0]
	s_delay_alu instid0(VALU_DEP_4) | instskip(NEXT) | instid1(VALU_DEP_4)
	v_fma_mix_f32 v13, v42, v46, v7 op_sel:[0,1,0] op_sel_hi:[1,1,0]
	v_fma_mix_f32 v11, v42, v46, v6 op_sel:[1,1,0] op_sel_hi:[1,1,0]
	s_wait_alu 0xfffe
	s_and_not1_b32 exec_lo, exec_lo, s6
	s_cbranch_execnz .LBB92_33
; %bb.34:
	s_or_b32 exec_lo, exec_lo, s6
.LBB92_35:
	s_wait_alu 0xfffe
	s_or_b32 exec_lo, exec_lo, s2
.LBB92_36:
	s_wait_alu 0xfffe
	s_or_b32 exec_lo, exec_lo, s3
.LBB92_37:
	v_mbcnt_lo_u32_b32 v0, -1, 0
	s_mov_b32 s2, -1
	s_delay_alu instid0(VALU_DEP_1) | instskip(SKIP_1) | instid1(VALU_DEP_2)
	v_xor_b32_e32 v1, 8, v0
	v_xor_b32_e32 v6, 4, v0
	v_cmp_gt_i32_e32 vcc_lo, 32, v1
	s_wait_alu 0xfffd
	v_cndmask_b32_e32 v1, v0, v1, vcc_lo
	s_delay_alu instid0(VALU_DEP_3) | instskip(SKIP_2) | instid1(VALU_DEP_1)
	v_cmp_gt_i32_e32 vcc_lo, 32, v6
	s_wait_alu 0xfffd
	v_cndmask_b32_e32 v6, v0, v6, vcc_lo
	v_lshlrev_b32_e32 v6, 2, v6
	v_lshlrev_b32_e32 v1, 2, v1
	ds_bpermute_b32 v2, v1, v12
	s_wait_dscnt 0x0
	v_add_f32_e32 v2, v12, v2
	ds_bpermute_b32 v3, v1, v14
	ds_bpermute_b32 v5, v1, v13
	;; [unrolled: 1-line block ×4, first 2 shown]
	s_wait_dscnt 0x3
	v_add_f32_e32 v3, v14, v3
	s_wait_dscnt 0x2
	v_add_f32_e32 v5, v13, v5
	;; [unrolled: 2-line block ×3, first 2 shown]
	v_xor_b32_e32 v11, 2, v0
	s_wait_dscnt 0x0
	v_add_f32_e32 v2, v2, v7
	ds_bpermute_b32 v8, v6, v3
	ds_bpermute_b32 v10, v6, v5
	ds_bpermute_b32 v6, v6, v1
	v_cmp_gt_i32_e32 vcc_lo, 32, v11
	s_wait_alu 0xfffd
	v_cndmask_b32_e32 v11, v0, v11, vcc_lo
	s_wait_dscnt 0x2
	v_add_f32_e32 v3, v3, v8
	s_wait_dscnt 0x1
	v_add_f32_e32 v5, v5, v10
	s_wait_dscnt 0x0
	v_dual_add_f32 v6, v1, v6 :: v_dual_lshlrev_b32 v11, 2, v11
	ds_bpermute_b32 v1, v11, v2
	ds_bpermute_b32 v7, v11, v3
	;; [unrolled: 1-line block ×4, first 2 shown]
	v_xor_b32_e32 v11, 1, v0
	s_delay_alu instid0(VALU_DEP_1) | instskip(SKIP_4) | instid1(VALU_DEP_2)
	v_cmp_gt_i32_e32 vcc_lo, 32, v11
	s_wait_alu 0xfffd
	v_cndmask_b32_e32 v0, v0, v11, vcc_lo
	v_cmp_eq_u32_e32 vcc_lo, 15, v9
	s_wait_dscnt 0x3
	v_dual_add_f32 v0, v2, v1 :: v_dual_lshlrev_b32 v11, 2, v0
	s_wait_dscnt 0x1
	v_dual_add_f32 v1, v3, v7 :: v_dual_add_f32 v2, v5, v8
	s_wait_dscnt 0x0
	v_add_f32_e32 v3, v6, v10
	ds_bpermute_b32 v5, v11, v0
	ds_bpermute_b32 v6, v11, v1
	;; [unrolled: 1-line block ×4, first 2 shown]
	s_and_b32 exec_lo, exec_lo, vcc_lo
	s_cbranch_execz .LBB92_10
; %bb.38:
	s_load_b64 s[0:1], s[0:1], 0x50
	s_wait_dscnt 0x2
	v_dual_add_f32 v0, v0, v5 :: v_dual_add_f32 v1, v1, v6
	s_wait_dscnt 0x0
	v_dual_add_f32 v2, v2, v7 :: v_dual_add_f32 v3, v3, v8
	v_lshlrev_b32_e32 v4, 2, v4
	s_delay_alu instid0(VALU_DEP_3) | instskip(NEXT) | instid1(VALU_DEP_3)
	v_dual_mul_f32 v0, s14, v0 :: v_dual_mul_f32 v1, s14, v1
	v_dual_mul_f32 v2, s14, v2 :: v_dual_mul_f32 v3, s14, v3
	s_cmp_eq_f32 s12, 0
	s_cbranch_scc0 .LBB92_40
; %bb.39:
	v_ashrrev_i32_e32 v5, 31, v4
	s_mov_b32 s2, 0
	s_delay_alu instid0(VALU_DEP_1) | instskip(SKIP_1) | instid1(VALU_DEP_1)
	v_lshlrev_b64_e32 v[5:6], 2, v[4:5]
	s_wait_kmcnt 0x0
	v_add_co_u32 v5, vcc_lo, s0, v5
	s_wait_alu 0xfffd
	s_delay_alu instid0(VALU_DEP_2)
	v_add_co_ci_u32_e64 v6, null, s1, v6, vcc_lo
	global_store_b128 v[5:6], v[0:3], off
.LBB92_40:
	s_wait_alu 0xfffe
	s_and_not1_b32 vcc_lo, exec_lo, s2
	s_wait_alu 0xfffe
	s_cbranch_vccnz .LBB92_10
; %bb.41:
	v_ashrrev_i32_e32 v5, 31, v4
	s_delay_alu instid0(VALU_DEP_1) | instskip(SKIP_1) | instid1(VALU_DEP_1)
	v_lshlrev_b64_e32 v[4:5], 2, v[4:5]
	s_wait_kmcnt 0x0
	v_add_co_u32 v8, vcc_lo, s0, v4
	s_wait_alu 0xfffd
	s_delay_alu instid0(VALU_DEP_2)
	v_add_co_ci_u32_e64 v9, null, s1, v5, vcc_lo
	global_load_b128 v[4:7], v[8:9], off
	s_wait_loadcnt 0x0
	v_dual_fmac_f32 v0, s12, v4 :: v_dual_fmac_f32 v1, s12, v5
	v_dual_fmac_f32 v2, s12, v6 :: v_dual_fmac_f32 v3, s12, v7
	global_store_b128 v[8:9], v[0:3], off
	s_endpgm
	.section	.rodata,"a",@progbits
	.p2align	6, 0x0
	.amdhsa_kernel _ZN9rocsparseL18bsrxmvn_4x4_kernelILj128ELj16EfiiDF16_DF16_fEEvT3_20rocsparse_direction_NS_24const_host_device_scalarIT1_EES1_PKS1_PKT2_SA_S7_PKT4_PKT5_S5_PT6_21rocsparse_index_base_b
		.amdhsa_group_segment_fixed_size 0
		.amdhsa_private_segment_fixed_size 0
		.amdhsa_kernarg_size 96
		.amdhsa_user_sgpr_count 2
		.amdhsa_user_sgpr_dispatch_ptr 0
		.amdhsa_user_sgpr_queue_ptr 0
		.amdhsa_user_sgpr_kernarg_segment_ptr 1
		.amdhsa_user_sgpr_dispatch_id 0
		.amdhsa_user_sgpr_private_segment_size 0
		.amdhsa_wavefront_size32 1
		.amdhsa_uses_dynamic_stack 0
		.amdhsa_enable_private_segment 0
		.amdhsa_system_sgpr_workgroup_id_x 1
		.amdhsa_system_sgpr_workgroup_id_y 0
		.amdhsa_system_sgpr_workgroup_id_z 0
		.amdhsa_system_sgpr_workgroup_info 0
		.amdhsa_system_vgpr_workitem_id 0
		.amdhsa_next_free_vgpr 56
		.amdhsa_next_free_sgpr 18
		.amdhsa_reserve_vcc 1
		.amdhsa_float_round_mode_32 0
		.amdhsa_float_round_mode_16_64 0
		.amdhsa_float_denorm_mode_32 3
		.amdhsa_float_denorm_mode_16_64 3
		.amdhsa_fp16_overflow 0
		.amdhsa_workgroup_processor_mode 1
		.amdhsa_memory_ordered 1
		.amdhsa_forward_progress 1
		.amdhsa_inst_pref_size 35
		.amdhsa_round_robin_scheduling 0
		.amdhsa_exception_fp_ieee_invalid_op 0
		.amdhsa_exception_fp_denorm_src 0
		.amdhsa_exception_fp_ieee_div_zero 0
		.amdhsa_exception_fp_ieee_overflow 0
		.amdhsa_exception_fp_ieee_underflow 0
		.amdhsa_exception_fp_ieee_inexact 0
		.amdhsa_exception_int_div_zero 0
	.end_amdhsa_kernel
	.section	.text._ZN9rocsparseL18bsrxmvn_4x4_kernelILj128ELj16EfiiDF16_DF16_fEEvT3_20rocsparse_direction_NS_24const_host_device_scalarIT1_EES1_PKS1_PKT2_SA_S7_PKT4_PKT5_S5_PT6_21rocsparse_index_base_b,"axG",@progbits,_ZN9rocsparseL18bsrxmvn_4x4_kernelILj128ELj16EfiiDF16_DF16_fEEvT3_20rocsparse_direction_NS_24const_host_device_scalarIT1_EES1_PKS1_PKT2_SA_S7_PKT4_PKT5_S5_PT6_21rocsparse_index_base_b,comdat
.Lfunc_end92:
	.size	_ZN9rocsparseL18bsrxmvn_4x4_kernelILj128ELj16EfiiDF16_DF16_fEEvT3_20rocsparse_direction_NS_24const_host_device_scalarIT1_EES1_PKS1_PKT2_SA_S7_PKT4_PKT5_S5_PT6_21rocsparse_index_base_b, .Lfunc_end92-_ZN9rocsparseL18bsrxmvn_4x4_kernelILj128ELj16EfiiDF16_DF16_fEEvT3_20rocsparse_direction_NS_24const_host_device_scalarIT1_EES1_PKS1_PKT2_SA_S7_PKT4_PKT5_S5_PT6_21rocsparse_index_base_b
                                        ; -- End function
	.set _ZN9rocsparseL18bsrxmvn_4x4_kernelILj128ELj16EfiiDF16_DF16_fEEvT3_20rocsparse_direction_NS_24const_host_device_scalarIT1_EES1_PKS1_PKT2_SA_S7_PKT4_PKT5_S5_PT6_21rocsparse_index_base_b.num_vgpr, 56
	.set _ZN9rocsparseL18bsrxmvn_4x4_kernelILj128ELj16EfiiDF16_DF16_fEEvT3_20rocsparse_direction_NS_24const_host_device_scalarIT1_EES1_PKS1_PKT2_SA_S7_PKT4_PKT5_S5_PT6_21rocsparse_index_base_b.num_agpr, 0
	.set _ZN9rocsparseL18bsrxmvn_4x4_kernelILj128ELj16EfiiDF16_DF16_fEEvT3_20rocsparse_direction_NS_24const_host_device_scalarIT1_EES1_PKS1_PKT2_SA_S7_PKT4_PKT5_S5_PT6_21rocsparse_index_base_b.numbered_sgpr, 18
	.set _ZN9rocsparseL18bsrxmvn_4x4_kernelILj128ELj16EfiiDF16_DF16_fEEvT3_20rocsparse_direction_NS_24const_host_device_scalarIT1_EES1_PKS1_PKT2_SA_S7_PKT4_PKT5_S5_PT6_21rocsparse_index_base_b.num_named_barrier, 0
	.set _ZN9rocsparseL18bsrxmvn_4x4_kernelILj128ELj16EfiiDF16_DF16_fEEvT3_20rocsparse_direction_NS_24const_host_device_scalarIT1_EES1_PKS1_PKT2_SA_S7_PKT4_PKT5_S5_PT6_21rocsparse_index_base_b.private_seg_size, 0
	.set _ZN9rocsparseL18bsrxmvn_4x4_kernelILj128ELj16EfiiDF16_DF16_fEEvT3_20rocsparse_direction_NS_24const_host_device_scalarIT1_EES1_PKS1_PKT2_SA_S7_PKT4_PKT5_S5_PT6_21rocsparse_index_base_b.uses_vcc, 1
	.set _ZN9rocsparseL18bsrxmvn_4x4_kernelILj128ELj16EfiiDF16_DF16_fEEvT3_20rocsparse_direction_NS_24const_host_device_scalarIT1_EES1_PKS1_PKT2_SA_S7_PKT4_PKT5_S5_PT6_21rocsparse_index_base_b.uses_flat_scratch, 0
	.set _ZN9rocsparseL18bsrxmvn_4x4_kernelILj128ELj16EfiiDF16_DF16_fEEvT3_20rocsparse_direction_NS_24const_host_device_scalarIT1_EES1_PKS1_PKT2_SA_S7_PKT4_PKT5_S5_PT6_21rocsparse_index_base_b.has_dyn_sized_stack, 0
	.set _ZN9rocsparseL18bsrxmvn_4x4_kernelILj128ELj16EfiiDF16_DF16_fEEvT3_20rocsparse_direction_NS_24const_host_device_scalarIT1_EES1_PKS1_PKT2_SA_S7_PKT4_PKT5_S5_PT6_21rocsparse_index_base_b.has_recursion, 0
	.set _ZN9rocsparseL18bsrxmvn_4x4_kernelILj128ELj16EfiiDF16_DF16_fEEvT3_20rocsparse_direction_NS_24const_host_device_scalarIT1_EES1_PKS1_PKT2_SA_S7_PKT4_PKT5_S5_PT6_21rocsparse_index_base_b.has_indirect_call, 0
	.section	.AMDGPU.csdata,"",@progbits
; Kernel info:
; codeLenInByte = 4452
; TotalNumSgprs: 20
; NumVgprs: 56
; ScratchSize: 0
; MemoryBound: 0
; FloatMode: 240
; IeeeMode: 1
; LDSByteSize: 0 bytes/workgroup (compile time only)
; SGPRBlocks: 0
; VGPRBlocks: 6
; NumSGPRsForWavesPerEU: 20
; NumVGPRsForWavesPerEU: 56
; Occupancy: 16
; WaveLimiterHint : 1
; COMPUTE_PGM_RSRC2:SCRATCH_EN: 0
; COMPUTE_PGM_RSRC2:USER_SGPR: 2
; COMPUTE_PGM_RSRC2:TRAP_HANDLER: 0
; COMPUTE_PGM_RSRC2:TGID_X_EN: 1
; COMPUTE_PGM_RSRC2:TGID_Y_EN: 0
; COMPUTE_PGM_RSRC2:TGID_Z_EN: 0
; COMPUTE_PGM_RSRC2:TIDIG_COMP_CNT: 0
	.section	.text._ZN9rocsparseL18bsrxmvn_4x4_kernelILj128ELj32EfiiDF16_DF16_fEEvT3_20rocsparse_direction_NS_24const_host_device_scalarIT1_EES1_PKS1_PKT2_SA_S7_PKT4_PKT5_S5_PT6_21rocsparse_index_base_b,"axG",@progbits,_ZN9rocsparseL18bsrxmvn_4x4_kernelILj128ELj32EfiiDF16_DF16_fEEvT3_20rocsparse_direction_NS_24const_host_device_scalarIT1_EES1_PKS1_PKT2_SA_S7_PKT4_PKT5_S5_PT6_21rocsparse_index_base_b,comdat
	.globl	_ZN9rocsparseL18bsrxmvn_4x4_kernelILj128ELj32EfiiDF16_DF16_fEEvT3_20rocsparse_direction_NS_24const_host_device_scalarIT1_EES1_PKS1_PKT2_SA_S7_PKT4_PKT5_S5_PT6_21rocsparse_index_base_b ; -- Begin function _ZN9rocsparseL18bsrxmvn_4x4_kernelILj128ELj32EfiiDF16_DF16_fEEvT3_20rocsparse_direction_NS_24const_host_device_scalarIT1_EES1_PKS1_PKT2_SA_S7_PKT4_PKT5_S5_PT6_21rocsparse_index_base_b
	.p2align	8
	.type	_ZN9rocsparseL18bsrxmvn_4x4_kernelILj128ELj32EfiiDF16_DF16_fEEvT3_20rocsparse_direction_NS_24const_host_device_scalarIT1_EES1_PKS1_PKT2_SA_S7_PKT4_PKT5_S5_PT6_21rocsparse_index_base_b,@function
_ZN9rocsparseL18bsrxmvn_4x4_kernelILj128ELj32EfiiDF16_DF16_fEEvT3_20rocsparse_direction_NS_24const_host_device_scalarIT1_EES1_PKS1_PKT2_SA_S7_PKT4_PKT5_S5_PT6_21rocsparse_index_base_b: ; @_ZN9rocsparseL18bsrxmvn_4x4_kernelILj128ELj32EfiiDF16_DF16_fEEvT3_20rocsparse_direction_NS_24const_host_device_scalarIT1_EES1_PKS1_PKT2_SA_S7_PKT4_PKT5_S5_PT6_21rocsparse_index_base_b
; %bb.0:
	s_clause 0x2
	s_load_b64 s[16:17], s[0:1], 0x58
	s_load_b64 s[14:15], s[0:1], 0x8
	;; [unrolled: 1-line block ×3, first 2 shown]
	s_wait_kmcnt 0x0
	s_bitcmp1_b32 s17, 0
	s_cselect_b32 s2, -1, 0
	s_delay_alu instid0(SALU_CYCLE_1)
	s_and_b32 vcc_lo, exec_lo, s2
	s_xor_b32 s2, s2, -1
	s_cbranch_vccnz .LBB93_2
; %bb.1:
	s_load_b32 s14, s[14:15], 0x0
.LBB93_2:
	s_and_not1_b32 vcc_lo, exec_lo, s2
	s_cbranch_vccnz .LBB93_4
; %bb.3:
	s_load_b32 s12, s[12:13], 0x0
.LBB93_4:
	s_wait_kmcnt 0x0
	s_cmp_neq_f32 s14, 0
	s_mov_b32 s6, 0
	s_cselect_b32 s2, -1, 0
	s_cmp_neq_f32 s12, 1.0
	s_cselect_b32 s3, -1, 0
	s_delay_alu instid0(SALU_CYCLE_1) | instskip(NEXT) | instid1(SALU_CYCLE_1)
	s_or_b32 s2, s2, s3
	s_and_not1_b32 vcc_lo, exec_lo, s2
	s_cbranch_vccnz .LBB93_10
; %bb.5:
	s_clause 0x1
	s_load_b64 s[4:5], s[0:1], 0x18
	s_load_b64 s[2:3], s[0:1], 0x0
	v_lshrrev_b32_e32 v1, 5, v0
	s_delay_alu instid0(VALU_DEP_1)
	v_lshl_or_b32 v4, ttmp9, 2, v1
	s_wait_kmcnt 0x0
	s_cmp_lg_u64 s[4:5], 0
	s_cbranch_scc0 .LBB93_11
; %bb.6:
	s_load_b32 s6, s[0:1], 0x10
	s_mov_b32 s7, 0
                                        ; implicit-def: $vgpr1
	s_wait_kmcnt 0x0
	v_cmp_gt_i32_e32 vcc_lo, s6, v4
	s_mov_b32 s6, 0
	s_and_saveexec_b32 s8, vcc_lo
	s_delay_alu instid0(SALU_CYCLE_1)
	s_xor_b32 s8, exec_lo, s8
	s_cbranch_execz .LBB93_8
; %bb.7:
	v_ashrrev_i32_e32 v5, 31, v4
	s_mov_b32 s6, exec_lo
	s_delay_alu instid0(VALU_DEP_1) | instskip(NEXT) | instid1(VALU_DEP_1)
	v_lshlrev_b64_e32 v[1:2], 2, v[4:5]
	v_add_co_u32 v1, vcc_lo, s4, v1
	s_delay_alu instid0(VALU_DEP_1)
	v_add_co_ci_u32_e64 v2, null, s5, v2, vcc_lo
	global_load_b32 v1, v[1:2], off
	s_wait_loadcnt 0x0
	v_subrev_nc_u32_e32 v1, s16, v1
.LBB93_8:
	s_or_b32 exec_lo, exec_lo, s8
	s_delay_alu instid0(SALU_CYCLE_1)
	s_and_b32 vcc_lo, exec_lo, s7
	s_wait_alu 0xfffe
	s_cbranch_vccz .LBB93_12
.LBB93_9:
	v_cmp_gt_i32_e32 vcc_lo, s2, v4
	s_and_not1_b32 s2, s6, exec_lo
	s_and_b32 s4, vcc_lo, exec_lo
	s_wait_alu 0xfffe
	s_or_b32 s6, s2, s4
	s_wait_alu 0xfffe
	s_and_saveexec_b32 s2, s6
	s_cbranch_execnz .LBB93_13
.LBB93_10:
	s_endpgm
.LBB93_11:
                                        ; implicit-def: $vgpr1
	s_cbranch_execnz .LBB93_9
.LBB93_12:
	v_mov_b32_e32 v4, v1
	s_and_saveexec_b32 s2, s6
	s_cbranch_execz .LBB93_10
.LBB93_13:
	s_load_b256 s[4:11], s[0:1], 0x20
	s_delay_alu instid0(VALU_DEP_1) | instskip(SKIP_1) | instid1(VALU_DEP_2)
	v_ashrrev_i32_e32 v5, 31, v4
	v_and_b32_e32 v9, 31, v0
	v_lshlrev_b64_e32 v[1:2], 2, v[4:5]
	s_wait_kmcnt 0x0
	s_delay_alu instid0(VALU_DEP_1) | instskip(SKIP_1) | instid1(VALU_DEP_2)
	v_add_co_u32 v5, vcc_lo, s4, v1
	s_wait_alu 0xfffd
	v_add_co_ci_u32_e64 v6, null, s5, v2, vcc_lo
	v_add_co_u32 v1, vcc_lo, s6, v1
	s_wait_alu 0xfffd
	v_add_co_ci_u32_e64 v2, null, s7, v2, vcc_lo
	global_load_b32 v15, v[5:6], off
	v_add_co_u32 v3, vcc_lo, v5, 4
	s_wait_alu 0xfffd
	v_add_co_ci_u32_e64 v5, null, 0, v6, vcc_lo
	s_cmp_eq_u64 s[6:7], 0
	s_load_b64 s[4:5], s[0:1], 0x40
	s_cselect_b32 vcc_lo, -1, 0
	s_cmp_eq_u32 s3, 1
	s_wait_alu 0xfffe
	v_dual_cndmask_b32 v2, v2, v5 :: v_dual_cndmask_b32 v1, v1, v3
	global_load_b32 v5, v[1:2], off
	s_wait_loadcnt 0x1
	v_subrev_nc_u32_e32 v0, s16, v15
	s_delay_alu instid0(VALU_DEP_1) | instskip(NEXT) | instid1(VALU_DEP_1)
	v_add_nc_u32_e32 v0, v0, v9
	v_ashrrev_i32_e32 v1, 31, v0
	s_wait_loadcnt 0x0
	v_subrev_nc_u32_e32 v10, s16, v5
	s_delay_alu instid0(VALU_DEP_2) | instskip(NEXT) | instid1(VALU_DEP_2)
	v_lshlrev_b64_e32 v[2:3], 5, v[0:1]
	v_cmp_lt_i32_e64 s2, v0, v10
	s_delay_alu instid0(VALU_DEP_2) | instskip(SKIP_1) | instid1(VALU_DEP_3)
	v_add_co_u32 v2, vcc_lo, s10, v2
	s_wait_alu 0xfffd
	v_add_co_ci_u32_e64 v3, null, s11, v3, vcc_lo
	s_cbranch_scc1 .LBB93_25
; %bb.14:
	v_dual_mov_b32 v11, 0 :: v_dual_mov_b32 v14, 0
	v_dual_mov_b32 v13, 0 :: v_dual_mov_b32 v12, 0
	s_and_saveexec_b32 s3, s2
	s_cbranch_execz .LBB93_24
; %bb.15:
	v_dual_mov_b32 v12, 0 :: v_dual_add_nc_u32 v1, v15, v9
	v_not_b32_e32 v5, v15
	v_dual_mov_b32 v11, 0 :: v_dual_mov_b32 v8, v3
	s_delay_alu instid0(VALU_DEP_3) | instskip(SKIP_3) | instid1(VALU_DEP_3)
	v_subrev_nc_u32_e32 v1, s16, v1
	v_mov_b32_e32 v7, v2
	s_mov_b32 s6, exec_lo
	v_dual_mov_b32 v14, 0 :: v_dual_mov_b32 v13, 0
	v_add_nc_u32_e32 v1, 32, v1
	s_delay_alu instid0(VALU_DEP_1) | instskip(NEXT) | instid1(VALU_DEP_1)
	v_max_i32_e32 v1, v1, v10
	v_add3_u32 v1, s16, v1, v5
	v_mov_b32_e32 v5, v0
	s_delay_alu instid0(VALU_DEP_2) | instskip(NEXT) | instid1(VALU_DEP_1)
	v_sub_nc_u32_e32 v1, v1, v9
	v_and_b32_e32 v6, 0x60, v1
	s_delay_alu instid0(VALU_DEP_1)
	v_cmpx_ne_u32_e32 0x60, v6
	s_cbranch_execz .LBB93_19
; %bb.16:
	v_lshrrev_b32_e32 v5, 5, v1
	v_mov_b32_e32 v13, 0
	s_mov_b32 s7, 0
	v_dual_mov_b32 v8, v3 :: v_dual_mov_b32 v7, v2
	s_delay_alu instid0(VALU_DEP_3) | instskip(SKIP_1) | instid1(VALU_DEP_2)
	v_dual_mov_b32 v14, 0 :: v_dual_add_nc_u32 v5, 1, v5
	v_dual_mov_b32 v11, 0 :: v_dual_mov_b32 v12, 0
	v_dual_mov_b32 v5, v0 :: v_dual_and_b32 v6, 3, v5
	s_delay_alu instid0(VALU_DEP_1)
	v_sub_nc_u32_e32 v16, 0, v6
.LBB93_17:                              ; =>This Inner Loop Header: Depth=1
	s_delay_alu instid0(VALU_DEP_2) | instskip(NEXT) | instid1(VALU_DEP_2)
	v_ashrrev_i32_e32 v6, 31, v5
	v_add_co_u32 v16, s10, v16, 1
	s_wait_alu 0xfffe
	s_or_b32 s7, s10, s7
	s_delay_alu instid0(VALU_DEP_2) | instskip(SKIP_1) | instid1(VALU_DEP_2)
	v_lshlrev_b64_e32 v[17:18], 2, v[5:6]
	v_add_nc_u32_e32 v5, 32, v5
	v_add_co_u32 v17, vcc_lo, s8, v17
	s_wait_alu 0xfffd
	s_delay_alu instid0(VALU_DEP_3)
	v_add_co_ci_u32_e64 v18, null, s9, v18, vcc_lo
	global_load_b32 v6, v[17:18], off
	s_clause 0x1
	global_load_b128 v[17:20], v[7:8], off
	global_load_b128 v[21:24], v[7:8], off offset:16
	s_wait_loadcnt 0x2
	v_subrev_nc_u32_e32 v6, s16, v6
	s_delay_alu instid0(VALU_DEP_1) | instskip(NEXT) | instid1(VALU_DEP_1)
	v_lshlrev_b32_e32 v25, 2, v6
	v_ashrrev_i32_e32 v26, 31, v25
	s_delay_alu instid0(VALU_DEP_1) | instskip(SKIP_1) | instid1(VALU_DEP_1)
	v_lshlrev_b64_e32 v[25:26], 1, v[25:26]
	s_wait_kmcnt 0x0
	v_add_co_u32 v25, vcc_lo, s4, v25
	s_wait_alu 0xfffd
	s_delay_alu instid0(VALU_DEP_2)
	v_add_co_ci_u32_e64 v26, null, s5, v26, vcc_lo
	v_add_co_u32 v7, vcc_lo, 0x400, v7
	s_wait_alu 0xfffd
	v_add_co_ci_u32_e64 v8, null, 0, v8, vcc_lo
	global_load_b64 v[25:26], v[25:26], off
	s_wait_loadcnt 0x0
	v_fma_mix_f32 v6, v17, v25, v12 op_sel_hi:[1,1,0]
	v_fma_mix_f32 v12, v19, v25, v14 op_sel_hi:[1,1,0]
	;; [unrolled: 1-line block ×4, first 2 shown]
	s_delay_alu instid0(VALU_DEP_4) | instskip(NEXT) | instid1(VALU_DEP_4)
	v_fma_mix_f32 v6, v17, v25, v6 op_sel:[1,1,0] op_sel_hi:[1,1,0]
	v_fma_mix_f32 v12, v19, v25, v12 op_sel:[1,1,0] op_sel_hi:[1,1,0]
	s_delay_alu instid0(VALU_DEP_4) | instskip(NEXT) | instid1(VALU_DEP_4)
	v_fma_mix_f32 v13, v21, v25, v13 op_sel:[1,1,0] op_sel_hi:[1,1,0]
	v_fma_mix_f32 v11, v23, v25, v11 op_sel:[1,1,0] op_sel_hi:[1,1,0]
	s_delay_alu instid0(VALU_DEP_4) | instskip(NEXT) | instid1(VALU_DEP_4)
	v_fma_mix_f32 v6, v18, v26, v6 op_sel_hi:[1,1,0]
	v_fma_mix_f32 v14, v20, v26, v12 op_sel_hi:[1,1,0]
	s_delay_alu instid0(VALU_DEP_4) | instskip(NEXT) | instid1(VALU_DEP_4)
	v_fma_mix_f32 v13, v22, v26, v13 op_sel_hi:[1,1,0]
	v_fma_mix_f32 v11, v24, v26, v11 op_sel_hi:[1,1,0]
	s_delay_alu instid0(VALU_DEP_4) | instskip(NEXT) | instid1(VALU_DEP_4)
	v_fma_mix_f32 v12, v18, v26, v6 op_sel:[1,1,0] op_sel_hi:[1,1,0]
	v_fma_mix_f32 v14, v20, v26, v14 op_sel:[1,1,0] op_sel_hi:[1,1,0]
	s_delay_alu instid0(VALU_DEP_4) | instskip(NEXT) | instid1(VALU_DEP_4)
	v_fma_mix_f32 v13, v22, v26, v13 op_sel:[1,1,0] op_sel_hi:[1,1,0]
	v_fma_mix_f32 v11, v24, v26, v11 op_sel:[1,1,0] op_sel_hi:[1,1,0]
	s_wait_alu 0xfffe
	s_and_not1_b32 exec_lo, exec_lo, s7
	s_cbranch_execnz .LBB93_17
; %bb.18:
	s_or_b32 exec_lo, exec_lo, s7
.LBB93_19:
	s_wait_alu 0xfffe
	s_or_b32 exec_lo, exec_lo, s6
	s_delay_alu instid0(SALU_CYCLE_1)
	s_mov_b32 s6, exec_lo
	v_cmpx_lt_u32_e32 0x5f, v1
	s_cbranch_execz .LBB93_23
; %bb.20:
	s_mov_b32 s7, 0
.LBB93_21:                              ; =>This Inner Loop Header: Depth=1
	v_ashrrev_i32_e32 v6, 31, v5
	s_delay_alu instid0(VALU_DEP_1) | instskip(SKIP_1) | instid1(VALU_DEP_2)
	v_lshlrev_b64_e32 v[16:17], 2, v[5:6]
	v_add_nc_u32_e32 v5, 0x80, v5
	v_add_co_u32 v16, vcc_lo, s8, v16
	s_wait_alu 0xfffd
	s_delay_alu instid0(VALU_DEP_3)
	v_add_co_ci_u32_e64 v17, null, s9, v17, vcc_lo
	s_clause 0x3
	global_load_b32 v1, v[16:17], off
	global_load_b32 v6, v[16:17], off offset:128
	global_load_b32 v48, v[16:17], off offset:256
	;; [unrolled: 1-line block ×3, first 2 shown]
	s_clause 0x7
	global_load_b128 v[16:19], v[7:8], off
	global_load_b128 v[20:23], v[7:8], off offset:16
	global_load_b128 v[24:27], v[7:8], off offset:1024
	;; [unrolled: 1-line block ×7, first 2 shown]
	s_wait_loadcnt 0xb
	v_subrev_nc_u32_e32 v1, s16, v1
	s_wait_loadcnt 0xa
	v_subrev_nc_u32_e32 v6, s16, v6
	;; [unrolled: 2-line block ×4, first 2 shown]
	v_lshlrev_b32_e32 v48, 2, v1
	v_lshlrev_b32_e32 v50, 2, v6
	;; [unrolled: 1-line block ×3, first 2 shown]
	s_delay_alu instid0(VALU_DEP_4) | instskip(NEXT) | instid1(VALU_DEP_4)
	v_lshlrev_b32_e32 v54, 2, v49
	v_ashrrev_i32_e32 v49, 31, v48
	s_delay_alu instid0(VALU_DEP_4) | instskip(NEXT) | instid1(VALU_DEP_4)
	v_ashrrev_i32_e32 v51, 31, v50
	v_ashrrev_i32_e32 v53, 31, v52
	s_delay_alu instid0(VALU_DEP_4) | instskip(NEXT) | instid1(VALU_DEP_4)
	v_ashrrev_i32_e32 v55, 31, v54
	v_lshlrev_b64_e32 v[48:49], 1, v[48:49]
	s_delay_alu instid0(VALU_DEP_4) | instskip(NEXT) | instid1(VALU_DEP_4)
	v_lshlrev_b64_e32 v[50:51], 1, v[50:51]
	v_lshlrev_b64_e32 v[52:53], 1, v[52:53]
	s_delay_alu instid0(VALU_DEP_4) | instskip(SKIP_1) | instid1(VALU_DEP_4)
	v_lshlrev_b64_e32 v[54:55], 1, v[54:55]
	s_wait_kmcnt 0x0
	v_add_co_u32 v48, vcc_lo, s4, v48
	s_wait_alu 0xfffd
	v_add_co_ci_u32_e64 v49, null, s5, v49, vcc_lo
	v_add_co_u32 v50, vcc_lo, s4, v50
	s_wait_alu 0xfffd
	v_add_co_ci_u32_e64 v51, null, s5, v51, vcc_lo
	global_load_b64 v[48:49], v[48:49], off
	v_add_co_u32 v52, vcc_lo, s4, v52
	global_load_b64 v[50:51], v[50:51], off
	s_wait_alu 0xfffd
	v_add_co_ci_u32_e64 v53, null, s5, v53, vcc_lo
	v_add_co_u32 v54, vcc_lo, s4, v54
	s_wait_alu 0xfffd
	v_add_co_ci_u32_e64 v55, null, s5, v55, vcc_lo
	global_load_b64 v[52:53], v[52:53], off
	v_add_co_u32 v7, vcc_lo, 0x1000, v7
	global_load_b64 v[54:55], v[54:55], off
	s_wait_alu 0xfffd
	v_add_co_ci_u32_e64 v8, null, 0, v8, vcc_lo
	v_cmp_ge_i32_e32 vcc_lo, v5, v10
	s_wait_alu 0xfffe
	s_or_b32 s7, vcc_lo, s7
	s_wait_loadcnt 0x3
	v_fma_mix_f32 v1, v16, v48, v12 op_sel_hi:[1,1,0]
	v_fma_mix_f32 v6, v18, v48, v14 op_sel_hi:[1,1,0]
	v_fma_mix_f32 v12, v20, v48, v13 op_sel_hi:[1,1,0]
	v_fma_mix_f32 v11, v22, v48, v11 op_sel_hi:[1,1,0]
	s_delay_alu instid0(VALU_DEP_4) | instskip(NEXT) | instid1(VALU_DEP_4)
	v_fma_mix_f32 v1, v16, v48, v1 op_sel:[1,1,0] op_sel_hi:[1,1,0]
	v_fma_mix_f32 v6, v18, v48, v6 op_sel:[1,1,0] op_sel_hi:[1,1,0]
	s_delay_alu instid0(VALU_DEP_4) | instskip(NEXT) | instid1(VALU_DEP_4)
	v_fma_mix_f32 v12, v20, v48, v12 op_sel:[1,1,0] op_sel_hi:[1,1,0]
	v_fma_mix_f32 v11, v22, v48, v11 op_sel:[1,1,0] op_sel_hi:[1,1,0]
	s_delay_alu instid0(VALU_DEP_4) | instskip(NEXT) | instid1(VALU_DEP_4)
	v_fma_mix_f32 v1, v17, v49, v1 op_sel_hi:[1,1,0]
	v_fma_mix_f32 v6, v19, v49, v6 op_sel_hi:[1,1,0]
	s_delay_alu instid0(VALU_DEP_4) | instskip(NEXT) | instid1(VALU_DEP_4)
	v_fma_mix_f32 v12, v21, v49, v12 op_sel_hi:[1,1,0]
	v_fma_mix_f32 v11, v23, v49, v11 op_sel_hi:[1,1,0]
	s_delay_alu instid0(VALU_DEP_4) | instskip(NEXT) | instid1(VALU_DEP_4)
	v_fma_mix_f32 v1, v17, v49, v1 op_sel:[1,1,0] op_sel_hi:[1,1,0]
	v_fma_mix_f32 v6, v19, v49, v6 op_sel:[1,1,0] op_sel_hi:[1,1,0]
	s_delay_alu instid0(VALU_DEP_4) | instskip(NEXT) | instid1(VALU_DEP_4)
	v_fma_mix_f32 v12, v21, v49, v12 op_sel:[1,1,0] op_sel_hi:[1,1,0]
	v_fma_mix_f32 v11, v23, v49, v11 op_sel:[1,1,0] op_sel_hi:[1,1,0]
	s_wait_loadcnt 0x2
	v_fma_mix_f32 v1, v24, v50, v1 op_sel_hi:[1,1,0]
	v_fma_mix_f32 v6, v26, v50, v6 op_sel_hi:[1,1,0]
	v_fma_mix_f32 v12, v28, v50, v12 op_sel_hi:[1,1,0]
	v_fma_mix_f32 v11, v30, v50, v11 op_sel_hi:[1,1,0]
	s_delay_alu instid0(VALU_DEP_4) | instskip(NEXT) | instid1(VALU_DEP_4)
	v_fma_mix_f32 v1, v24, v50, v1 op_sel:[1,1,0] op_sel_hi:[1,1,0]
	v_fma_mix_f32 v6, v26, v50, v6 op_sel:[1,1,0] op_sel_hi:[1,1,0]
	s_delay_alu instid0(VALU_DEP_4) | instskip(NEXT) | instid1(VALU_DEP_4)
	v_fma_mix_f32 v12, v28, v50, v12 op_sel:[1,1,0] op_sel_hi:[1,1,0]
	v_fma_mix_f32 v11, v30, v50, v11 op_sel:[1,1,0] op_sel_hi:[1,1,0]
	s_delay_alu instid0(VALU_DEP_4) | instskip(NEXT) | instid1(VALU_DEP_4)
	v_fma_mix_f32 v1, v25, v51, v1 op_sel_hi:[1,1,0]
	v_fma_mix_f32 v6, v27, v51, v6 op_sel_hi:[1,1,0]
	s_delay_alu instid0(VALU_DEP_4) | instskip(NEXT) | instid1(VALU_DEP_4)
	v_fma_mix_f32 v12, v29, v51, v12 op_sel_hi:[1,1,0]
	v_fma_mix_f32 v11, v31, v51, v11 op_sel_hi:[1,1,0]
	s_delay_alu instid0(VALU_DEP_4) | instskip(NEXT) | instid1(VALU_DEP_4)
	v_fma_mix_f32 v1, v25, v51, v1 op_sel:[1,1,0] op_sel_hi:[1,1,0]
	v_fma_mix_f32 v6, v27, v51, v6 op_sel:[1,1,0] op_sel_hi:[1,1,0]
	s_delay_alu instid0(VALU_DEP_4) | instskip(NEXT) | instid1(VALU_DEP_4)
	v_fma_mix_f32 v12, v29, v51, v12 op_sel:[1,1,0] op_sel_hi:[1,1,0]
	v_fma_mix_f32 v11, v31, v51, v11 op_sel:[1,1,0] op_sel_hi:[1,1,0]
	;; [unrolled: 23-line block ×4, first 2 shown]
	s_wait_alu 0xfffe
	s_and_not1_b32 exec_lo, exec_lo, s7
	s_cbranch_execnz .LBB93_21
; %bb.22:
	s_or_b32 exec_lo, exec_lo, s7
.LBB93_23:
	s_wait_alu 0xfffe
	s_or_b32 exec_lo, exec_lo, s6
.LBB93_24:
	s_wait_alu 0xfffe
	s_or_b32 exec_lo, exec_lo, s3
	s_cbranch_execz .LBB93_26
	s_branch .LBB93_37
.LBB93_25:
                                        ; implicit-def: $vgpr11
                                        ; implicit-def: $vgpr13
                                        ; implicit-def: $vgpr14
                                        ; implicit-def: $vgpr12
.LBB93_26:
	v_dual_mov_b32 v11, 0 :: v_dual_mov_b32 v14, 0
	v_dual_mov_b32 v13, 0 :: v_dual_mov_b32 v12, 0
	s_and_saveexec_b32 s3, s2
	s_cbranch_execz .LBB93_36
; %bb.27:
	v_dual_mov_b32 v12, 0 :: v_dual_add_nc_u32 v1, v15, v9
	v_not_b32_e32 v5, v15
	v_mov_b32_e32 v13, 0
	v_mov_b32_e32 v11, 0
	s_delay_alu instid0(VALU_DEP_4) | instskip(SKIP_1) | instid1(VALU_DEP_1)
	v_subrev_nc_u32_e32 v1, s16, v1
	s_mov_b32 s2, exec_lo
	v_dual_mov_b32 v14, 0 :: v_dual_add_nc_u32 v1, 32, v1
	s_delay_alu instid0(VALU_DEP_1) | instskip(NEXT) | instid1(VALU_DEP_1)
	v_max_i32_e32 v1, v1, v10
	v_add3_u32 v1, s16, v1, v5
	s_delay_alu instid0(VALU_DEP_1) | instskip(NEXT) | instid1(VALU_DEP_1)
	v_sub_nc_u32_e32 v5, v1, v9
	v_and_b32_e32 v1, 0x60, v5
	s_delay_alu instid0(VALU_DEP_1)
	v_cmpx_ne_u32_e32 0x60, v1
	s_cbranch_execz .LBB93_31
; %bb.28:
	v_lshrrev_b32_e32 v1, 5, v5
	v_mov_b32_e32 v11, 0
	v_mov_b32_e32 v13, 0
	s_mov_b32 s6, 0
	s_delay_alu instid0(VALU_DEP_3) | instskip(NEXT) | instid1(VALU_DEP_1)
	v_dual_mov_b32 v14, 0 :: v_dual_add_nc_u32 v1, 1, v1
	v_dual_mov_b32 v12, 0 :: v_dual_and_b32 v1, 3, v1
	s_delay_alu instid0(VALU_DEP_1)
	v_sub_nc_u32_e32 v6, 0, v1
.LBB93_29:                              ; =>This Inner Loop Header: Depth=1
	v_ashrrev_i32_e32 v1, 31, v0
	s_delay_alu instid0(VALU_DEP_2) | instskip(SKIP_2) | instid1(VALU_DEP_2)
	v_add_co_u32 v6, s7, v6, 1
	s_wait_alu 0xfffe
	s_or_b32 s6, s7, s6
	v_lshlrev_b64_e32 v[7:8], 2, v[0:1]
	v_add_nc_u32_e32 v0, 32, v0
	s_delay_alu instid0(VALU_DEP_2) | instskip(SKIP_1) | instid1(VALU_DEP_3)
	v_add_co_u32 v7, vcc_lo, s8, v7
	s_wait_alu 0xfffd
	v_add_co_ci_u32_e64 v8, null, s9, v8, vcc_lo
	global_load_b32 v1, v[7:8], off
	global_load_b128 v[15:18], v[2:3], off
	s_wait_loadcnt 0x1
	v_subrev_nc_u32_e32 v1, s16, v1
	s_delay_alu instid0(VALU_DEP_1) | instskip(NEXT) | instid1(VALU_DEP_1)
	v_lshlrev_b32_e32 v7, 2, v1
	v_ashrrev_i32_e32 v8, 31, v7
	s_delay_alu instid0(VALU_DEP_1) | instskip(SKIP_1) | instid1(VALU_DEP_1)
	v_lshlrev_b64_e32 v[7:8], 1, v[7:8]
	s_wait_kmcnt 0x0
	v_add_co_u32 v7, vcc_lo, s4, v7
	s_wait_alu 0xfffd
	s_delay_alu instid0(VALU_DEP_2)
	v_add_co_ci_u32_e64 v8, null, s5, v8, vcc_lo
	global_load_b64 v[7:8], v[7:8], off
	global_load_b128 v[19:22], v[2:3], off offset:16
	v_add_co_u32 v2, vcc_lo, 0x400, v2
	s_wait_alu 0xfffd
	v_add_co_ci_u32_e64 v3, null, 0, v3, vcc_lo
	s_wait_loadcnt 0x1
	v_fma_mix_f32 v1, v15, v7, v12 op_sel_hi:[1,1,0]
	v_fma_mix_f32 v12, v15, v7, v14 op_sel:[1,0,0] op_sel_hi:[1,1,0]
	v_fma_mix_f32 v13, v16, v7, v13 op_sel_hi:[1,1,0]
	v_fma_mix_f32 v11, v16, v7, v11 op_sel:[1,0,0] op_sel_hi:[1,1,0]
	s_delay_alu instid0(VALU_DEP_4) | instskip(NEXT) | instid1(VALU_DEP_4)
	v_fma_mix_f32 v1, v17, v7, v1 op_sel:[0,1,0] op_sel_hi:[1,1,0]
	v_fma_mix_f32 v12, v17, v7, v12 op_sel:[1,1,0] op_sel_hi:[1,1,0]
	s_delay_alu instid0(VALU_DEP_4) | instskip(NEXT) | instid1(VALU_DEP_4)
	v_fma_mix_f32 v13, v18, v7, v13 op_sel:[0,1,0] op_sel_hi:[1,1,0]
	v_fma_mix_f32 v7, v18, v7, v11 op_sel:[1,1,0] op_sel_hi:[1,1,0]
	s_wait_loadcnt 0x0
	v_fma_mix_f32 v1, v19, v8, v1 op_sel_hi:[1,1,0]
	v_fma_mix_f32 v11, v19, v8, v12 op_sel:[1,0,0] op_sel_hi:[1,1,0]
	v_fma_mix_f32 v13, v20, v8, v13 op_sel_hi:[1,1,0]
	v_fma_mix_f32 v7, v20, v8, v7 op_sel:[1,0,0] op_sel_hi:[1,1,0]
	s_delay_alu instid0(VALU_DEP_4) | instskip(NEXT) | instid1(VALU_DEP_4)
	v_fma_mix_f32 v12, v21, v8, v1 op_sel:[0,1,0] op_sel_hi:[1,1,0]
	v_fma_mix_f32 v14, v21, v8, v11 op_sel:[1,1,0] op_sel_hi:[1,1,0]
	s_delay_alu instid0(VALU_DEP_4) | instskip(NEXT) | instid1(VALU_DEP_4)
	v_fma_mix_f32 v13, v22, v8, v13 op_sel:[0,1,0] op_sel_hi:[1,1,0]
	v_fma_mix_f32 v11, v22, v8, v7 op_sel:[1,1,0] op_sel_hi:[1,1,0]
	s_wait_alu 0xfffe
	s_and_not1_b32 exec_lo, exec_lo, s6
	s_cbranch_execnz .LBB93_29
; %bb.30:
	s_or_b32 exec_lo, exec_lo, s6
.LBB93_31:
	s_wait_alu 0xfffe
	s_or_b32 exec_lo, exec_lo, s2
	s_delay_alu instid0(SALU_CYCLE_1)
	s_mov_b32 s2, exec_lo
	v_cmpx_lt_u32_e32 0x5f, v5
	s_cbranch_execz .LBB93_35
; %bb.32:
	s_mov_b32 s6, 0
.LBB93_33:                              ; =>This Inner Loop Header: Depth=1
	v_ashrrev_i32_e32 v1, 31, v0
	s_delay_alu instid0(VALU_DEP_1) | instskip(SKIP_1) | instid1(VALU_DEP_2)
	v_lshlrev_b64_e32 v[5:6], 2, v[0:1]
	v_add_nc_u32_e32 v0, 0x80, v0
	v_add_co_u32 v5, vcc_lo, s8, v5
	s_wait_alu 0xfffd
	s_delay_alu instid0(VALU_DEP_3)
	v_add_co_ci_u32_e64 v6, null, s9, v6, vcc_lo
	s_clause 0x3
	global_load_b32 v1, v[5:6], off
	global_load_b32 v39, v[5:6], off offset:128
	global_load_b32 v40, v[5:6], off offset:256
	;; [unrolled: 1-line block ×3, first 2 shown]
	s_clause 0x6
	global_load_b128 v[5:8], v[2:3], off
	global_load_b128 v[15:18], v[2:3], off offset:16
	global_load_b128 v[19:22], v[2:3], off offset:1024
	;; [unrolled: 1-line block ×6, first 2 shown]
	s_wait_loadcnt 0xa
	v_subrev_nc_u32_e32 v1, s16, v1
	s_wait_loadcnt 0x9
	v_subrev_nc_u32_e32 v42, s16, v39
	;; [unrolled: 2-line block ×4, first 2 shown]
	v_lshlrev_b32_e32 v39, 2, v1
	v_lshlrev_b32_e32 v41, 2, v42
	;; [unrolled: 1-line block ×3, first 2 shown]
	s_delay_alu instid0(VALU_DEP_4) | instskip(NEXT) | instid1(VALU_DEP_4)
	v_lshlrev_b32_e32 v45, 2, v44
	v_ashrrev_i32_e32 v40, 31, v39
	s_delay_alu instid0(VALU_DEP_4) | instskip(NEXT) | instid1(VALU_DEP_4)
	v_ashrrev_i32_e32 v42, 31, v41
	v_ashrrev_i32_e32 v44, 31, v43
	s_delay_alu instid0(VALU_DEP_4) | instskip(NEXT) | instid1(VALU_DEP_4)
	v_ashrrev_i32_e32 v46, 31, v45
	v_lshlrev_b64_e32 v[39:40], 1, v[39:40]
	s_wait_kmcnt 0x0
	s_delay_alu instid0(VALU_DEP_1) | instskip(SKIP_1) | instid1(VALU_DEP_2)
	v_add_co_u32 v39, vcc_lo, s4, v39
	s_wait_alu 0xfffd
	v_add_co_ci_u32_e64 v40, null, s5, v40, vcc_lo
	global_load_b64 v[47:48], v[39:40], off
	v_lshlrev_b64_e32 v[39:40], 1, v[41:42]
	s_delay_alu instid0(VALU_DEP_1) | instskip(SKIP_1) | instid1(VALU_DEP_2)
	v_add_co_u32 v39, vcc_lo, s4, v39
	s_wait_alu 0xfffd
	v_add_co_ci_u32_e64 v40, null, s5, v40, vcc_lo
	global_load_b64 v[49:50], v[39:40], off
	v_lshlrev_b64_e32 v[39:40], 1, v[43:44]
	;; [unrolled: 6-line block ×3, first 2 shown]
	s_delay_alu instid0(VALU_DEP_1) | instskip(SKIP_1) | instid1(VALU_DEP_2)
	v_add_co_u32 v39, vcc_lo, s4, v39
	s_wait_alu 0xfffd
	v_add_co_ci_u32_e64 v40, null, s5, v40, vcc_lo
	global_load_b64 v[45:46], v[39:40], off
	global_load_b128 v[39:42], v[2:3], off offset:3088
	v_add_co_u32 v2, vcc_lo, 0x1000, v2
	s_wait_alu 0xfffd
	v_add_co_ci_u32_e64 v3, null, 0, v3, vcc_lo
	v_cmp_ge_i32_e32 vcc_lo, v0, v10
	s_wait_alu 0xfffe
	s_or_b32 s6, vcc_lo, s6
	s_wait_loadcnt 0x4
	v_fma_mix_f32 v1, v5, v47, v12 op_sel_hi:[1,1,0]
	v_fma_mix_f32 v5, v5, v47, v14 op_sel:[1,0,0] op_sel_hi:[1,1,0]
	v_fma_mix_f32 v12, v6, v47, v13 op_sel_hi:[1,1,0]
	v_fma_mix_f32 v6, v6, v47, v11 op_sel:[1,0,0] op_sel_hi:[1,1,0]
	s_delay_alu instid0(VALU_DEP_4) | instskip(NEXT) | instid1(VALU_DEP_4)
	v_fma_mix_f32 v1, v7, v47, v1 op_sel:[0,1,0] op_sel_hi:[1,1,0]
	v_fma_mix_f32 v5, v7, v47, v5 op_sel:[1,1,0] op_sel_hi:[1,1,0]
	s_delay_alu instid0(VALU_DEP_4) | instskip(NEXT) | instid1(VALU_DEP_4)
	v_fma_mix_f32 v7, v8, v47, v12 op_sel:[0,1,0] op_sel_hi:[1,1,0]
	v_fma_mix_f32 v6, v8, v47, v6 op_sel:[1,1,0] op_sel_hi:[1,1,0]
	s_delay_alu instid0(VALU_DEP_4) | instskip(NEXT) | instid1(VALU_DEP_4)
	v_fma_mix_f32 v1, v15, v48, v1 op_sel_hi:[1,1,0]
	v_fma_mix_f32 v5, v15, v48, v5 op_sel:[1,0,0] op_sel_hi:[1,1,0]
	s_delay_alu instid0(VALU_DEP_4) | instskip(NEXT) | instid1(VALU_DEP_4)
	v_fma_mix_f32 v7, v16, v48, v7 op_sel_hi:[1,1,0]
	v_fma_mix_f32 v6, v16, v48, v6 op_sel:[1,0,0] op_sel_hi:[1,1,0]
	s_delay_alu instid0(VALU_DEP_4) | instskip(NEXT) | instid1(VALU_DEP_4)
	v_fma_mix_f32 v1, v17, v48, v1 op_sel:[0,1,0] op_sel_hi:[1,1,0]
	v_fma_mix_f32 v5, v17, v48, v5 op_sel:[1,1,0] op_sel_hi:[1,1,0]
	s_delay_alu instid0(VALU_DEP_4) | instskip(NEXT) | instid1(VALU_DEP_4)
	v_fma_mix_f32 v7, v18, v48, v7 op_sel:[0,1,0] op_sel_hi:[1,1,0]
	v_fma_mix_f32 v6, v18, v48, v6 op_sel:[1,1,0] op_sel_hi:[1,1,0]
	s_wait_loadcnt 0x3
	v_fma_mix_f32 v1, v19, v49, v1 op_sel_hi:[1,1,0]
	v_fma_mix_f32 v5, v19, v49, v5 op_sel:[1,0,0] op_sel_hi:[1,1,0]
	v_fma_mix_f32 v7, v20, v49, v7 op_sel_hi:[1,1,0]
	v_fma_mix_f32 v6, v20, v49, v6 op_sel:[1,0,0] op_sel_hi:[1,1,0]
	s_delay_alu instid0(VALU_DEP_4) | instskip(NEXT) | instid1(VALU_DEP_4)
	v_fma_mix_f32 v1, v21, v49, v1 op_sel:[0,1,0] op_sel_hi:[1,1,0]
	v_fma_mix_f32 v5, v21, v49, v5 op_sel:[1,1,0] op_sel_hi:[1,1,0]
	s_delay_alu instid0(VALU_DEP_4) | instskip(NEXT) | instid1(VALU_DEP_4)
	v_fma_mix_f32 v7, v22, v49, v7 op_sel:[0,1,0] op_sel_hi:[1,1,0]
	v_fma_mix_f32 v6, v22, v49, v6 op_sel:[1,1,0] op_sel_hi:[1,1,0]
	s_delay_alu instid0(VALU_DEP_4) | instskip(NEXT) | instid1(VALU_DEP_4)
	v_fma_mix_f32 v1, v23, v50, v1 op_sel_hi:[1,1,0]
	v_fma_mix_f32 v5, v23, v50, v5 op_sel:[1,0,0] op_sel_hi:[1,1,0]
	s_delay_alu instid0(VALU_DEP_4) | instskip(NEXT) | instid1(VALU_DEP_4)
	v_fma_mix_f32 v7, v24, v50, v7 op_sel_hi:[1,1,0]
	v_fma_mix_f32 v6, v24, v50, v6 op_sel:[1,0,0] op_sel_hi:[1,1,0]
	s_delay_alu instid0(VALU_DEP_4) | instskip(NEXT) | instid1(VALU_DEP_4)
	v_fma_mix_f32 v1, v25, v50, v1 op_sel:[0,1,0] op_sel_hi:[1,1,0]
	v_fma_mix_f32 v5, v25, v50, v5 op_sel:[1,1,0] op_sel_hi:[1,1,0]
	s_delay_alu instid0(VALU_DEP_4) | instskip(NEXT) | instid1(VALU_DEP_4)
	v_fma_mix_f32 v7, v26, v50, v7 op_sel:[0,1,0] op_sel_hi:[1,1,0]
	v_fma_mix_f32 v6, v26, v50, v6 op_sel:[1,1,0] op_sel_hi:[1,1,0]
	;; [unrolled: 23-line block ×3, first 2 shown]
	s_wait_loadcnt 0x1
	v_fma_mix_f32 v1, v35, v45, v1 op_sel_hi:[1,1,0]
	v_fma_mix_f32 v5, v35, v45, v5 op_sel:[1,0,0] op_sel_hi:[1,1,0]
	v_fma_mix_f32 v7, v36, v45, v7 op_sel_hi:[1,1,0]
	v_fma_mix_f32 v6, v36, v45, v6 op_sel:[1,0,0] op_sel_hi:[1,1,0]
	s_delay_alu instid0(VALU_DEP_4) | instskip(NEXT) | instid1(VALU_DEP_4)
	v_fma_mix_f32 v1, v37, v45, v1 op_sel:[0,1,0] op_sel_hi:[1,1,0]
	v_fma_mix_f32 v5, v37, v45, v5 op_sel:[1,1,0] op_sel_hi:[1,1,0]
	s_delay_alu instid0(VALU_DEP_4) | instskip(NEXT) | instid1(VALU_DEP_4)
	v_fma_mix_f32 v7, v38, v45, v7 op_sel:[0,1,0] op_sel_hi:[1,1,0]
	v_fma_mix_f32 v6, v38, v45, v6 op_sel:[1,1,0] op_sel_hi:[1,1,0]
	s_wait_loadcnt 0x0
	v_fma_mix_f32 v1, v39, v46, v1 op_sel_hi:[1,1,0]
	v_fma_mix_f32 v5, v39, v46, v5 op_sel:[1,0,0] op_sel_hi:[1,1,0]
	v_fma_mix_f32 v7, v40, v46, v7 op_sel_hi:[1,1,0]
	v_fma_mix_f32 v6, v40, v46, v6 op_sel:[1,0,0] op_sel_hi:[1,1,0]
	s_delay_alu instid0(VALU_DEP_4) | instskip(NEXT) | instid1(VALU_DEP_4)
	v_fma_mix_f32 v12, v41, v46, v1 op_sel:[0,1,0] op_sel_hi:[1,1,0]
	v_fma_mix_f32 v14, v41, v46, v5 op_sel:[1,1,0] op_sel_hi:[1,1,0]
	s_delay_alu instid0(VALU_DEP_4) | instskip(NEXT) | instid1(VALU_DEP_4)
	v_fma_mix_f32 v13, v42, v46, v7 op_sel:[0,1,0] op_sel_hi:[1,1,0]
	v_fma_mix_f32 v11, v42, v46, v6 op_sel:[1,1,0] op_sel_hi:[1,1,0]
	s_wait_alu 0xfffe
	s_and_not1_b32 exec_lo, exec_lo, s6
	s_cbranch_execnz .LBB93_33
; %bb.34:
	s_or_b32 exec_lo, exec_lo, s6
.LBB93_35:
	s_wait_alu 0xfffe
	s_or_b32 exec_lo, exec_lo, s2
.LBB93_36:
	s_wait_alu 0xfffe
	s_or_b32 exec_lo, exec_lo, s3
.LBB93_37:
	v_mbcnt_lo_u32_b32 v0, -1, 0
	s_mov_b32 s2, -1
	s_delay_alu instid0(VALU_DEP_1) | instskip(SKIP_1) | instid1(VALU_DEP_2)
	v_xor_b32_e32 v1, 16, v0
	v_xor_b32_e32 v6, 8, v0
	v_cmp_gt_i32_e32 vcc_lo, 32, v1
	s_wait_alu 0xfffd
	v_cndmask_b32_e32 v1, v0, v1, vcc_lo
	s_delay_alu instid0(VALU_DEP_3) | instskip(SKIP_2) | instid1(VALU_DEP_1)
	v_cmp_gt_i32_e32 vcc_lo, 32, v6
	s_wait_alu 0xfffd
	v_cndmask_b32_e32 v6, v0, v6, vcc_lo
	v_lshlrev_b32_e32 v6, 2, v6
	v_lshlrev_b32_e32 v1, 2, v1
	ds_bpermute_b32 v2, v1, v12
	s_wait_dscnt 0x0
	v_add_f32_e32 v2, v12, v2
	ds_bpermute_b32 v3, v1, v14
	ds_bpermute_b32 v5, v1, v13
	;; [unrolled: 1-line block ×4, first 2 shown]
	s_wait_dscnt 0x3
	v_add_f32_e32 v3, v14, v3
	s_wait_dscnt 0x0
	v_dual_add_f32 v5, v13, v5 :: v_dual_add_f32 v2, v2, v7
	v_add_f32_e32 v1, v11, v1
	ds_bpermute_b32 v8, v6, v3
	ds_bpermute_b32 v10, v6, v5
	v_xor_b32_e32 v11, 4, v0
	ds_bpermute_b32 v6, v6, v1
	v_cmp_gt_i32_e32 vcc_lo, 32, v11
	s_wait_dscnt 0x2
	v_add_f32_e32 v3, v3, v8
	s_wait_dscnt 0x1
	v_add_f32_e32 v5, v5, v10
	;; [unrolled: 2-line block ×3, first 2 shown]
	s_wait_alu 0xfffd
	v_cndmask_b32_e32 v11, v0, v11, vcc_lo
	s_delay_alu instid0(VALU_DEP_1)
	v_lshlrev_b32_e32 v11, 2, v11
	ds_bpermute_b32 v8, v11, v5
	ds_bpermute_b32 v6, v11, v2
	;; [unrolled: 1-line block ×4, first 2 shown]
	v_xor_b32_e32 v11, 2, v0
	s_delay_alu instid0(VALU_DEP_1)
	v_cmp_gt_i32_e32 vcc_lo, 32, v11
	s_wait_dscnt 0x3
	v_add_f32_e32 v5, v5, v8
	s_wait_dscnt 0x2
	s_wait_alu 0xfffd
	v_dual_cndmask_b32 v11, v0, v11 :: v_dual_add_f32 v2, v2, v6
	s_wait_dscnt 0x0
	v_dual_add_f32 v3, v3, v7 :: v_dual_add_f32 v6, v1, v10
	s_delay_alu instid0(VALU_DEP_2)
	v_lshlrev_b32_e32 v11, 2, v11
	ds_bpermute_b32 v1, v11, v2
	ds_bpermute_b32 v7, v11, v3
	;; [unrolled: 1-line block ×4, first 2 shown]
	v_xor_b32_e32 v11, 1, v0
	s_delay_alu instid0(VALU_DEP_1) | instskip(SKIP_4) | instid1(VALU_DEP_2)
	v_cmp_gt_i32_e32 vcc_lo, 32, v11
	s_wait_alu 0xfffd
	v_cndmask_b32_e32 v0, v0, v11, vcc_lo
	v_cmp_eq_u32_e32 vcc_lo, 31, v9
	s_wait_dscnt 0x3
	v_dual_add_f32 v0, v2, v1 :: v_dual_lshlrev_b32 v11, 2, v0
	s_wait_dscnt 0x1
	v_dual_add_f32 v1, v3, v7 :: v_dual_add_f32 v2, v5, v8
	s_wait_dscnt 0x0
	v_add_f32_e32 v3, v6, v10
	ds_bpermute_b32 v5, v11, v0
	ds_bpermute_b32 v6, v11, v1
	;; [unrolled: 1-line block ×4, first 2 shown]
	s_and_b32 exec_lo, exec_lo, vcc_lo
	s_cbranch_execz .LBB93_10
; %bb.38:
	s_load_b64 s[0:1], s[0:1], 0x50
	s_wait_dscnt 0x2
	v_dual_add_f32 v0, v0, v5 :: v_dual_add_f32 v1, v1, v6
	s_wait_dscnt 0x0
	v_dual_add_f32 v2, v2, v7 :: v_dual_add_f32 v3, v3, v8
	v_lshlrev_b32_e32 v4, 2, v4
	s_delay_alu instid0(VALU_DEP_3) | instskip(NEXT) | instid1(VALU_DEP_3)
	v_dual_mul_f32 v0, s14, v0 :: v_dual_mul_f32 v1, s14, v1
	v_dual_mul_f32 v2, s14, v2 :: v_dual_mul_f32 v3, s14, v3
	s_cmp_eq_f32 s12, 0
	s_cbranch_scc0 .LBB93_40
; %bb.39:
	v_ashrrev_i32_e32 v5, 31, v4
	s_mov_b32 s2, 0
	s_delay_alu instid0(VALU_DEP_1) | instskip(SKIP_1) | instid1(VALU_DEP_1)
	v_lshlrev_b64_e32 v[5:6], 2, v[4:5]
	s_wait_kmcnt 0x0
	v_add_co_u32 v5, vcc_lo, s0, v5
	s_wait_alu 0xfffd
	s_delay_alu instid0(VALU_DEP_2)
	v_add_co_ci_u32_e64 v6, null, s1, v6, vcc_lo
	global_store_b128 v[5:6], v[0:3], off
.LBB93_40:
	s_wait_alu 0xfffe
	s_and_not1_b32 vcc_lo, exec_lo, s2
	s_wait_alu 0xfffe
	s_cbranch_vccnz .LBB93_10
; %bb.41:
	v_ashrrev_i32_e32 v5, 31, v4
	s_delay_alu instid0(VALU_DEP_1) | instskip(SKIP_1) | instid1(VALU_DEP_1)
	v_lshlrev_b64_e32 v[4:5], 2, v[4:5]
	s_wait_kmcnt 0x0
	v_add_co_u32 v8, vcc_lo, s0, v4
	s_wait_alu 0xfffd
	s_delay_alu instid0(VALU_DEP_2)
	v_add_co_ci_u32_e64 v9, null, s1, v5, vcc_lo
	global_load_b128 v[4:7], v[8:9], off
	s_wait_loadcnt 0x0
	v_dual_fmac_f32 v0, s12, v4 :: v_dual_fmac_f32 v1, s12, v5
	v_dual_fmac_f32 v2, s12, v6 :: v_dual_fmac_f32 v3, s12, v7
	global_store_b128 v[8:9], v[0:3], off
	s_endpgm
	.section	.rodata,"a",@progbits
	.p2align	6, 0x0
	.amdhsa_kernel _ZN9rocsparseL18bsrxmvn_4x4_kernelILj128ELj32EfiiDF16_DF16_fEEvT3_20rocsparse_direction_NS_24const_host_device_scalarIT1_EES1_PKS1_PKT2_SA_S7_PKT4_PKT5_S5_PT6_21rocsparse_index_base_b
		.amdhsa_group_segment_fixed_size 0
		.amdhsa_private_segment_fixed_size 0
		.amdhsa_kernarg_size 96
		.amdhsa_user_sgpr_count 2
		.amdhsa_user_sgpr_dispatch_ptr 0
		.amdhsa_user_sgpr_queue_ptr 0
		.amdhsa_user_sgpr_kernarg_segment_ptr 1
		.amdhsa_user_sgpr_dispatch_id 0
		.amdhsa_user_sgpr_private_segment_size 0
		.amdhsa_wavefront_size32 1
		.amdhsa_uses_dynamic_stack 0
		.amdhsa_enable_private_segment 0
		.amdhsa_system_sgpr_workgroup_id_x 1
		.amdhsa_system_sgpr_workgroup_id_y 0
		.amdhsa_system_sgpr_workgroup_id_z 0
		.amdhsa_system_sgpr_workgroup_info 0
		.amdhsa_system_vgpr_workitem_id 0
		.amdhsa_next_free_vgpr 56
		.amdhsa_next_free_sgpr 18
		.amdhsa_reserve_vcc 1
		.amdhsa_float_round_mode_32 0
		.amdhsa_float_round_mode_16_64 0
		.amdhsa_float_denorm_mode_32 3
		.amdhsa_float_denorm_mode_16_64 3
		.amdhsa_fp16_overflow 0
		.amdhsa_workgroup_processor_mode 1
		.amdhsa_memory_ordered 1
		.amdhsa_forward_progress 1
		.amdhsa_inst_pref_size 36
		.amdhsa_round_robin_scheduling 0
		.amdhsa_exception_fp_ieee_invalid_op 0
		.amdhsa_exception_fp_denorm_src 0
		.amdhsa_exception_fp_ieee_div_zero 0
		.amdhsa_exception_fp_ieee_overflow 0
		.amdhsa_exception_fp_ieee_underflow 0
		.amdhsa_exception_fp_ieee_inexact 0
		.amdhsa_exception_int_div_zero 0
	.end_amdhsa_kernel
	.section	.text._ZN9rocsparseL18bsrxmvn_4x4_kernelILj128ELj32EfiiDF16_DF16_fEEvT3_20rocsparse_direction_NS_24const_host_device_scalarIT1_EES1_PKS1_PKT2_SA_S7_PKT4_PKT5_S5_PT6_21rocsparse_index_base_b,"axG",@progbits,_ZN9rocsparseL18bsrxmvn_4x4_kernelILj128ELj32EfiiDF16_DF16_fEEvT3_20rocsparse_direction_NS_24const_host_device_scalarIT1_EES1_PKS1_PKT2_SA_S7_PKT4_PKT5_S5_PT6_21rocsparse_index_base_b,comdat
.Lfunc_end93:
	.size	_ZN9rocsparseL18bsrxmvn_4x4_kernelILj128ELj32EfiiDF16_DF16_fEEvT3_20rocsparse_direction_NS_24const_host_device_scalarIT1_EES1_PKS1_PKT2_SA_S7_PKT4_PKT5_S5_PT6_21rocsparse_index_base_b, .Lfunc_end93-_ZN9rocsparseL18bsrxmvn_4x4_kernelILj128ELj32EfiiDF16_DF16_fEEvT3_20rocsparse_direction_NS_24const_host_device_scalarIT1_EES1_PKS1_PKT2_SA_S7_PKT4_PKT5_S5_PT6_21rocsparse_index_base_b
                                        ; -- End function
	.set _ZN9rocsparseL18bsrxmvn_4x4_kernelILj128ELj32EfiiDF16_DF16_fEEvT3_20rocsparse_direction_NS_24const_host_device_scalarIT1_EES1_PKS1_PKT2_SA_S7_PKT4_PKT5_S5_PT6_21rocsparse_index_base_b.num_vgpr, 56
	.set _ZN9rocsparseL18bsrxmvn_4x4_kernelILj128ELj32EfiiDF16_DF16_fEEvT3_20rocsparse_direction_NS_24const_host_device_scalarIT1_EES1_PKS1_PKT2_SA_S7_PKT4_PKT5_S5_PT6_21rocsparse_index_base_b.num_agpr, 0
	.set _ZN9rocsparseL18bsrxmvn_4x4_kernelILj128ELj32EfiiDF16_DF16_fEEvT3_20rocsparse_direction_NS_24const_host_device_scalarIT1_EES1_PKS1_PKT2_SA_S7_PKT4_PKT5_S5_PT6_21rocsparse_index_base_b.numbered_sgpr, 18
	.set _ZN9rocsparseL18bsrxmvn_4x4_kernelILj128ELj32EfiiDF16_DF16_fEEvT3_20rocsparse_direction_NS_24const_host_device_scalarIT1_EES1_PKS1_PKT2_SA_S7_PKT4_PKT5_S5_PT6_21rocsparse_index_base_b.num_named_barrier, 0
	.set _ZN9rocsparseL18bsrxmvn_4x4_kernelILj128ELj32EfiiDF16_DF16_fEEvT3_20rocsparse_direction_NS_24const_host_device_scalarIT1_EES1_PKS1_PKT2_SA_S7_PKT4_PKT5_S5_PT6_21rocsparse_index_base_b.private_seg_size, 0
	.set _ZN9rocsparseL18bsrxmvn_4x4_kernelILj128ELj32EfiiDF16_DF16_fEEvT3_20rocsparse_direction_NS_24const_host_device_scalarIT1_EES1_PKS1_PKT2_SA_S7_PKT4_PKT5_S5_PT6_21rocsparse_index_base_b.uses_vcc, 1
	.set _ZN9rocsparseL18bsrxmvn_4x4_kernelILj128ELj32EfiiDF16_DF16_fEEvT3_20rocsparse_direction_NS_24const_host_device_scalarIT1_EES1_PKS1_PKT2_SA_S7_PKT4_PKT5_S5_PT6_21rocsparse_index_base_b.uses_flat_scratch, 0
	.set _ZN9rocsparseL18bsrxmvn_4x4_kernelILj128ELj32EfiiDF16_DF16_fEEvT3_20rocsparse_direction_NS_24const_host_device_scalarIT1_EES1_PKS1_PKT2_SA_S7_PKT4_PKT5_S5_PT6_21rocsparse_index_base_b.has_dyn_sized_stack, 0
	.set _ZN9rocsparseL18bsrxmvn_4x4_kernelILj128ELj32EfiiDF16_DF16_fEEvT3_20rocsparse_direction_NS_24const_host_device_scalarIT1_EES1_PKS1_PKT2_SA_S7_PKT4_PKT5_S5_PT6_21rocsparse_index_base_b.has_recursion, 0
	.set _ZN9rocsparseL18bsrxmvn_4x4_kernelILj128ELj32EfiiDF16_DF16_fEEvT3_20rocsparse_direction_NS_24const_host_device_scalarIT1_EES1_PKS1_PKT2_SA_S7_PKT4_PKT5_S5_PT6_21rocsparse_index_base_b.has_indirect_call, 0
	.section	.AMDGPU.csdata,"",@progbits
; Kernel info:
; codeLenInByte = 4568
; TotalNumSgprs: 20
; NumVgprs: 56
; ScratchSize: 0
; MemoryBound: 0
; FloatMode: 240
; IeeeMode: 1
; LDSByteSize: 0 bytes/workgroup (compile time only)
; SGPRBlocks: 0
; VGPRBlocks: 6
; NumSGPRsForWavesPerEU: 20
; NumVGPRsForWavesPerEU: 56
; Occupancy: 16
; WaveLimiterHint : 1
; COMPUTE_PGM_RSRC2:SCRATCH_EN: 0
; COMPUTE_PGM_RSRC2:USER_SGPR: 2
; COMPUTE_PGM_RSRC2:TRAP_HANDLER: 0
; COMPUTE_PGM_RSRC2:TGID_X_EN: 1
; COMPUTE_PGM_RSRC2:TGID_Y_EN: 0
; COMPUTE_PGM_RSRC2:TGID_Z_EN: 0
; COMPUTE_PGM_RSRC2:TIDIG_COMP_CNT: 0
	.section	.text._ZN9rocsparseL18bsrxmvn_4x4_kernelILj128ELj64EfiiDF16_DF16_fEEvT3_20rocsparse_direction_NS_24const_host_device_scalarIT1_EES1_PKS1_PKT2_SA_S7_PKT4_PKT5_S5_PT6_21rocsparse_index_base_b,"axG",@progbits,_ZN9rocsparseL18bsrxmvn_4x4_kernelILj128ELj64EfiiDF16_DF16_fEEvT3_20rocsparse_direction_NS_24const_host_device_scalarIT1_EES1_PKS1_PKT2_SA_S7_PKT4_PKT5_S5_PT6_21rocsparse_index_base_b,comdat
	.globl	_ZN9rocsparseL18bsrxmvn_4x4_kernelILj128ELj64EfiiDF16_DF16_fEEvT3_20rocsparse_direction_NS_24const_host_device_scalarIT1_EES1_PKS1_PKT2_SA_S7_PKT4_PKT5_S5_PT6_21rocsparse_index_base_b ; -- Begin function _ZN9rocsparseL18bsrxmvn_4x4_kernelILj128ELj64EfiiDF16_DF16_fEEvT3_20rocsparse_direction_NS_24const_host_device_scalarIT1_EES1_PKS1_PKT2_SA_S7_PKT4_PKT5_S5_PT6_21rocsparse_index_base_b
	.p2align	8
	.type	_ZN9rocsparseL18bsrxmvn_4x4_kernelILj128ELj64EfiiDF16_DF16_fEEvT3_20rocsparse_direction_NS_24const_host_device_scalarIT1_EES1_PKS1_PKT2_SA_S7_PKT4_PKT5_S5_PT6_21rocsparse_index_base_b,@function
_ZN9rocsparseL18bsrxmvn_4x4_kernelILj128ELj64EfiiDF16_DF16_fEEvT3_20rocsparse_direction_NS_24const_host_device_scalarIT1_EES1_PKS1_PKT2_SA_S7_PKT4_PKT5_S5_PT6_21rocsparse_index_base_b: ; @_ZN9rocsparseL18bsrxmvn_4x4_kernelILj128ELj64EfiiDF16_DF16_fEEvT3_20rocsparse_direction_NS_24const_host_device_scalarIT1_EES1_PKS1_PKT2_SA_S7_PKT4_PKT5_S5_PT6_21rocsparse_index_base_b
; %bb.0:
	s_clause 0x2
	s_load_b64 s[16:17], s[0:1], 0x58
	s_load_b64 s[14:15], s[0:1], 0x8
	;; [unrolled: 1-line block ×3, first 2 shown]
	s_wait_kmcnt 0x0
	s_bitcmp1_b32 s17, 0
	s_cselect_b32 s2, -1, 0
	s_delay_alu instid0(SALU_CYCLE_1)
	s_and_b32 vcc_lo, exec_lo, s2
	s_xor_b32 s2, s2, -1
	s_cbranch_vccnz .LBB94_2
; %bb.1:
	s_load_b32 s14, s[14:15], 0x0
.LBB94_2:
	s_and_not1_b32 vcc_lo, exec_lo, s2
	s_cbranch_vccnz .LBB94_4
; %bb.3:
	s_load_b32 s12, s[12:13], 0x0
.LBB94_4:
	s_wait_kmcnt 0x0
	s_cmp_neq_f32 s14, 0
	s_mov_b32 s6, 0
	s_cselect_b32 s2, -1, 0
	s_cmp_neq_f32 s12, 1.0
	s_cselect_b32 s3, -1, 0
	s_delay_alu instid0(SALU_CYCLE_1) | instskip(NEXT) | instid1(SALU_CYCLE_1)
	s_or_b32 s2, s2, s3
	s_and_not1_b32 vcc_lo, exec_lo, s2
	s_cbranch_vccnz .LBB94_10
; %bb.5:
	s_clause 0x1
	s_load_b64 s[4:5], s[0:1], 0x18
	s_load_b64 s[2:3], s[0:1], 0x0
	v_lshrrev_b32_e32 v1, 6, v0
	s_delay_alu instid0(VALU_DEP_1)
	v_lshl_or_b32 v4, ttmp9, 1, v1
	s_wait_kmcnt 0x0
	s_cmp_lg_u64 s[4:5], 0
	s_cbranch_scc0 .LBB94_11
; %bb.6:
	s_load_b32 s6, s[0:1], 0x10
	s_mov_b32 s7, 0
                                        ; implicit-def: $vgpr1
	s_wait_kmcnt 0x0
	v_cmp_gt_i32_e32 vcc_lo, s6, v4
	s_mov_b32 s6, 0
	s_and_saveexec_b32 s8, vcc_lo
	s_delay_alu instid0(SALU_CYCLE_1)
	s_xor_b32 s8, exec_lo, s8
	s_cbranch_execz .LBB94_8
; %bb.7:
	v_ashrrev_i32_e32 v5, 31, v4
	s_mov_b32 s6, exec_lo
	s_delay_alu instid0(VALU_DEP_1) | instskip(NEXT) | instid1(VALU_DEP_1)
	v_lshlrev_b64_e32 v[1:2], 2, v[4:5]
	v_add_co_u32 v1, vcc_lo, s4, v1
	s_delay_alu instid0(VALU_DEP_1)
	v_add_co_ci_u32_e64 v2, null, s5, v2, vcc_lo
	global_load_b32 v1, v[1:2], off
	s_wait_loadcnt 0x0
	v_subrev_nc_u32_e32 v1, s16, v1
.LBB94_8:
	s_or_b32 exec_lo, exec_lo, s8
	s_delay_alu instid0(SALU_CYCLE_1)
	s_and_b32 vcc_lo, exec_lo, s7
	s_wait_alu 0xfffe
	s_cbranch_vccz .LBB94_12
.LBB94_9:
	v_cmp_gt_i32_e32 vcc_lo, s2, v4
	s_and_not1_b32 s2, s6, exec_lo
	s_and_b32 s4, vcc_lo, exec_lo
	s_wait_alu 0xfffe
	s_or_b32 s6, s2, s4
	s_wait_alu 0xfffe
	s_and_saveexec_b32 s2, s6
	s_cbranch_execnz .LBB94_13
.LBB94_10:
	s_endpgm
.LBB94_11:
                                        ; implicit-def: $vgpr1
	s_cbranch_execnz .LBB94_9
.LBB94_12:
	v_mov_b32_e32 v4, v1
	s_and_saveexec_b32 s2, s6
	s_cbranch_execz .LBB94_10
.LBB94_13:
	s_load_b256 s[4:11], s[0:1], 0x20
	s_delay_alu instid0(VALU_DEP_1) | instskip(SKIP_1) | instid1(VALU_DEP_2)
	v_ashrrev_i32_e32 v5, 31, v4
	v_and_b32_e32 v9, 63, v0
	v_lshlrev_b64_e32 v[1:2], 2, v[4:5]
	s_wait_kmcnt 0x0
	s_delay_alu instid0(VALU_DEP_1) | instskip(SKIP_1) | instid1(VALU_DEP_2)
	v_add_co_u32 v5, vcc_lo, s4, v1
	s_wait_alu 0xfffd
	v_add_co_ci_u32_e64 v6, null, s5, v2, vcc_lo
	v_add_co_u32 v1, vcc_lo, s6, v1
	s_wait_alu 0xfffd
	v_add_co_ci_u32_e64 v2, null, s7, v2, vcc_lo
	global_load_b32 v15, v[5:6], off
	v_add_co_u32 v3, vcc_lo, v5, 4
	s_wait_alu 0xfffd
	v_add_co_ci_u32_e64 v5, null, 0, v6, vcc_lo
	s_cmp_eq_u64 s[6:7], 0
	s_load_b64 s[4:5], s[0:1], 0x40
	s_cselect_b32 vcc_lo, -1, 0
	s_cmp_eq_u32 s3, 1
	s_wait_alu 0xfffe
	v_dual_cndmask_b32 v2, v2, v5 :: v_dual_cndmask_b32 v1, v1, v3
	global_load_b32 v5, v[1:2], off
	s_wait_loadcnt 0x1
	v_subrev_nc_u32_e32 v0, s16, v15
	s_delay_alu instid0(VALU_DEP_1) | instskip(NEXT) | instid1(VALU_DEP_1)
	v_add_nc_u32_e32 v0, v0, v9
	v_ashrrev_i32_e32 v1, 31, v0
	s_wait_loadcnt 0x0
	v_subrev_nc_u32_e32 v10, s16, v5
	s_delay_alu instid0(VALU_DEP_2) | instskip(NEXT) | instid1(VALU_DEP_2)
	v_lshlrev_b64_e32 v[2:3], 5, v[0:1]
	v_cmp_lt_i32_e64 s2, v0, v10
	s_delay_alu instid0(VALU_DEP_2) | instskip(SKIP_1) | instid1(VALU_DEP_3)
	v_add_co_u32 v2, vcc_lo, s10, v2
	s_wait_alu 0xfffd
	v_add_co_ci_u32_e64 v3, null, s11, v3, vcc_lo
	s_cbranch_scc1 .LBB94_25
; %bb.14:
	v_dual_mov_b32 v11, 0 :: v_dual_mov_b32 v14, 0
	v_dual_mov_b32 v13, 0 :: v_dual_mov_b32 v12, 0
	s_and_saveexec_b32 s3, s2
	s_cbranch_execz .LBB94_24
; %bb.15:
	v_dual_mov_b32 v12, 0 :: v_dual_add_nc_u32 v1, v15, v9
	v_not_b32_e32 v5, v15
	v_dual_mov_b32 v11, 0 :: v_dual_mov_b32 v8, v3
	s_delay_alu instid0(VALU_DEP_3) | instskip(SKIP_3) | instid1(VALU_DEP_3)
	v_subrev_nc_u32_e32 v1, s16, v1
	v_mov_b32_e32 v7, v2
	s_mov_b32 s6, exec_lo
	v_dual_mov_b32 v14, 0 :: v_dual_mov_b32 v13, 0
	v_add_nc_u32_e32 v1, 64, v1
	s_delay_alu instid0(VALU_DEP_1) | instskip(NEXT) | instid1(VALU_DEP_1)
	v_max_i32_e32 v1, v1, v10
	v_add3_u32 v1, s16, v1, v5
	v_mov_b32_e32 v5, v0
	s_delay_alu instid0(VALU_DEP_2) | instskip(NEXT) | instid1(VALU_DEP_1)
	v_sub_nc_u32_e32 v1, v1, v9
	v_and_b32_e32 v6, 0xc0, v1
	s_delay_alu instid0(VALU_DEP_1)
	v_cmpx_ne_u32_e32 0xc0, v6
	s_cbranch_execz .LBB94_19
; %bb.16:
	v_lshrrev_b32_e32 v5, 6, v1
	v_mov_b32_e32 v13, 0
	s_mov_b32 s7, 0
	v_dual_mov_b32 v8, v3 :: v_dual_mov_b32 v7, v2
	s_delay_alu instid0(VALU_DEP_3) | instskip(SKIP_1) | instid1(VALU_DEP_2)
	v_dual_mov_b32 v14, 0 :: v_dual_add_nc_u32 v5, 1, v5
	v_dual_mov_b32 v11, 0 :: v_dual_mov_b32 v12, 0
	v_dual_mov_b32 v5, v0 :: v_dual_and_b32 v6, 3, v5
	s_delay_alu instid0(VALU_DEP_1)
	v_sub_nc_u32_e32 v16, 0, v6
.LBB94_17:                              ; =>This Inner Loop Header: Depth=1
	s_delay_alu instid0(VALU_DEP_2) | instskip(NEXT) | instid1(VALU_DEP_2)
	v_ashrrev_i32_e32 v6, 31, v5
	v_add_co_u32 v16, s10, v16, 1
	s_wait_alu 0xfffe
	s_or_b32 s7, s10, s7
	s_delay_alu instid0(VALU_DEP_2) | instskip(SKIP_1) | instid1(VALU_DEP_2)
	v_lshlrev_b64_e32 v[17:18], 2, v[5:6]
	v_add_nc_u32_e32 v5, 64, v5
	v_add_co_u32 v17, vcc_lo, s8, v17
	s_wait_alu 0xfffd
	s_delay_alu instid0(VALU_DEP_3)
	v_add_co_ci_u32_e64 v18, null, s9, v18, vcc_lo
	global_load_b32 v6, v[17:18], off
	s_clause 0x1
	global_load_b128 v[17:20], v[7:8], off
	global_load_b128 v[21:24], v[7:8], off offset:16
	s_wait_loadcnt 0x2
	v_subrev_nc_u32_e32 v6, s16, v6
	s_delay_alu instid0(VALU_DEP_1) | instskip(NEXT) | instid1(VALU_DEP_1)
	v_lshlrev_b32_e32 v25, 2, v6
	v_ashrrev_i32_e32 v26, 31, v25
	s_delay_alu instid0(VALU_DEP_1) | instskip(SKIP_1) | instid1(VALU_DEP_1)
	v_lshlrev_b64_e32 v[25:26], 1, v[25:26]
	s_wait_kmcnt 0x0
	v_add_co_u32 v25, vcc_lo, s4, v25
	s_wait_alu 0xfffd
	s_delay_alu instid0(VALU_DEP_2)
	v_add_co_ci_u32_e64 v26, null, s5, v26, vcc_lo
	v_add_co_u32 v7, vcc_lo, 0x800, v7
	s_wait_alu 0xfffd
	v_add_co_ci_u32_e64 v8, null, 0, v8, vcc_lo
	global_load_b64 v[25:26], v[25:26], off
	s_wait_loadcnt 0x0
	v_fma_mix_f32 v6, v17, v25, v12 op_sel_hi:[1,1,0]
	v_fma_mix_f32 v12, v19, v25, v14 op_sel_hi:[1,1,0]
	;; [unrolled: 1-line block ×4, first 2 shown]
	s_delay_alu instid0(VALU_DEP_4) | instskip(NEXT) | instid1(VALU_DEP_4)
	v_fma_mix_f32 v6, v17, v25, v6 op_sel:[1,1,0] op_sel_hi:[1,1,0]
	v_fma_mix_f32 v12, v19, v25, v12 op_sel:[1,1,0] op_sel_hi:[1,1,0]
	s_delay_alu instid0(VALU_DEP_4) | instskip(NEXT) | instid1(VALU_DEP_4)
	v_fma_mix_f32 v13, v21, v25, v13 op_sel:[1,1,0] op_sel_hi:[1,1,0]
	v_fma_mix_f32 v11, v23, v25, v11 op_sel:[1,1,0] op_sel_hi:[1,1,0]
	s_delay_alu instid0(VALU_DEP_4) | instskip(NEXT) | instid1(VALU_DEP_4)
	v_fma_mix_f32 v6, v18, v26, v6 op_sel_hi:[1,1,0]
	v_fma_mix_f32 v14, v20, v26, v12 op_sel_hi:[1,1,0]
	s_delay_alu instid0(VALU_DEP_4) | instskip(NEXT) | instid1(VALU_DEP_4)
	v_fma_mix_f32 v13, v22, v26, v13 op_sel_hi:[1,1,0]
	v_fma_mix_f32 v11, v24, v26, v11 op_sel_hi:[1,1,0]
	s_delay_alu instid0(VALU_DEP_4) | instskip(NEXT) | instid1(VALU_DEP_4)
	v_fma_mix_f32 v12, v18, v26, v6 op_sel:[1,1,0] op_sel_hi:[1,1,0]
	v_fma_mix_f32 v14, v20, v26, v14 op_sel:[1,1,0] op_sel_hi:[1,1,0]
	s_delay_alu instid0(VALU_DEP_4) | instskip(NEXT) | instid1(VALU_DEP_4)
	v_fma_mix_f32 v13, v22, v26, v13 op_sel:[1,1,0] op_sel_hi:[1,1,0]
	v_fma_mix_f32 v11, v24, v26, v11 op_sel:[1,1,0] op_sel_hi:[1,1,0]
	s_wait_alu 0xfffe
	s_and_not1_b32 exec_lo, exec_lo, s7
	s_cbranch_execnz .LBB94_17
; %bb.18:
	s_or_b32 exec_lo, exec_lo, s7
.LBB94_19:
	s_wait_alu 0xfffe
	s_or_b32 exec_lo, exec_lo, s6
	s_delay_alu instid0(SALU_CYCLE_1)
	s_mov_b32 s6, exec_lo
	v_cmpx_lt_u32_e32 0xbf, v1
	s_cbranch_execz .LBB94_23
; %bb.20:
	s_mov_b32 s7, 0
.LBB94_21:                              ; =>This Inner Loop Header: Depth=1
	v_ashrrev_i32_e32 v6, 31, v5
	s_delay_alu instid0(VALU_DEP_1) | instskip(SKIP_1) | instid1(VALU_DEP_2)
	v_lshlrev_b64_e32 v[16:17], 2, v[5:6]
	v_add_nc_u32_e32 v5, 0x100, v5
	v_add_co_u32 v16, vcc_lo, s8, v16
	s_wait_alu 0xfffd
	s_delay_alu instid0(VALU_DEP_3)
	v_add_co_ci_u32_e64 v17, null, s9, v17, vcc_lo
	s_clause 0x3
	global_load_b32 v1, v[16:17], off
	global_load_b32 v6, v[16:17], off offset:256
	global_load_b32 v48, v[16:17], off offset:512
	global_load_b32 v49, v[16:17], off offset:768
	s_clause 0x7
	global_load_b128 v[16:19], v[7:8], off
	global_load_b128 v[20:23], v[7:8], off offset:16
	global_load_b128 v[24:27], v[7:8], off offset:2048
	global_load_b128 v[28:31], v[7:8], off offset:2064
	global_load_b128 v[32:35], v[7:8], off offset:4096
	global_load_b128 v[36:39], v[7:8], off offset:4112
	global_load_b128 v[40:43], v[7:8], off offset:6144
	global_load_b128 v[44:47], v[7:8], off offset:6160
	s_wait_loadcnt 0xb
	v_subrev_nc_u32_e32 v1, s16, v1
	s_wait_loadcnt 0xa
	v_subrev_nc_u32_e32 v6, s16, v6
	;; [unrolled: 2-line block ×4, first 2 shown]
	v_lshlrev_b32_e32 v48, 2, v1
	v_lshlrev_b32_e32 v50, 2, v6
	;; [unrolled: 1-line block ×3, first 2 shown]
	s_delay_alu instid0(VALU_DEP_4) | instskip(NEXT) | instid1(VALU_DEP_4)
	v_lshlrev_b32_e32 v54, 2, v49
	v_ashrrev_i32_e32 v49, 31, v48
	s_delay_alu instid0(VALU_DEP_4) | instskip(NEXT) | instid1(VALU_DEP_4)
	v_ashrrev_i32_e32 v51, 31, v50
	v_ashrrev_i32_e32 v53, 31, v52
	s_delay_alu instid0(VALU_DEP_4) | instskip(NEXT) | instid1(VALU_DEP_4)
	v_ashrrev_i32_e32 v55, 31, v54
	v_lshlrev_b64_e32 v[48:49], 1, v[48:49]
	s_delay_alu instid0(VALU_DEP_4) | instskip(NEXT) | instid1(VALU_DEP_4)
	v_lshlrev_b64_e32 v[50:51], 1, v[50:51]
	v_lshlrev_b64_e32 v[52:53], 1, v[52:53]
	s_delay_alu instid0(VALU_DEP_4) | instskip(SKIP_1) | instid1(VALU_DEP_4)
	v_lshlrev_b64_e32 v[54:55], 1, v[54:55]
	s_wait_kmcnt 0x0
	v_add_co_u32 v48, vcc_lo, s4, v48
	s_wait_alu 0xfffd
	v_add_co_ci_u32_e64 v49, null, s5, v49, vcc_lo
	v_add_co_u32 v50, vcc_lo, s4, v50
	s_wait_alu 0xfffd
	v_add_co_ci_u32_e64 v51, null, s5, v51, vcc_lo
	global_load_b64 v[48:49], v[48:49], off
	v_add_co_u32 v52, vcc_lo, s4, v52
	global_load_b64 v[50:51], v[50:51], off
	s_wait_alu 0xfffd
	v_add_co_ci_u32_e64 v53, null, s5, v53, vcc_lo
	v_add_co_u32 v54, vcc_lo, s4, v54
	s_wait_alu 0xfffd
	v_add_co_ci_u32_e64 v55, null, s5, v55, vcc_lo
	global_load_b64 v[52:53], v[52:53], off
	v_add_co_u32 v7, vcc_lo, 0x2000, v7
	global_load_b64 v[54:55], v[54:55], off
	s_wait_alu 0xfffd
	v_add_co_ci_u32_e64 v8, null, 0, v8, vcc_lo
	v_cmp_ge_i32_e32 vcc_lo, v5, v10
	s_wait_alu 0xfffe
	s_or_b32 s7, vcc_lo, s7
	s_wait_loadcnt 0x3
	v_fma_mix_f32 v1, v16, v48, v12 op_sel_hi:[1,1,0]
	v_fma_mix_f32 v6, v18, v48, v14 op_sel_hi:[1,1,0]
	v_fma_mix_f32 v12, v20, v48, v13 op_sel_hi:[1,1,0]
	v_fma_mix_f32 v11, v22, v48, v11 op_sel_hi:[1,1,0]
	s_delay_alu instid0(VALU_DEP_4) | instskip(NEXT) | instid1(VALU_DEP_4)
	v_fma_mix_f32 v1, v16, v48, v1 op_sel:[1,1,0] op_sel_hi:[1,1,0]
	v_fma_mix_f32 v6, v18, v48, v6 op_sel:[1,1,0] op_sel_hi:[1,1,0]
	s_delay_alu instid0(VALU_DEP_4) | instskip(NEXT) | instid1(VALU_DEP_4)
	v_fma_mix_f32 v12, v20, v48, v12 op_sel:[1,1,0] op_sel_hi:[1,1,0]
	v_fma_mix_f32 v11, v22, v48, v11 op_sel:[1,1,0] op_sel_hi:[1,1,0]
	s_delay_alu instid0(VALU_DEP_4) | instskip(NEXT) | instid1(VALU_DEP_4)
	v_fma_mix_f32 v1, v17, v49, v1 op_sel_hi:[1,1,0]
	v_fma_mix_f32 v6, v19, v49, v6 op_sel_hi:[1,1,0]
	s_delay_alu instid0(VALU_DEP_4) | instskip(NEXT) | instid1(VALU_DEP_4)
	v_fma_mix_f32 v12, v21, v49, v12 op_sel_hi:[1,1,0]
	v_fma_mix_f32 v11, v23, v49, v11 op_sel_hi:[1,1,0]
	s_delay_alu instid0(VALU_DEP_4) | instskip(NEXT) | instid1(VALU_DEP_4)
	v_fma_mix_f32 v1, v17, v49, v1 op_sel:[1,1,0] op_sel_hi:[1,1,0]
	v_fma_mix_f32 v6, v19, v49, v6 op_sel:[1,1,0] op_sel_hi:[1,1,0]
	s_delay_alu instid0(VALU_DEP_4) | instskip(NEXT) | instid1(VALU_DEP_4)
	v_fma_mix_f32 v12, v21, v49, v12 op_sel:[1,1,0] op_sel_hi:[1,1,0]
	v_fma_mix_f32 v11, v23, v49, v11 op_sel:[1,1,0] op_sel_hi:[1,1,0]
	s_wait_loadcnt 0x2
	v_fma_mix_f32 v1, v24, v50, v1 op_sel_hi:[1,1,0]
	v_fma_mix_f32 v6, v26, v50, v6 op_sel_hi:[1,1,0]
	v_fma_mix_f32 v12, v28, v50, v12 op_sel_hi:[1,1,0]
	v_fma_mix_f32 v11, v30, v50, v11 op_sel_hi:[1,1,0]
	s_delay_alu instid0(VALU_DEP_4) | instskip(NEXT) | instid1(VALU_DEP_4)
	v_fma_mix_f32 v1, v24, v50, v1 op_sel:[1,1,0] op_sel_hi:[1,1,0]
	v_fma_mix_f32 v6, v26, v50, v6 op_sel:[1,1,0] op_sel_hi:[1,1,0]
	s_delay_alu instid0(VALU_DEP_4) | instskip(NEXT) | instid1(VALU_DEP_4)
	v_fma_mix_f32 v12, v28, v50, v12 op_sel:[1,1,0] op_sel_hi:[1,1,0]
	v_fma_mix_f32 v11, v30, v50, v11 op_sel:[1,1,0] op_sel_hi:[1,1,0]
	s_delay_alu instid0(VALU_DEP_4) | instskip(NEXT) | instid1(VALU_DEP_4)
	v_fma_mix_f32 v1, v25, v51, v1 op_sel_hi:[1,1,0]
	v_fma_mix_f32 v6, v27, v51, v6 op_sel_hi:[1,1,0]
	s_delay_alu instid0(VALU_DEP_4) | instskip(NEXT) | instid1(VALU_DEP_4)
	v_fma_mix_f32 v12, v29, v51, v12 op_sel_hi:[1,1,0]
	v_fma_mix_f32 v11, v31, v51, v11 op_sel_hi:[1,1,0]
	s_delay_alu instid0(VALU_DEP_4) | instskip(NEXT) | instid1(VALU_DEP_4)
	v_fma_mix_f32 v1, v25, v51, v1 op_sel:[1,1,0] op_sel_hi:[1,1,0]
	v_fma_mix_f32 v6, v27, v51, v6 op_sel:[1,1,0] op_sel_hi:[1,1,0]
	s_delay_alu instid0(VALU_DEP_4) | instskip(NEXT) | instid1(VALU_DEP_4)
	v_fma_mix_f32 v12, v29, v51, v12 op_sel:[1,1,0] op_sel_hi:[1,1,0]
	v_fma_mix_f32 v11, v31, v51, v11 op_sel:[1,1,0] op_sel_hi:[1,1,0]
	;; [unrolled: 23-line block ×4, first 2 shown]
	s_wait_alu 0xfffe
	s_and_not1_b32 exec_lo, exec_lo, s7
	s_cbranch_execnz .LBB94_21
; %bb.22:
	s_or_b32 exec_lo, exec_lo, s7
.LBB94_23:
	s_wait_alu 0xfffe
	s_or_b32 exec_lo, exec_lo, s6
.LBB94_24:
	s_wait_alu 0xfffe
	s_or_b32 exec_lo, exec_lo, s3
	s_cbranch_execz .LBB94_26
	s_branch .LBB94_37
.LBB94_25:
                                        ; implicit-def: $vgpr11
                                        ; implicit-def: $vgpr13
                                        ; implicit-def: $vgpr14
                                        ; implicit-def: $vgpr12
.LBB94_26:
	v_dual_mov_b32 v11, 0 :: v_dual_mov_b32 v14, 0
	v_dual_mov_b32 v13, 0 :: v_dual_mov_b32 v12, 0
	s_and_saveexec_b32 s3, s2
	s_cbranch_execz .LBB94_36
; %bb.27:
	v_dual_mov_b32 v12, 0 :: v_dual_add_nc_u32 v1, v15, v9
	v_not_b32_e32 v5, v15
	v_mov_b32_e32 v13, 0
	v_mov_b32_e32 v11, 0
	s_delay_alu instid0(VALU_DEP_4) | instskip(SKIP_1) | instid1(VALU_DEP_1)
	v_subrev_nc_u32_e32 v1, s16, v1
	s_mov_b32 s2, exec_lo
	v_dual_mov_b32 v14, 0 :: v_dual_add_nc_u32 v1, 64, v1
	s_delay_alu instid0(VALU_DEP_1) | instskip(NEXT) | instid1(VALU_DEP_1)
	v_max_i32_e32 v1, v1, v10
	v_add3_u32 v1, s16, v1, v5
	s_delay_alu instid0(VALU_DEP_1) | instskip(NEXT) | instid1(VALU_DEP_1)
	v_sub_nc_u32_e32 v5, v1, v9
	v_and_b32_e32 v1, 0xc0, v5
	s_delay_alu instid0(VALU_DEP_1)
	v_cmpx_ne_u32_e32 0xc0, v1
	s_cbranch_execz .LBB94_31
; %bb.28:
	v_lshrrev_b32_e32 v1, 6, v5
	v_mov_b32_e32 v11, 0
	v_mov_b32_e32 v13, 0
	s_mov_b32 s6, 0
	s_delay_alu instid0(VALU_DEP_3) | instskip(NEXT) | instid1(VALU_DEP_1)
	v_dual_mov_b32 v14, 0 :: v_dual_add_nc_u32 v1, 1, v1
	v_dual_mov_b32 v12, 0 :: v_dual_and_b32 v1, 3, v1
	s_delay_alu instid0(VALU_DEP_1)
	v_sub_nc_u32_e32 v6, 0, v1
.LBB94_29:                              ; =>This Inner Loop Header: Depth=1
	v_ashrrev_i32_e32 v1, 31, v0
	s_delay_alu instid0(VALU_DEP_2) | instskip(SKIP_2) | instid1(VALU_DEP_2)
	v_add_co_u32 v6, s7, v6, 1
	s_wait_alu 0xfffe
	s_or_b32 s6, s7, s6
	v_lshlrev_b64_e32 v[7:8], 2, v[0:1]
	v_add_nc_u32_e32 v0, 64, v0
	s_delay_alu instid0(VALU_DEP_2) | instskip(SKIP_1) | instid1(VALU_DEP_3)
	v_add_co_u32 v7, vcc_lo, s8, v7
	s_wait_alu 0xfffd
	v_add_co_ci_u32_e64 v8, null, s9, v8, vcc_lo
	global_load_b32 v1, v[7:8], off
	global_load_b128 v[15:18], v[2:3], off
	s_wait_loadcnt 0x1
	v_subrev_nc_u32_e32 v1, s16, v1
	s_delay_alu instid0(VALU_DEP_1) | instskip(NEXT) | instid1(VALU_DEP_1)
	v_lshlrev_b32_e32 v7, 2, v1
	v_ashrrev_i32_e32 v8, 31, v7
	s_delay_alu instid0(VALU_DEP_1) | instskip(SKIP_1) | instid1(VALU_DEP_1)
	v_lshlrev_b64_e32 v[7:8], 1, v[7:8]
	s_wait_kmcnt 0x0
	v_add_co_u32 v7, vcc_lo, s4, v7
	s_wait_alu 0xfffd
	s_delay_alu instid0(VALU_DEP_2)
	v_add_co_ci_u32_e64 v8, null, s5, v8, vcc_lo
	global_load_b64 v[7:8], v[7:8], off
	global_load_b128 v[19:22], v[2:3], off offset:16
	v_add_co_u32 v2, vcc_lo, 0x800, v2
	s_wait_alu 0xfffd
	v_add_co_ci_u32_e64 v3, null, 0, v3, vcc_lo
	s_wait_loadcnt 0x1
	v_fma_mix_f32 v1, v15, v7, v12 op_sel_hi:[1,1,0]
	v_fma_mix_f32 v12, v15, v7, v14 op_sel:[1,0,0] op_sel_hi:[1,1,0]
	v_fma_mix_f32 v13, v16, v7, v13 op_sel_hi:[1,1,0]
	v_fma_mix_f32 v11, v16, v7, v11 op_sel:[1,0,0] op_sel_hi:[1,1,0]
	s_delay_alu instid0(VALU_DEP_4) | instskip(NEXT) | instid1(VALU_DEP_4)
	v_fma_mix_f32 v1, v17, v7, v1 op_sel:[0,1,0] op_sel_hi:[1,1,0]
	v_fma_mix_f32 v12, v17, v7, v12 op_sel:[1,1,0] op_sel_hi:[1,1,0]
	s_delay_alu instid0(VALU_DEP_4) | instskip(NEXT) | instid1(VALU_DEP_4)
	v_fma_mix_f32 v13, v18, v7, v13 op_sel:[0,1,0] op_sel_hi:[1,1,0]
	v_fma_mix_f32 v7, v18, v7, v11 op_sel:[1,1,0] op_sel_hi:[1,1,0]
	s_wait_loadcnt 0x0
	v_fma_mix_f32 v1, v19, v8, v1 op_sel_hi:[1,1,0]
	v_fma_mix_f32 v11, v19, v8, v12 op_sel:[1,0,0] op_sel_hi:[1,1,0]
	v_fma_mix_f32 v13, v20, v8, v13 op_sel_hi:[1,1,0]
	v_fma_mix_f32 v7, v20, v8, v7 op_sel:[1,0,0] op_sel_hi:[1,1,0]
	s_delay_alu instid0(VALU_DEP_4) | instskip(NEXT) | instid1(VALU_DEP_4)
	v_fma_mix_f32 v12, v21, v8, v1 op_sel:[0,1,0] op_sel_hi:[1,1,0]
	v_fma_mix_f32 v14, v21, v8, v11 op_sel:[1,1,0] op_sel_hi:[1,1,0]
	s_delay_alu instid0(VALU_DEP_4) | instskip(NEXT) | instid1(VALU_DEP_4)
	v_fma_mix_f32 v13, v22, v8, v13 op_sel:[0,1,0] op_sel_hi:[1,1,0]
	v_fma_mix_f32 v11, v22, v8, v7 op_sel:[1,1,0] op_sel_hi:[1,1,0]
	s_wait_alu 0xfffe
	s_and_not1_b32 exec_lo, exec_lo, s6
	s_cbranch_execnz .LBB94_29
; %bb.30:
	s_or_b32 exec_lo, exec_lo, s6
.LBB94_31:
	s_wait_alu 0xfffe
	s_or_b32 exec_lo, exec_lo, s2
	s_delay_alu instid0(SALU_CYCLE_1)
	s_mov_b32 s2, exec_lo
	v_cmpx_lt_u32_e32 0xbf, v5
	s_cbranch_execz .LBB94_35
; %bb.32:
	s_mov_b32 s6, 0
.LBB94_33:                              ; =>This Inner Loop Header: Depth=1
	v_ashrrev_i32_e32 v1, 31, v0
	s_delay_alu instid0(VALU_DEP_1) | instskip(SKIP_1) | instid1(VALU_DEP_2)
	v_lshlrev_b64_e32 v[5:6], 2, v[0:1]
	v_add_nc_u32_e32 v0, 0x100, v0
	v_add_co_u32 v5, vcc_lo, s8, v5
	s_wait_alu 0xfffd
	s_delay_alu instid0(VALU_DEP_3)
	v_add_co_ci_u32_e64 v6, null, s9, v6, vcc_lo
	s_clause 0x3
	global_load_b32 v1, v[5:6], off
	global_load_b32 v39, v[5:6], off offset:256
	global_load_b32 v40, v[5:6], off offset:512
	;; [unrolled: 1-line block ×3, first 2 shown]
	s_clause 0x6
	global_load_b128 v[5:8], v[2:3], off
	global_load_b128 v[15:18], v[2:3], off offset:16
	global_load_b128 v[19:22], v[2:3], off offset:2048
	;; [unrolled: 1-line block ×6, first 2 shown]
	s_wait_loadcnt 0xa
	v_subrev_nc_u32_e32 v1, s16, v1
	s_wait_loadcnt 0x9
	v_subrev_nc_u32_e32 v42, s16, v39
	s_wait_loadcnt 0x8
	v_subrev_nc_u32_e32 v40, s16, v40
	s_wait_loadcnt 0x7
	v_subrev_nc_u32_e32 v44, s16, v41
	v_lshlrev_b32_e32 v39, 2, v1
	v_lshlrev_b32_e32 v41, 2, v42
	;; [unrolled: 1-line block ×3, first 2 shown]
	s_delay_alu instid0(VALU_DEP_4) | instskip(NEXT) | instid1(VALU_DEP_4)
	v_lshlrev_b32_e32 v45, 2, v44
	v_ashrrev_i32_e32 v40, 31, v39
	s_delay_alu instid0(VALU_DEP_4) | instskip(NEXT) | instid1(VALU_DEP_4)
	v_ashrrev_i32_e32 v42, 31, v41
	v_ashrrev_i32_e32 v44, 31, v43
	s_delay_alu instid0(VALU_DEP_4) | instskip(NEXT) | instid1(VALU_DEP_4)
	v_ashrrev_i32_e32 v46, 31, v45
	v_lshlrev_b64_e32 v[39:40], 1, v[39:40]
	s_wait_kmcnt 0x0
	s_delay_alu instid0(VALU_DEP_1) | instskip(SKIP_1) | instid1(VALU_DEP_2)
	v_add_co_u32 v39, vcc_lo, s4, v39
	s_wait_alu 0xfffd
	v_add_co_ci_u32_e64 v40, null, s5, v40, vcc_lo
	global_load_b64 v[47:48], v[39:40], off
	v_lshlrev_b64_e32 v[39:40], 1, v[41:42]
	s_delay_alu instid0(VALU_DEP_1) | instskip(SKIP_1) | instid1(VALU_DEP_2)
	v_add_co_u32 v39, vcc_lo, s4, v39
	s_wait_alu 0xfffd
	v_add_co_ci_u32_e64 v40, null, s5, v40, vcc_lo
	global_load_b64 v[49:50], v[39:40], off
	v_lshlrev_b64_e32 v[39:40], 1, v[43:44]
	;; [unrolled: 6-line block ×3, first 2 shown]
	s_delay_alu instid0(VALU_DEP_1) | instskip(SKIP_1) | instid1(VALU_DEP_2)
	v_add_co_u32 v39, vcc_lo, s4, v39
	s_wait_alu 0xfffd
	v_add_co_ci_u32_e64 v40, null, s5, v40, vcc_lo
	global_load_b64 v[45:46], v[39:40], off
	global_load_b128 v[39:42], v[2:3], off offset:6160
	v_add_co_u32 v2, vcc_lo, 0x2000, v2
	s_wait_alu 0xfffd
	v_add_co_ci_u32_e64 v3, null, 0, v3, vcc_lo
	v_cmp_ge_i32_e32 vcc_lo, v0, v10
	s_wait_alu 0xfffe
	s_or_b32 s6, vcc_lo, s6
	s_wait_loadcnt 0x4
	v_fma_mix_f32 v1, v5, v47, v12 op_sel_hi:[1,1,0]
	v_fma_mix_f32 v5, v5, v47, v14 op_sel:[1,0,0] op_sel_hi:[1,1,0]
	v_fma_mix_f32 v12, v6, v47, v13 op_sel_hi:[1,1,0]
	v_fma_mix_f32 v6, v6, v47, v11 op_sel:[1,0,0] op_sel_hi:[1,1,0]
	s_delay_alu instid0(VALU_DEP_4) | instskip(NEXT) | instid1(VALU_DEP_4)
	v_fma_mix_f32 v1, v7, v47, v1 op_sel:[0,1,0] op_sel_hi:[1,1,0]
	v_fma_mix_f32 v5, v7, v47, v5 op_sel:[1,1,0] op_sel_hi:[1,1,0]
	s_delay_alu instid0(VALU_DEP_4) | instskip(NEXT) | instid1(VALU_DEP_4)
	v_fma_mix_f32 v7, v8, v47, v12 op_sel:[0,1,0] op_sel_hi:[1,1,0]
	v_fma_mix_f32 v6, v8, v47, v6 op_sel:[1,1,0] op_sel_hi:[1,1,0]
	s_delay_alu instid0(VALU_DEP_4) | instskip(NEXT) | instid1(VALU_DEP_4)
	v_fma_mix_f32 v1, v15, v48, v1 op_sel_hi:[1,1,0]
	v_fma_mix_f32 v5, v15, v48, v5 op_sel:[1,0,0] op_sel_hi:[1,1,0]
	s_delay_alu instid0(VALU_DEP_4) | instskip(NEXT) | instid1(VALU_DEP_4)
	v_fma_mix_f32 v7, v16, v48, v7 op_sel_hi:[1,1,0]
	v_fma_mix_f32 v6, v16, v48, v6 op_sel:[1,0,0] op_sel_hi:[1,1,0]
	s_delay_alu instid0(VALU_DEP_4) | instskip(NEXT) | instid1(VALU_DEP_4)
	v_fma_mix_f32 v1, v17, v48, v1 op_sel:[0,1,0] op_sel_hi:[1,1,0]
	v_fma_mix_f32 v5, v17, v48, v5 op_sel:[1,1,0] op_sel_hi:[1,1,0]
	s_delay_alu instid0(VALU_DEP_4) | instskip(NEXT) | instid1(VALU_DEP_4)
	v_fma_mix_f32 v7, v18, v48, v7 op_sel:[0,1,0] op_sel_hi:[1,1,0]
	v_fma_mix_f32 v6, v18, v48, v6 op_sel:[1,1,0] op_sel_hi:[1,1,0]
	s_wait_loadcnt 0x3
	v_fma_mix_f32 v1, v19, v49, v1 op_sel_hi:[1,1,0]
	v_fma_mix_f32 v5, v19, v49, v5 op_sel:[1,0,0] op_sel_hi:[1,1,0]
	v_fma_mix_f32 v7, v20, v49, v7 op_sel_hi:[1,1,0]
	v_fma_mix_f32 v6, v20, v49, v6 op_sel:[1,0,0] op_sel_hi:[1,1,0]
	s_delay_alu instid0(VALU_DEP_4) | instskip(NEXT) | instid1(VALU_DEP_4)
	v_fma_mix_f32 v1, v21, v49, v1 op_sel:[0,1,0] op_sel_hi:[1,1,0]
	v_fma_mix_f32 v5, v21, v49, v5 op_sel:[1,1,0] op_sel_hi:[1,1,0]
	s_delay_alu instid0(VALU_DEP_4) | instskip(NEXT) | instid1(VALU_DEP_4)
	v_fma_mix_f32 v7, v22, v49, v7 op_sel:[0,1,0] op_sel_hi:[1,1,0]
	v_fma_mix_f32 v6, v22, v49, v6 op_sel:[1,1,0] op_sel_hi:[1,1,0]
	s_delay_alu instid0(VALU_DEP_4) | instskip(NEXT) | instid1(VALU_DEP_4)
	v_fma_mix_f32 v1, v23, v50, v1 op_sel_hi:[1,1,0]
	v_fma_mix_f32 v5, v23, v50, v5 op_sel:[1,0,0] op_sel_hi:[1,1,0]
	s_delay_alu instid0(VALU_DEP_4) | instskip(NEXT) | instid1(VALU_DEP_4)
	v_fma_mix_f32 v7, v24, v50, v7 op_sel_hi:[1,1,0]
	v_fma_mix_f32 v6, v24, v50, v6 op_sel:[1,0,0] op_sel_hi:[1,1,0]
	s_delay_alu instid0(VALU_DEP_4) | instskip(NEXT) | instid1(VALU_DEP_4)
	v_fma_mix_f32 v1, v25, v50, v1 op_sel:[0,1,0] op_sel_hi:[1,1,0]
	v_fma_mix_f32 v5, v25, v50, v5 op_sel:[1,1,0] op_sel_hi:[1,1,0]
	s_delay_alu instid0(VALU_DEP_4) | instskip(NEXT) | instid1(VALU_DEP_4)
	v_fma_mix_f32 v7, v26, v50, v7 op_sel:[0,1,0] op_sel_hi:[1,1,0]
	v_fma_mix_f32 v6, v26, v50, v6 op_sel:[1,1,0] op_sel_hi:[1,1,0]
	;; [unrolled: 23-line block ×3, first 2 shown]
	s_wait_loadcnt 0x1
	v_fma_mix_f32 v1, v35, v45, v1 op_sel_hi:[1,1,0]
	v_fma_mix_f32 v5, v35, v45, v5 op_sel:[1,0,0] op_sel_hi:[1,1,0]
	v_fma_mix_f32 v7, v36, v45, v7 op_sel_hi:[1,1,0]
	v_fma_mix_f32 v6, v36, v45, v6 op_sel:[1,0,0] op_sel_hi:[1,1,0]
	s_delay_alu instid0(VALU_DEP_4) | instskip(NEXT) | instid1(VALU_DEP_4)
	v_fma_mix_f32 v1, v37, v45, v1 op_sel:[0,1,0] op_sel_hi:[1,1,0]
	v_fma_mix_f32 v5, v37, v45, v5 op_sel:[1,1,0] op_sel_hi:[1,1,0]
	s_delay_alu instid0(VALU_DEP_4) | instskip(NEXT) | instid1(VALU_DEP_4)
	v_fma_mix_f32 v7, v38, v45, v7 op_sel:[0,1,0] op_sel_hi:[1,1,0]
	v_fma_mix_f32 v6, v38, v45, v6 op_sel:[1,1,0] op_sel_hi:[1,1,0]
	s_wait_loadcnt 0x0
	v_fma_mix_f32 v1, v39, v46, v1 op_sel_hi:[1,1,0]
	v_fma_mix_f32 v5, v39, v46, v5 op_sel:[1,0,0] op_sel_hi:[1,1,0]
	v_fma_mix_f32 v7, v40, v46, v7 op_sel_hi:[1,1,0]
	v_fma_mix_f32 v6, v40, v46, v6 op_sel:[1,0,0] op_sel_hi:[1,1,0]
	s_delay_alu instid0(VALU_DEP_4) | instskip(NEXT) | instid1(VALU_DEP_4)
	v_fma_mix_f32 v12, v41, v46, v1 op_sel:[0,1,0] op_sel_hi:[1,1,0]
	v_fma_mix_f32 v14, v41, v46, v5 op_sel:[1,1,0] op_sel_hi:[1,1,0]
	s_delay_alu instid0(VALU_DEP_4) | instskip(NEXT) | instid1(VALU_DEP_4)
	v_fma_mix_f32 v13, v42, v46, v7 op_sel:[0,1,0] op_sel_hi:[1,1,0]
	v_fma_mix_f32 v11, v42, v46, v6 op_sel:[1,1,0] op_sel_hi:[1,1,0]
	s_wait_alu 0xfffe
	s_and_not1_b32 exec_lo, exec_lo, s6
	s_cbranch_execnz .LBB94_33
; %bb.34:
	s_or_b32 exec_lo, exec_lo, s6
.LBB94_35:
	s_wait_alu 0xfffe
	s_or_b32 exec_lo, exec_lo, s2
.LBB94_36:
	s_wait_alu 0xfffe
	s_or_b32 exec_lo, exec_lo, s3
.LBB94_37:
	v_mbcnt_lo_u32_b32 v0, -1, 0
	s_mov_b32 s2, -1
	s_delay_alu instid0(VALU_DEP_1) | instskip(SKIP_1) | instid1(VALU_DEP_2)
	v_or_b32_e32 v1, 32, v0
	v_xor_b32_e32 v6, 16, v0
	v_cmp_gt_i32_e32 vcc_lo, 32, v1
	s_wait_alu 0xfffd
	v_cndmask_b32_e32 v1, v0, v1, vcc_lo
	s_delay_alu instid0(VALU_DEP_3) | instskip(SKIP_2) | instid1(VALU_DEP_1)
	v_cmp_gt_i32_e32 vcc_lo, 32, v6
	s_wait_alu 0xfffd
	v_cndmask_b32_e32 v6, v0, v6, vcc_lo
	v_lshlrev_b32_e32 v6, 2, v6
	v_lshlrev_b32_e32 v1, 2, v1
	ds_bpermute_b32 v2, v1, v12
	s_wait_dscnt 0x0
	v_add_f32_e32 v2, v12, v2
	ds_bpermute_b32 v3, v1, v14
	ds_bpermute_b32 v5, v1, v13
	;; [unrolled: 1-line block ×4, first 2 shown]
	s_wait_dscnt 0x3
	v_add_f32_e32 v3, v14, v3
	s_wait_dscnt 0x0
	v_dual_add_f32 v5, v13, v5 :: v_dual_add_f32 v2, v2, v7
	v_add_f32_e32 v1, v11, v1
	ds_bpermute_b32 v8, v6, v3
	ds_bpermute_b32 v10, v6, v5
	v_xor_b32_e32 v11, 8, v0
	ds_bpermute_b32 v6, v6, v1
	v_cmp_gt_i32_e32 vcc_lo, 32, v11
	s_wait_alu 0xfffd
	v_cndmask_b32_e32 v11, v0, v11, vcc_lo
	s_delay_alu instid0(VALU_DEP_1)
	v_lshlrev_b32_e32 v11, 2, v11
	s_wait_dscnt 0x2
	v_add_f32_e32 v3, v3, v8
	s_wait_dscnt 0x1
	v_add_f32_e32 v5, v5, v10
	;; [unrolled: 2-line block ×3, first 2 shown]
	ds_bpermute_b32 v6, v11, v2
	ds_bpermute_b32 v7, v11, v3
	;; [unrolled: 1-line block ×4, first 2 shown]
	v_xor_b32_e32 v11, 4, v0
	s_delay_alu instid0(VALU_DEP_1) | instskip(SKIP_3) | instid1(VALU_DEP_1)
	v_cmp_gt_i32_e32 vcc_lo, 32, v11
	s_wait_alu 0xfffd
	v_cndmask_b32_e32 v11, v0, v11, vcc_lo
	s_wait_dscnt 0x3
	v_dual_add_f32 v2, v2, v6 :: v_dual_lshlrev_b32 v11, 2, v11
	s_wait_dscnt 0x2
	v_add_f32_e32 v3, v3, v7
	s_wait_dscnt 0x1
	v_add_f32_e32 v5, v5, v8
	;; [unrolled: 2-line block ×3, first 2 shown]
	ds_bpermute_b32 v6, v11, v2
	ds_bpermute_b32 v7, v11, v3
	ds_bpermute_b32 v8, v11, v5
	ds_bpermute_b32 v10, v11, v1
	v_xor_b32_e32 v11, 2, v0
	s_delay_alu instid0(VALU_DEP_1) | instskip(SKIP_3) | instid1(VALU_DEP_1)
	v_cmp_gt_i32_e32 vcc_lo, 32, v11
	s_wait_alu 0xfffd
	v_cndmask_b32_e32 v11, v0, v11, vcc_lo
	s_wait_dscnt 0x3
	v_dual_add_f32 v2, v2, v6 :: v_dual_lshlrev_b32 v11, 2, v11
	s_wait_dscnt 0x2
	v_add_f32_e32 v3, v3, v7
	s_wait_dscnt 0x1
	v_add_f32_e32 v5, v5, v8
	;; [unrolled: 2-line block ×3, first 2 shown]
	ds_bpermute_b32 v1, v11, v2
	ds_bpermute_b32 v7, v11, v3
	;; [unrolled: 1-line block ×4, first 2 shown]
	v_xor_b32_e32 v11, 1, v0
	s_delay_alu instid0(VALU_DEP_1) | instskip(SKIP_4) | instid1(VALU_DEP_2)
	v_cmp_gt_i32_e32 vcc_lo, 32, v11
	s_wait_alu 0xfffd
	v_cndmask_b32_e32 v0, v0, v11, vcc_lo
	v_cmp_eq_u32_e32 vcc_lo, 63, v9
	s_wait_dscnt 0x3
	v_dual_add_f32 v0, v2, v1 :: v_dual_lshlrev_b32 v11, 2, v0
	s_wait_dscnt 0x1
	v_dual_add_f32 v1, v3, v7 :: v_dual_add_f32 v2, v5, v8
	s_wait_dscnt 0x0
	v_add_f32_e32 v3, v6, v10
	ds_bpermute_b32 v5, v11, v0
	ds_bpermute_b32 v6, v11, v1
	;; [unrolled: 1-line block ×4, first 2 shown]
	s_and_b32 exec_lo, exec_lo, vcc_lo
	s_cbranch_execz .LBB94_10
; %bb.38:
	s_load_b64 s[0:1], s[0:1], 0x50
	s_wait_dscnt 0x2
	v_dual_add_f32 v0, v0, v5 :: v_dual_add_f32 v1, v1, v6
	s_wait_dscnt 0x0
	v_dual_add_f32 v2, v2, v7 :: v_dual_add_f32 v3, v3, v8
	v_lshlrev_b32_e32 v4, 2, v4
	s_delay_alu instid0(VALU_DEP_3) | instskip(NEXT) | instid1(VALU_DEP_3)
	v_dual_mul_f32 v0, s14, v0 :: v_dual_mul_f32 v1, s14, v1
	v_dual_mul_f32 v2, s14, v2 :: v_dual_mul_f32 v3, s14, v3
	s_cmp_eq_f32 s12, 0
	s_cbranch_scc0 .LBB94_40
; %bb.39:
	v_ashrrev_i32_e32 v5, 31, v4
	s_mov_b32 s2, 0
	s_delay_alu instid0(VALU_DEP_1) | instskip(SKIP_1) | instid1(VALU_DEP_1)
	v_lshlrev_b64_e32 v[5:6], 2, v[4:5]
	s_wait_kmcnt 0x0
	v_add_co_u32 v5, vcc_lo, s0, v5
	s_wait_alu 0xfffd
	s_delay_alu instid0(VALU_DEP_2)
	v_add_co_ci_u32_e64 v6, null, s1, v6, vcc_lo
	global_store_b128 v[5:6], v[0:3], off
.LBB94_40:
	s_wait_alu 0xfffe
	s_and_not1_b32 vcc_lo, exec_lo, s2
	s_wait_alu 0xfffe
	s_cbranch_vccnz .LBB94_10
; %bb.41:
	v_ashrrev_i32_e32 v5, 31, v4
	s_delay_alu instid0(VALU_DEP_1) | instskip(SKIP_1) | instid1(VALU_DEP_1)
	v_lshlrev_b64_e32 v[4:5], 2, v[4:5]
	s_wait_kmcnt 0x0
	v_add_co_u32 v8, vcc_lo, s0, v4
	s_wait_alu 0xfffd
	s_delay_alu instid0(VALU_DEP_2)
	v_add_co_ci_u32_e64 v9, null, s1, v5, vcc_lo
	global_load_b128 v[4:7], v[8:9], off
	s_wait_loadcnt 0x0
	v_dual_fmac_f32 v0, s12, v4 :: v_dual_fmac_f32 v1, s12, v5
	v_dual_fmac_f32 v2, s12, v6 :: v_dual_fmac_f32 v3, s12, v7
	global_store_b128 v[8:9], v[0:3], off
	s_endpgm
	.section	.rodata,"a",@progbits
	.p2align	6, 0x0
	.amdhsa_kernel _ZN9rocsparseL18bsrxmvn_4x4_kernelILj128ELj64EfiiDF16_DF16_fEEvT3_20rocsparse_direction_NS_24const_host_device_scalarIT1_EES1_PKS1_PKT2_SA_S7_PKT4_PKT5_S5_PT6_21rocsparse_index_base_b
		.amdhsa_group_segment_fixed_size 0
		.amdhsa_private_segment_fixed_size 0
		.amdhsa_kernarg_size 96
		.amdhsa_user_sgpr_count 2
		.amdhsa_user_sgpr_dispatch_ptr 0
		.amdhsa_user_sgpr_queue_ptr 0
		.amdhsa_user_sgpr_kernarg_segment_ptr 1
		.amdhsa_user_sgpr_dispatch_id 0
		.amdhsa_user_sgpr_private_segment_size 0
		.amdhsa_wavefront_size32 1
		.amdhsa_uses_dynamic_stack 0
		.amdhsa_enable_private_segment 0
		.amdhsa_system_sgpr_workgroup_id_x 1
		.amdhsa_system_sgpr_workgroup_id_y 0
		.amdhsa_system_sgpr_workgroup_id_z 0
		.amdhsa_system_sgpr_workgroup_info 0
		.amdhsa_system_vgpr_workitem_id 0
		.amdhsa_next_free_vgpr 56
		.amdhsa_next_free_sgpr 18
		.amdhsa_reserve_vcc 1
		.amdhsa_float_round_mode_32 0
		.amdhsa_float_round_mode_16_64 0
		.amdhsa_float_denorm_mode_32 3
		.amdhsa_float_denorm_mode_16_64 3
		.amdhsa_fp16_overflow 0
		.amdhsa_workgroup_processor_mode 1
		.amdhsa_memory_ordered 1
		.amdhsa_forward_progress 1
		.amdhsa_inst_pref_size 37
		.amdhsa_round_robin_scheduling 0
		.amdhsa_exception_fp_ieee_invalid_op 0
		.amdhsa_exception_fp_denorm_src 0
		.amdhsa_exception_fp_ieee_div_zero 0
		.amdhsa_exception_fp_ieee_overflow 0
		.amdhsa_exception_fp_ieee_underflow 0
		.amdhsa_exception_fp_ieee_inexact 0
		.amdhsa_exception_int_div_zero 0
	.end_amdhsa_kernel
	.section	.text._ZN9rocsparseL18bsrxmvn_4x4_kernelILj128ELj64EfiiDF16_DF16_fEEvT3_20rocsparse_direction_NS_24const_host_device_scalarIT1_EES1_PKS1_PKT2_SA_S7_PKT4_PKT5_S5_PT6_21rocsparse_index_base_b,"axG",@progbits,_ZN9rocsparseL18bsrxmvn_4x4_kernelILj128ELj64EfiiDF16_DF16_fEEvT3_20rocsparse_direction_NS_24const_host_device_scalarIT1_EES1_PKS1_PKT2_SA_S7_PKT4_PKT5_S5_PT6_21rocsparse_index_base_b,comdat
.Lfunc_end94:
	.size	_ZN9rocsparseL18bsrxmvn_4x4_kernelILj128ELj64EfiiDF16_DF16_fEEvT3_20rocsparse_direction_NS_24const_host_device_scalarIT1_EES1_PKS1_PKT2_SA_S7_PKT4_PKT5_S5_PT6_21rocsparse_index_base_b, .Lfunc_end94-_ZN9rocsparseL18bsrxmvn_4x4_kernelILj128ELj64EfiiDF16_DF16_fEEvT3_20rocsparse_direction_NS_24const_host_device_scalarIT1_EES1_PKS1_PKT2_SA_S7_PKT4_PKT5_S5_PT6_21rocsparse_index_base_b
                                        ; -- End function
	.set _ZN9rocsparseL18bsrxmvn_4x4_kernelILj128ELj64EfiiDF16_DF16_fEEvT3_20rocsparse_direction_NS_24const_host_device_scalarIT1_EES1_PKS1_PKT2_SA_S7_PKT4_PKT5_S5_PT6_21rocsparse_index_base_b.num_vgpr, 56
	.set _ZN9rocsparseL18bsrxmvn_4x4_kernelILj128ELj64EfiiDF16_DF16_fEEvT3_20rocsparse_direction_NS_24const_host_device_scalarIT1_EES1_PKS1_PKT2_SA_S7_PKT4_PKT5_S5_PT6_21rocsparse_index_base_b.num_agpr, 0
	.set _ZN9rocsparseL18bsrxmvn_4x4_kernelILj128ELj64EfiiDF16_DF16_fEEvT3_20rocsparse_direction_NS_24const_host_device_scalarIT1_EES1_PKS1_PKT2_SA_S7_PKT4_PKT5_S5_PT6_21rocsparse_index_base_b.numbered_sgpr, 18
	.set _ZN9rocsparseL18bsrxmvn_4x4_kernelILj128ELj64EfiiDF16_DF16_fEEvT3_20rocsparse_direction_NS_24const_host_device_scalarIT1_EES1_PKS1_PKT2_SA_S7_PKT4_PKT5_S5_PT6_21rocsparse_index_base_b.num_named_barrier, 0
	.set _ZN9rocsparseL18bsrxmvn_4x4_kernelILj128ELj64EfiiDF16_DF16_fEEvT3_20rocsparse_direction_NS_24const_host_device_scalarIT1_EES1_PKS1_PKT2_SA_S7_PKT4_PKT5_S5_PT6_21rocsparse_index_base_b.private_seg_size, 0
	.set _ZN9rocsparseL18bsrxmvn_4x4_kernelILj128ELj64EfiiDF16_DF16_fEEvT3_20rocsparse_direction_NS_24const_host_device_scalarIT1_EES1_PKS1_PKT2_SA_S7_PKT4_PKT5_S5_PT6_21rocsparse_index_base_b.uses_vcc, 1
	.set _ZN9rocsparseL18bsrxmvn_4x4_kernelILj128ELj64EfiiDF16_DF16_fEEvT3_20rocsparse_direction_NS_24const_host_device_scalarIT1_EES1_PKS1_PKT2_SA_S7_PKT4_PKT5_S5_PT6_21rocsparse_index_base_b.uses_flat_scratch, 0
	.set _ZN9rocsparseL18bsrxmvn_4x4_kernelILj128ELj64EfiiDF16_DF16_fEEvT3_20rocsparse_direction_NS_24const_host_device_scalarIT1_EES1_PKS1_PKT2_SA_S7_PKT4_PKT5_S5_PT6_21rocsparse_index_base_b.has_dyn_sized_stack, 0
	.set _ZN9rocsparseL18bsrxmvn_4x4_kernelILj128ELj64EfiiDF16_DF16_fEEvT3_20rocsparse_direction_NS_24const_host_device_scalarIT1_EES1_PKS1_PKT2_SA_S7_PKT4_PKT5_S5_PT6_21rocsparse_index_base_b.has_recursion, 0
	.set _ZN9rocsparseL18bsrxmvn_4x4_kernelILj128ELj64EfiiDF16_DF16_fEEvT3_20rocsparse_direction_NS_24const_host_device_scalarIT1_EES1_PKS1_PKT2_SA_S7_PKT4_PKT5_S5_PT6_21rocsparse_index_base_b.has_indirect_call, 0
	.section	.AMDGPU.csdata,"",@progbits
; Kernel info:
; codeLenInByte = 4656
; TotalNumSgprs: 20
; NumVgprs: 56
; ScratchSize: 0
; MemoryBound: 0
; FloatMode: 240
; IeeeMode: 1
; LDSByteSize: 0 bytes/workgroup (compile time only)
; SGPRBlocks: 0
; VGPRBlocks: 6
; NumSGPRsForWavesPerEU: 20
; NumVGPRsForWavesPerEU: 56
; Occupancy: 16
; WaveLimiterHint : 1
; COMPUTE_PGM_RSRC2:SCRATCH_EN: 0
; COMPUTE_PGM_RSRC2:USER_SGPR: 2
; COMPUTE_PGM_RSRC2:TRAP_HANDLER: 0
; COMPUTE_PGM_RSRC2:TGID_X_EN: 1
; COMPUTE_PGM_RSRC2:TGID_Y_EN: 0
; COMPUTE_PGM_RSRC2:TGID_Z_EN: 0
; COMPUTE_PGM_RSRC2:TIDIG_COMP_CNT: 0
	.section	.text._ZN9rocsparseL18bsrxmvn_4x4_kernelILj128ELj4EfliDF16_DF16_fEEvT3_20rocsparse_direction_NS_24const_host_device_scalarIT1_EES1_PKS1_PKT2_SA_S7_PKT4_PKT5_S5_PT6_21rocsparse_index_base_b,"axG",@progbits,_ZN9rocsparseL18bsrxmvn_4x4_kernelILj128ELj4EfliDF16_DF16_fEEvT3_20rocsparse_direction_NS_24const_host_device_scalarIT1_EES1_PKS1_PKT2_SA_S7_PKT4_PKT5_S5_PT6_21rocsparse_index_base_b,comdat
	.globl	_ZN9rocsparseL18bsrxmvn_4x4_kernelILj128ELj4EfliDF16_DF16_fEEvT3_20rocsparse_direction_NS_24const_host_device_scalarIT1_EES1_PKS1_PKT2_SA_S7_PKT4_PKT5_S5_PT6_21rocsparse_index_base_b ; -- Begin function _ZN9rocsparseL18bsrxmvn_4x4_kernelILj128ELj4EfliDF16_DF16_fEEvT3_20rocsparse_direction_NS_24const_host_device_scalarIT1_EES1_PKS1_PKT2_SA_S7_PKT4_PKT5_S5_PT6_21rocsparse_index_base_b
	.p2align	8
	.type	_ZN9rocsparseL18bsrxmvn_4x4_kernelILj128ELj4EfliDF16_DF16_fEEvT3_20rocsparse_direction_NS_24const_host_device_scalarIT1_EES1_PKS1_PKT2_SA_S7_PKT4_PKT5_S5_PT6_21rocsparse_index_base_b,@function
_ZN9rocsparseL18bsrxmvn_4x4_kernelILj128ELj4EfliDF16_DF16_fEEvT3_20rocsparse_direction_NS_24const_host_device_scalarIT1_EES1_PKS1_PKT2_SA_S7_PKT4_PKT5_S5_PT6_21rocsparse_index_base_b: ; @_ZN9rocsparseL18bsrxmvn_4x4_kernelILj128ELj4EfliDF16_DF16_fEEvT3_20rocsparse_direction_NS_24const_host_device_scalarIT1_EES1_PKS1_PKT2_SA_S7_PKT4_PKT5_S5_PT6_21rocsparse_index_base_b
; %bb.0:
	s_clause 0x2
	s_load_b64 s[16:17], s[0:1], 0x58
	s_load_b64 s[14:15], s[0:1], 0x8
	;; [unrolled: 1-line block ×3, first 2 shown]
	s_wait_kmcnt 0x0
	s_bitcmp1_b32 s17, 0
	s_cselect_b32 s2, -1, 0
	s_delay_alu instid0(SALU_CYCLE_1)
	s_and_b32 vcc_lo, exec_lo, s2
	s_xor_b32 s2, s2, -1
	s_cbranch_vccnz .LBB95_2
; %bb.1:
	s_load_b32 s14, s[14:15], 0x0
.LBB95_2:
	s_and_not1_b32 vcc_lo, exec_lo, s2
	s_cbranch_vccnz .LBB95_4
; %bb.3:
	s_load_b32 s12, s[12:13], 0x0
.LBB95_4:
	s_wait_kmcnt 0x0
	s_cmp_neq_f32 s14, 0
	s_mov_b32 s6, 0
	s_cselect_b32 s2, -1, 0
	s_cmp_neq_f32 s12, 1.0
	s_cselect_b32 s3, -1, 0
	s_delay_alu instid0(SALU_CYCLE_1) | instskip(NEXT) | instid1(SALU_CYCLE_1)
	s_or_b32 s2, s2, s3
	s_and_not1_b32 vcc_lo, exec_lo, s2
	s_cbranch_vccnz .LBB95_10
; %bb.5:
	s_clause 0x1
	s_load_b64 s[4:5], s[0:1], 0x18
	s_load_b64 s[2:3], s[0:1], 0x0
	v_lshrrev_b32_e32 v1, 2, v0
	s_delay_alu instid0(VALU_DEP_1)
	v_lshl_or_b32 v4, ttmp9, 5, v1
	s_wait_kmcnt 0x0
	s_cmp_lg_u64 s[4:5], 0
	s_cbranch_scc0 .LBB95_11
; %bb.6:
	s_load_b32 s6, s[0:1], 0x10
	s_mov_b32 s7, 0
                                        ; implicit-def: $vgpr1
	s_wait_kmcnt 0x0
	v_cmp_gt_i32_e32 vcc_lo, s6, v4
	s_mov_b32 s6, 0
	s_and_saveexec_b32 s8, vcc_lo
	s_delay_alu instid0(SALU_CYCLE_1)
	s_xor_b32 s8, exec_lo, s8
	s_cbranch_execz .LBB95_8
; %bb.7:
	v_ashrrev_i32_e32 v5, 31, v4
	s_mov_b32 s6, exec_lo
	s_delay_alu instid0(VALU_DEP_1) | instskip(NEXT) | instid1(VALU_DEP_1)
	v_lshlrev_b64_e32 v[1:2], 2, v[4:5]
	v_add_co_u32 v1, vcc_lo, s4, v1
	s_delay_alu instid0(VALU_DEP_1)
	v_add_co_ci_u32_e64 v2, null, s5, v2, vcc_lo
	global_load_b32 v1, v[1:2], off
	s_wait_loadcnt 0x0
	v_subrev_nc_u32_e32 v1, s16, v1
.LBB95_8:
	s_or_b32 exec_lo, exec_lo, s8
	s_delay_alu instid0(SALU_CYCLE_1)
	s_and_b32 vcc_lo, exec_lo, s7
	s_wait_alu 0xfffe
	s_cbranch_vccz .LBB95_12
.LBB95_9:
	v_cmp_gt_i32_e32 vcc_lo, s2, v4
	s_and_not1_b32 s2, s6, exec_lo
	s_and_b32 s4, vcc_lo, exec_lo
	s_wait_alu 0xfffe
	s_or_b32 s6, s2, s4
	s_wait_alu 0xfffe
	s_and_saveexec_b32 s2, s6
	s_cbranch_execnz .LBB95_13
.LBB95_10:
	s_endpgm
.LBB95_11:
                                        ; implicit-def: $vgpr1
	s_cbranch_execnz .LBB95_9
.LBB95_12:
	v_mov_b32_e32 v4, v1
	s_and_saveexec_b32 s2, s6
	s_cbranch_execz .LBB95_10
.LBB95_13:
	s_load_b256 s[4:11], s[0:1], 0x20
	s_delay_alu instid0(VALU_DEP_1) | instskip(SKIP_1) | instid1(VALU_DEP_2)
	v_ashrrev_i32_e32 v5, 31, v4
	v_dual_mov_b32 v22, 0 :: v_dual_and_b32 v21, 3, v0
	v_lshlrev_b64_e32 v[1:2], 3, v[4:5]
	s_wait_kmcnt 0x0
	s_delay_alu instid0(VALU_DEP_1) | instskip(SKIP_1) | instid1(VALU_DEP_2)
	v_add_co_u32 v5, vcc_lo, s4, v1
	s_wait_alu 0xfffd
	v_add_co_ci_u32_e64 v6, null, s5, v2, vcc_lo
	v_add_co_u32 v1, vcc_lo, s6, v1
	s_wait_alu 0xfffd
	v_add_co_ci_u32_e64 v2, null, s7, v2, vcc_lo
	v_add_co_u32 v3, vcc_lo, v5, 8
	global_load_b64 v[9:10], v[5:6], off
	s_wait_alu 0xfffd
	v_add_co_ci_u32_e64 v7, null, 0, v6, vcc_lo
	s_cmp_eq_u64 s[6:7], 0
	s_load_b64 s[4:5], s[0:1], 0x40
	s_cselect_b32 vcc_lo, -1, 0
	s_cmp_eq_u32 s3, 1
	s_wait_alu 0xfffe
	v_cndmask_b32_e32 v2, v2, v7, vcc_lo
	v_cndmask_b32_e32 v1, v1, v3, vcc_lo
	global_load_b64 v[2:3], v[1:2], off
	s_wait_loadcnt 0x1
	v_sub_co_u32 v0, vcc_lo, v9, s16
	s_wait_alu 0xfffd
	v_subrev_co_ci_u32_e64 v1, null, 0, v10, vcc_lo
	s_delay_alu instid0(VALU_DEP_2) | instskip(SKIP_1) | instid1(VALU_DEP_2)
	v_add_co_u32 v0, vcc_lo, v0, v21
	s_wait_alu 0xfffd
	v_add_co_ci_u32_e64 v1, null, 0, v1, vcc_lo
	s_delay_alu instid0(VALU_DEP_1) | instskip(SKIP_4) | instid1(VALU_DEP_3)
	v_lshlrev_b64_e32 v[5:6], 5, v[0:1]
	s_wait_loadcnt 0x0
	v_sub_co_u32 v2, vcc_lo, v2, s16
	s_wait_alu 0xfffd
	v_subrev_co_ci_u32_e64 v3, null, 0, v3, vcc_lo
	v_add_co_u32 v5, vcc_lo, s10, v5
	s_delay_alu instid0(VALU_DEP_2)
	v_cmp_lt_i64_e64 s2, v[0:1], v[2:3]
	s_wait_alu 0xfffd
	v_add_co_ci_u32_e64 v6, null, s11, v6, vcc_lo
	s_cbranch_scc1 .LBB95_25
; %bb.14:
	v_dual_mov_b32 v23, 0 :: v_dual_mov_b32 v24, 0
	v_mov_b32_e32 v8, 0
	s_and_saveexec_b32 s3, s2
	s_cbranch_execz .LBB95_24
; %bb.15:
	v_or_b32_e32 v7, 4, v21
	v_not_b32_e32 v12, v9
	v_not_b32_e32 v11, v10
	s_delay_alu instid0(VALU_DEP_3) | instskip(SKIP_3) | instid1(VALU_DEP_3)
	v_sub_co_u32 v7, s6, v7, s16
	s_wait_alu 0xf1ff
	v_sub_co_ci_u32_e64 v8, null, 0, 0, s6
	v_sub_co_u32 v13, s6, s16, v21
	v_add_co_u32 v7, vcc_lo, v7, v9
	s_wait_alu 0xfffd
	s_delay_alu instid0(VALU_DEP_3)
	v_add_co_ci_u32_e64 v8, null, v8, v10, vcc_lo
	s_wait_alu 0xf1ff
	v_sub_co_ci_u32_e64 v14, null, 0, 0, s6
	s_mov_b32 s6, exec_lo
	v_cmp_gt_i64_e32 vcc_lo, v[7:8], v[2:3]
	s_wait_alu 0xfffd
	v_dual_cndmask_b32 v16, v3, v8 :: v_dual_cndmask_b32 v7, v2, v7
	v_add_co_u32 v8, vcc_lo, v13, v12
	s_wait_alu 0xfffd
	v_add_co_ci_u32_e64 v11, null, v14, v11, vcc_lo
	v_mov_b32_e32 v14, v6
	s_delay_alu instid0(VALU_DEP_3) | instskip(SKIP_4) | instid1(VALU_DEP_3)
	v_add_co_u32 v15, vcc_lo, v8, v7
	v_mov_b32_e32 v8, 0
	s_wait_alu 0xfffd
	v_add_co_ci_u32_e64 v16, null, v11, v16, vcc_lo
	v_dual_mov_b32 v12, v1 :: v_dual_mov_b32 v13, v5
	v_dual_mov_b32 v24, v8 :: v_dual_and_b32 v7, 12, v15
	v_dual_mov_b32 v23, v8 :: v_dual_mov_b32 v22, v8
	v_mov_b32_e32 v11, v0
	s_delay_alu instid0(VALU_DEP_3)
	v_cmpx_ne_u64_e32 12, v[7:8]
	s_cbranch_execz .LBB95_19
; %bb.16:
	v_lshrrev_b32_e32 v7, 2, v15
	v_mov_b32_e32 v22, 0
	v_dual_mov_b32 v14, v6 :: v_dual_mov_b32 v13, v5
	v_dual_mov_b32 v12, v1 :: v_dual_mov_b32 v11, v0
	s_delay_alu instid0(VALU_DEP_4) | instskip(SKIP_2) | instid1(VALU_DEP_3)
	v_add_nc_u32_e32 v17, 1, v7
	v_lshlrev_b64_e32 v[7:8], 2, v[0:1]
	v_dual_mov_b32 v23, 0 :: v_dual_mov_b32 v24, 0
	v_and_b32_e32 v19, 3, v17
	s_delay_alu instid0(VALU_DEP_3) | instskip(SKIP_1) | instid1(VALU_DEP_4)
	v_add_co_u32 v17, vcc_lo, s8, v7
	s_wait_alu 0xfffd
	v_add_co_ci_u32_e64 v18, null, s9, v8, vcc_lo
	v_mov_b32_e32 v8, 0
	v_sub_co_u32 v19, s7, 0, v19
	s_wait_alu 0xf1ff
	v_sub_co_ci_u32_e64 v20, null, 0, 0, s7
	s_mov_b32 s7, 0
.LBB95_17:                              ; =>This Inner Loop Header: Depth=1
	global_load_b32 v7, v[17:18], off
	s_clause 0x1
	global_load_b128 v[25:28], v[13:14], off
	global_load_b128 v[29:32], v[13:14], off offset:16
	s_wait_loadcnt 0x2
	v_subrev_nc_u32_e32 v7, s16, v7
	s_delay_alu instid0(VALU_DEP_1) | instskip(NEXT) | instid1(VALU_DEP_1)
	v_lshlrev_b32_e32 v33, 2, v7
	v_ashrrev_i32_e32 v34, 31, v33
	s_delay_alu instid0(VALU_DEP_1) | instskip(SKIP_1) | instid1(VALU_DEP_1)
	v_lshlrev_b64_e32 v[33:34], 1, v[33:34]
	s_wait_kmcnt 0x0
	v_add_co_u32 v33, vcc_lo, s4, v33
	s_wait_alu 0xfffd
	s_delay_alu instid0(VALU_DEP_2)
	v_add_co_ci_u32_e64 v34, null, s5, v34, vcc_lo
	v_add_co_u32 v13, vcc_lo, 0x80, v13
	s_wait_alu 0xfffd
	v_add_co_ci_u32_e64 v14, null, 0, v14, vcc_lo
	global_load_b64 v[33:34], v[33:34], off
	v_add_co_u32 v11, vcc_lo, v11, 4
	s_wait_alu 0xfffd
	v_add_co_ci_u32_e64 v12, null, 0, v12, vcc_lo
	v_add_co_u32 v17, vcc_lo, v17, 16
	s_wait_alu 0xfffd
	v_add_co_ci_u32_e64 v18, null, 0, v18, vcc_lo
	;; [unrolled: 3-line block ×3, first 2 shown]
	s_delay_alu instid0(VALU_DEP_1)
	v_cmp_eq_u64_e32 vcc_lo, 0, v[19:20]
	s_wait_alu 0xfffe
	s_or_b32 s7, vcc_lo, s7
	s_wait_loadcnt 0x0
	v_fma_mix_f32 v7, v25, v33, v8 op_sel_hi:[1,1,0]
	v_fma_mix_f32 v8, v27, v33, v24 op_sel_hi:[1,1,0]
	;; [unrolled: 1-line block ×4, first 2 shown]
	s_delay_alu instid0(VALU_DEP_4) | instskip(NEXT) | instid1(VALU_DEP_4)
	v_fma_mix_f32 v7, v25, v33, v7 op_sel:[1,1,0] op_sel_hi:[1,1,0]
	v_fma_mix_f32 v8, v27, v33, v8 op_sel:[1,1,0] op_sel_hi:[1,1,0]
	s_delay_alu instid0(VALU_DEP_4) | instskip(NEXT) | instid1(VALU_DEP_4)
	v_fma_mix_f32 v23, v29, v33, v23 op_sel:[1,1,0] op_sel_hi:[1,1,0]
	v_fma_mix_f32 v22, v31, v33, v22 op_sel:[1,1,0] op_sel_hi:[1,1,0]
	s_delay_alu instid0(VALU_DEP_4) | instskip(NEXT) | instid1(VALU_DEP_4)
	v_fma_mix_f32 v7, v26, v34, v7 op_sel_hi:[1,1,0]
	v_fma_mix_f32 v24, v28, v34, v8 op_sel_hi:[1,1,0]
	s_delay_alu instid0(VALU_DEP_4) | instskip(NEXT) | instid1(VALU_DEP_4)
	v_fma_mix_f32 v23, v30, v34, v23 op_sel_hi:[1,1,0]
	v_fma_mix_f32 v22, v32, v34, v22 op_sel_hi:[1,1,0]
	s_delay_alu instid0(VALU_DEP_4) | instskip(NEXT) | instid1(VALU_DEP_4)
	v_fma_mix_f32 v8, v26, v34, v7 op_sel:[1,1,0] op_sel_hi:[1,1,0]
	v_fma_mix_f32 v24, v28, v34, v24 op_sel:[1,1,0] op_sel_hi:[1,1,0]
	s_delay_alu instid0(VALU_DEP_4) | instskip(NEXT) | instid1(VALU_DEP_4)
	v_fma_mix_f32 v23, v30, v34, v23 op_sel:[1,1,0] op_sel_hi:[1,1,0]
	v_fma_mix_f32 v22, v32, v34, v22 op_sel:[1,1,0] op_sel_hi:[1,1,0]
	s_wait_alu 0xfffe
	s_and_not1_b32 exec_lo, exec_lo, s7
	s_cbranch_execnz .LBB95_17
; %bb.18:
	s_or_b32 exec_lo, exec_lo, s7
.LBB95_19:
	s_wait_alu 0xfffe
	s_or_b32 exec_lo, exec_lo, s6
	s_delay_alu instid0(SALU_CYCLE_1)
	s_mov_b32 s6, exec_lo
	v_cmpx_lt_u64_e32 11, v[15:16]
	s_cbranch_execz .LBB95_23
; %bb.20:
	v_lshlrev_b64_e32 v[15:16], 2, v[11:12]
	s_mov_b32 s7, 0
	s_delay_alu instid0(VALU_DEP_1) | instskip(SKIP_1) | instid1(VALU_DEP_2)
	v_add_co_u32 v7, vcc_lo, s8, v15
	s_wait_alu 0xfffd
	v_add_co_ci_u32_e64 v16, null, s9, v16, vcc_lo
	s_delay_alu instid0(VALU_DEP_2) | instskip(SKIP_1) | instid1(VALU_DEP_2)
	v_add_co_u32 v15, vcc_lo, v7, 32
	s_wait_alu 0xfffd
	v_add_co_ci_u32_e64 v16, null, 0, v16, vcc_lo
.LBB95_21:                              ; =>This Inner Loop Header: Depth=1
	s_clause 0x3
	global_load_b32 v7, v[15:16], off offset:-32
	global_load_b32 v53, v[15:16], off offset:-16
	global_load_b32 v54, v[15:16], off
	global_load_b32 v55, v[15:16], off offset:16
	s_clause 0x7
	global_load_b128 v[17:20], v[13:14], off
	global_load_b128 v[25:28], v[13:14], off offset:16
	global_load_b128 v[29:32], v[13:14], off offset:128
	;; [unrolled: 1-line block ×7, first 2 shown]
	s_wait_loadcnt 0xb
	v_subrev_nc_u32_e32 v7, s16, v7
	s_wait_loadcnt 0xa
	v_subrev_nc_u32_e32 v56, s16, v53
	;; [unrolled: 2-line block ×4, first 2 shown]
	v_lshlrev_b32_e32 v53, 2, v7
	v_lshlrev_b32_e32 v55, 2, v56
	;; [unrolled: 1-line block ×3, first 2 shown]
	s_delay_alu instid0(VALU_DEP_4) | instskip(NEXT) | instid1(VALU_DEP_4)
	v_lshlrev_b32_e32 v59, 2, v58
	v_ashrrev_i32_e32 v54, 31, v53
	s_delay_alu instid0(VALU_DEP_4) | instskip(NEXT) | instid1(VALU_DEP_4)
	v_ashrrev_i32_e32 v56, 31, v55
	v_ashrrev_i32_e32 v58, 31, v57
	s_delay_alu instid0(VALU_DEP_4) | instskip(NEXT) | instid1(VALU_DEP_4)
	v_ashrrev_i32_e32 v60, 31, v59
	v_lshlrev_b64_e32 v[53:54], 1, v[53:54]
	s_delay_alu instid0(VALU_DEP_4) | instskip(NEXT) | instid1(VALU_DEP_4)
	v_lshlrev_b64_e32 v[55:56], 1, v[55:56]
	v_lshlrev_b64_e32 v[57:58], 1, v[57:58]
	s_delay_alu instid0(VALU_DEP_4) | instskip(SKIP_1) | instid1(VALU_DEP_4)
	v_lshlrev_b64_e32 v[59:60], 1, v[59:60]
	s_wait_kmcnt 0x0
	v_add_co_u32 v53, vcc_lo, s4, v53
	s_wait_alu 0xfffd
	v_add_co_ci_u32_e64 v54, null, s5, v54, vcc_lo
	v_add_co_u32 v55, vcc_lo, s4, v55
	s_wait_alu 0xfffd
	v_add_co_ci_u32_e64 v56, null, s5, v56, vcc_lo
	global_load_b64 v[53:54], v[53:54], off
	v_add_co_u32 v57, vcc_lo, s4, v57
	global_load_b64 v[55:56], v[55:56], off
	s_wait_alu 0xfffd
	v_add_co_ci_u32_e64 v58, null, s5, v58, vcc_lo
	v_add_co_u32 v59, vcc_lo, s4, v59
	s_wait_alu 0xfffd
	v_add_co_ci_u32_e64 v60, null, s5, v60, vcc_lo
	global_load_b64 v[57:58], v[57:58], off
	v_add_co_u32 v13, vcc_lo, 0x200, v13
	global_load_b64 v[59:60], v[59:60], off
	s_wait_alu 0xfffd
	v_add_co_ci_u32_e64 v14, null, 0, v14, vcc_lo
	v_add_co_u32 v11, vcc_lo, v11, 16
	s_wait_alu 0xfffd
	v_add_co_ci_u32_e64 v12, null, 0, v12, vcc_lo
	v_add_co_u32 v15, vcc_lo, v15, 64
	s_wait_alu 0xfffd
	v_add_co_ci_u32_e64 v16, null, 0, v16, vcc_lo
	s_delay_alu instid0(VALU_DEP_3)
	v_cmp_ge_i64_e32 vcc_lo, v[11:12], v[2:3]
	s_wait_alu 0xfffe
	s_or_b32 s7, vcc_lo, s7
	s_wait_loadcnt 0x3
	v_fma_mix_f32 v7, v17, v53, v8 op_sel_hi:[1,1,0]
	v_fma_mix_f32 v8, v19, v53, v24 op_sel_hi:[1,1,0]
	v_fma_mix_f32 v23, v25, v53, v23 op_sel_hi:[1,1,0]
	v_fma_mix_f32 v22, v27, v53, v22 op_sel_hi:[1,1,0]
	s_delay_alu instid0(VALU_DEP_4) | instskip(NEXT) | instid1(VALU_DEP_4)
	v_fma_mix_f32 v7, v17, v53, v7 op_sel:[1,1,0] op_sel_hi:[1,1,0]
	v_fma_mix_f32 v8, v19, v53, v8 op_sel:[1,1,0] op_sel_hi:[1,1,0]
	s_delay_alu instid0(VALU_DEP_4) | instskip(NEXT) | instid1(VALU_DEP_4)
	v_fma_mix_f32 v17, v25, v53, v23 op_sel:[1,1,0] op_sel_hi:[1,1,0]
	v_fma_mix_f32 v19, v27, v53, v22 op_sel:[1,1,0] op_sel_hi:[1,1,0]
	s_delay_alu instid0(VALU_DEP_4) | instskip(NEXT) | instid1(VALU_DEP_4)
	v_fma_mix_f32 v7, v18, v54, v7 op_sel_hi:[1,1,0]
	v_fma_mix_f32 v8, v20, v54, v8 op_sel_hi:[1,1,0]
	s_delay_alu instid0(VALU_DEP_4) | instskip(NEXT) | instid1(VALU_DEP_4)
	v_fma_mix_f32 v17, v26, v54, v17 op_sel_hi:[1,1,0]
	v_fma_mix_f32 v19, v28, v54, v19 op_sel_hi:[1,1,0]
	s_delay_alu instid0(VALU_DEP_4) | instskip(NEXT) | instid1(VALU_DEP_4)
	v_fma_mix_f32 v7, v18, v54, v7 op_sel:[1,1,0] op_sel_hi:[1,1,0]
	v_fma_mix_f32 v8, v20, v54, v8 op_sel:[1,1,0] op_sel_hi:[1,1,0]
	s_delay_alu instid0(VALU_DEP_4) | instskip(NEXT) | instid1(VALU_DEP_4)
	v_fma_mix_f32 v17, v26, v54, v17 op_sel:[1,1,0] op_sel_hi:[1,1,0]
	v_fma_mix_f32 v18, v28, v54, v19 op_sel:[1,1,0] op_sel_hi:[1,1,0]
	s_wait_loadcnt 0x2
	v_fma_mix_f32 v7, v29, v55, v7 op_sel_hi:[1,1,0]
	v_fma_mix_f32 v8, v31, v55, v8 op_sel_hi:[1,1,0]
	v_fma_mix_f32 v17, v33, v55, v17 op_sel_hi:[1,1,0]
	v_fma_mix_f32 v18, v35, v55, v18 op_sel_hi:[1,1,0]
	s_delay_alu instid0(VALU_DEP_4) | instskip(NEXT) | instid1(VALU_DEP_4)
	v_fma_mix_f32 v7, v29, v55, v7 op_sel:[1,1,0] op_sel_hi:[1,1,0]
	v_fma_mix_f32 v8, v31, v55, v8 op_sel:[1,1,0] op_sel_hi:[1,1,0]
	s_delay_alu instid0(VALU_DEP_4) | instskip(NEXT) | instid1(VALU_DEP_4)
	v_fma_mix_f32 v17, v33, v55, v17 op_sel:[1,1,0] op_sel_hi:[1,1,0]
	v_fma_mix_f32 v18, v35, v55, v18 op_sel:[1,1,0] op_sel_hi:[1,1,0]
	s_delay_alu instid0(VALU_DEP_4) | instskip(NEXT) | instid1(VALU_DEP_4)
	v_fma_mix_f32 v7, v30, v56, v7 op_sel_hi:[1,1,0]
	v_fma_mix_f32 v8, v32, v56, v8 op_sel_hi:[1,1,0]
	s_delay_alu instid0(VALU_DEP_4) | instskip(NEXT) | instid1(VALU_DEP_4)
	v_fma_mix_f32 v17, v34, v56, v17 op_sel_hi:[1,1,0]
	v_fma_mix_f32 v18, v36, v56, v18 op_sel_hi:[1,1,0]
	s_delay_alu instid0(VALU_DEP_4) | instskip(NEXT) | instid1(VALU_DEP_4)
	v_fma_mix_f32 v7, v30, v56, v7 op_sel:[1,1,0] op_sel_hi:[1,1,0]
	v_fma_mix_f32 v8, v32, v56, v8 op_sel:[1,1,0] op_sel_hi:[1,1,0]
	s_delay_alu instid0(VALU_DEP_4) | instskip(NEXT) | instid1(VALU_DEP_4)
	v_fma_mix_f32 v17, v34, v56, v17 op_sel:[1,1,0] op_sel_hi:[1,1,0]
	v_fma_mix_f32 v18, v36, v56, v18 op_sel:[1,1,0] op_sel_hi:[1,1,0]
	;; [unrolled: 23-line block ×4, first 2 shown]
	s_wait_alu 0xfffe
	s_and_not1_b32 exec_lo, exec_lo, s7
	s_cbranch_execnz .LBB95_21
; %bb.22:
	s_or_b32 exec_lo, exec_lo, s7
.LBB95_23:
	s_wait_alu 0xfffe
	s_or_b32 exec_lo, exec_lo, s6
.LBB95_24:
	s_wait_alu 0xfffe
	s_or_b32 exec_lo, exec_lo, s3
	s_cbranch_execz .LBB95_26
	s_branch .LBB95_37
.LBB95_25:
                                        ; implicit-def: $vgpr22
                                        ; implicit-def: $vgpr23
                                        ; implicit-def: $vgpr24
                                        ; implicit-def: $vgpr8
.LBB95_26:
	v_dual_mov_b32 v22, 0 :: v_dual_mov_b32 v23, 0
	v_mov_b32_e32 v24, 0
	v_mov_b32_e32 v8, 0
	s_and_saveexec_b32 s3, s2
	s_cbranch_execz .LBB95_36
; %bb.27:
	v_or_b32_e32 v7, 4, v21
	s_delay_alu instid0(VALU_DEP_1) | instskip(SKIP_3) | instid1(VALU_DEP_3)
	v_sub_co_u32 v7, s2, v7, s16
	s_wait_alu 0xf1ff
	v_sub_co_ci_u32_e64 v8, null, 0, 0, s2
	v_sub_co_u32 v11, s2, s16, v21
	v_add_co_u32 v7, vcc_lo, v7, v9
	s_wait_alu 0xfffd
	s_delay_alu instid0(VALU_DEP_3)
	v_add_co_ci_u32_e64 v8, null, v8, v10, vcc_lo
	v_not_b32_e32 v9, v9
	v_not_b32_e32 v10, v10
	s_wait_alu 0xf1ff
	v_sub_co_ci_u32_e64 v12, null, 0, 0, s2
	v_cmp_gt_i64_e32 vcc_lo, v[7:8], v[2:3]
	s_mov_b32 s2, exec_lo
	s_wait_alu 0xfffd
	v_cndmask_b32_e32 v13, v3, v8, vcc_lo
	v_cndmask_b32_e32 v7, v2, v7, vcc_lo
	v_add_co_u32 v8, vcc_lo, v11, v9
	s_wait_alu 0xfffd
	v_add_co_ci_u32_e64 v10, null, v12, v10, vcc_lo
	s_delay_alu instid0(VALU_DEP_2) | instskip(SKIP_2) | instid1(VALU_DEP_3)
	v_add_co_u32 v9, vcc_lo, v8, v7
	v_mov_b32_e32 v8, 0
	s_wait_alu 0xfffd
	v_add_co_ci_u32_e64 v10, null, v10, v13, vcc_lo
	s_delay_alu instid0(VALU_DEP_2) | instskip(SKIP_1) | instid1(VALU_DEP_2)
	v_dual_mov_b32 v22, v8 :: v_dual_and_b32 v7, 12, v9
	v_dual_mov_b32 v24, v8 :: v_dual_mov_b32 v23, v8
	v_cmpx_ne_u64_e32 12, v[7:8]
	s_cbranch_execz .LBB95_31
; %bb.28:
	v_lshrrev_b32_e32 v7, 2, v9
	v_dual_mov_b32 v23, 0 :: v_dual_mov_b32 v24, 0
	s_delay_alu instid0(VALU_DEP_2) | instskip(SKIP_1) | instid1(VALU_DEP_2)
	v_dual_mov_b32 v22, 0 :: v_dual_add_nc_u32 v11, 1, v7
	v_lshlrev_b64_e32 v[7:8], 2, v[0:1]
	v_and_b32_e32 v13, 3, v11
	s_delay_alu instid0(VALU_DEP_2) | instskip(SKIP_1) | instid1(VALU_DEP_3)
	v_add_co_u32 v11, vcc_lo, s8, v7
	s_wait_alu 0xfffd
	v_add_co_ci_u32_e64 v12, null, s9, v8, vcc_lo
	v_mov_b32_e32 v8, 0
	v_sub_co_u32 v13, s6, 0, v13
	s_wait_alu 0xf1ff
	v_sub_co_ci_u32_e64 v14, null, 0, 0, s6
	s_mov_b32 s6, 0
.LBB95_29:                              ; =>This Inner Loop Header: Depth=1
	global_load_b32 v7, v[11:12], off
	global_load_b128 v[15:18], v[5:6], off
	s_wait_loadcnt 0x1
	v_subrev_nc_u32_e32 v7, s16, v7
	s_delay_alu instid0(VALU_DEP_1) | instskip(NEXT) | instid1(VALU_DEP_1)
	v_lshlrev_b32_e32 v19, 2, v7
	v_ashrrev_i32_e32 v20, 31, v19
	s_delay_alu instid0(VALU_DEP_1) | instskip(SKIP_1) | instid1(VALU_DEP_1)
	v_lshlrev_b64_e32 v[19:20], 1, v[19:20]
	s_wait_kmcnt 0x0
	v_add_co_u32 v19, vcc_lo, s4, v19
	s_wait_alu 0xfffd
	s_delay_alu instid0(VALU_DEP_2)
	v_add_co_ci_u32_e64 v20, null, s5, v20, vcc_lo
	global_load_b64 v[19:20], v[19:20], off
	global_load_b128 v[25:28], v[5:6], off offset:16
	v_add_co_u32 v5, vcc_lo, 0x80, v5
	s_wait_alu 0xfffd
	v_add_co_ci_u32_e64 v6, null, 0, v6, vcc_lo
	v_add_co_u32 v0, vcc_lo, v0, 4
	s_wait_alu 0xfffd
	v_add_co_ci_u32_e64 v1, null, 0, v1, vcc_lo
	;; [unrolled: 3-line block ×4, first 2 shown]
	s_delay_alu instid0(VALU_DEP_1)
	v_cmp_eq_u64_e32 vcc_lo, 0, v[13:14]
	s_wait_alu 0xfffe
	s_or_b32 s6, vcc_lo, s6
	s_wait_loadcnt 0x1
	v_fma_mix_f32 v7, v15, v19, v8 op_sel_hi:[1,1,0]
	v_fma_mix_f32 v8, v15, v19, v24 op_sel:[1,0,0] op_sel_hi:[1,1,0]
	v_fma_mix_f32 v15, v16, v19, v23 op_sel_hi:[1,1,0]
	v_fma_mix_f32 v16, v16, v19, v22 op_sel:[1,0,0] op_sel_hi:[1,1,0]
	s_delay_alu instid0(VALU_DEP_4) | instskip(NEXT) | instid1(VALU_DEP_4)
	v_fma_mix_f32 v7, v17, v19, v7 op_sel:[0,1,0] op_sel_hi:[1,1,0]
	v_fma_mix_f32 v8, v17, v19, v8 op_sel:[1,1,0] op_sel_hi:[1,1,0]
	s_delay_alu instid0(VALU_DEP_4) | instskip(NEXT) | instid1(VALU_DEP_4)
	v_fma_mix_f32 v15, v18, v19, v15 op_sel:[0,1,0] op_sel_hi:[1,1,0]
	v_fma_mix_f32 v16, v18, v19, v16 op_sel:[1,1,0] op_sel_hi:[1,1,0]
	s_wait_loadcnt 0x0
	v_fma_mix_f32 v7, v25, v20, v7 op_sel_hi:[1,1,0]
	v_fma_mix_f32 v17, v25, v20, v8 op_sel:[1,0,0] op_sel_hi:[1,1,0]
	v_fma_mix_f32 v15, v26, v20, v15 op_sel_hi:[1,1,0]
	v_fma_mix_f32 v16, v26, v20, v16 op_sel:[1,0,0] op_sel_hi:[1,1,0]
	s_delay_alu instid0(VALU_DEP_4) | instskip(NEXT) | instid1(VALU_DEP_4)
	v_fma_mix_f32 v8, v27, v20, v7 op_sel:[0,1,0] op_sel_hi:[1,1,0]
	v_fma_mix_f32 v24, v27, v20, v17 op_sel:[1,1,0] op_sel_hi:[1,1,0]
	s_delay_alu instid0(VALU_DEP_4) | instskip(NEXT) | instid1(VALU_DEP_4)
	v_fma_mix_f32 v23, v28, v20, v15 op_sel:[0,1,0] op_sel_hi:[1,1,0]
	v_fma_mix_f32 v22, v28, v20, v16 op_sel:[1,1,0] op_sel_hi:[1,1,0]
	s_wait_alu 0xfffe
	s_and_not1_b32 exec_lo, exec_lo, s6
	s_cbranch_execnz .LBB95_29
; %bb.30:
	s_or_b32 exec_lo, exec_lo, s6
.LBB95_31:
	s_wait_alu 0xfffe
	s_or_b32 exec_lo, exec_lo, s2
	s_delay_alu instid0(SALU_CYCLE_1)
	s_mov_b32 s2, exec_lo
	v_cmpx_lt_u64_e32 11, v[9:10]
	s_cbranch_execz .LBB95_35
; %bb.32:
	v_lshlrev_b64_e32 v[9:10], 2, v[0:1]
	s_mov_b32 s6, 0
	s_delay_alu instid0(VALU_DEP_1) | instskip(SKIP_1) | instid1(VALU_DEP_2)
	v_add_co_u32 v7, vcc_lo, s8, v9
	s_wait_alu 0xfffd
	v_add_co_ci_u32_e64 v10, null, s9, v10, vcc_lo
	s_delay_alu instid0(VALU_DEP_2) | instskip(SKIP_1) | instid1(VALU_DEP_2)
	v_add_co_u32 v9, vcc_lo, v7, 32
	s_wait_alu 0xfffd
	v_add_co_ci_u32_e64 v10, null, 0, v10, vcc_lo
.LBB95_33:                              ; =>This Inner Loop Header: Depth=1
	s_clause 0x3
	global_load_b32 v7, v[9:10], off offset:-32
	global_load_b32 v19, v[9:10], off offset:-16
	global_load_b32 v20, v[9:10], off
	global_load_b32 v45, v[9:10], off offset:16
	s_clause 0x6
	global_load_b128 v[11:14], v[5:6], off
	global_load_b128 v[15:18], v[5:6], off offset:16
	global_load_b128 v[25:28], v[5:6], off offset:128
	;; [unrolled: 1-line block ×6, first 2 shown]
	s_wait_loadcnt 0xa
	v_subrev_nc_u32_e32 v7, s16, v7
	s_wait_loadcnt 0x9
	v_subrev_nc_u32_e32 v46, s16, v19
	;; [unrolled: 2-line block ×4, first 2 shown]
	v_lshlrev_b32_e32 v19, 2, v7
	v_lshlrev_b32_e32 v45, 2, v46
	;; [unrolled: 1-line block ×3, first 2 shown]
	s_delay_alu instid0(VALU_DEP_4) | instskip(NEXT) | instid1(VALU_DEP_4)
	v_lshlrev_b32_e32 v49, 2, v48
	v_ashrrev_i32_e32 v20, 31, v19
	s_delay_alu instid0(VALU_DEP_4) | instskip(NEXT) | instid1(VALU_DEP_4)
	v_ashrrev_i32_e32 v46, 31, v45
	v_ashrrev_i32_e32 v48, 31, v47
	s_delay_alu instid0(VALU_DEP_4) | instskip(NEXT) | instid1(VALU_DEP_4)
	v_ashrrev_i32_e32 v50, 31, v49
	v_lshlrev_b64_e32 v[19:20], 1, v[19:20]
	s_delay_alu instid0(VALU_DEP_4) | instskip(SKIP_1) | instid1(VALU_DEP_2)
	v_lshlrev_b64_e32 v[45:46], 1, v[45:46]
	s_wait_kmcnt 0x0
	v_add_co_u32 v19, vcc_lo, s4, v19
	s_wait_alu 0xfffd
	s_delay_alu instid0(VALU_DEP_3) | instskip(NEXT) | instid1(VALU_DEP_3)
	v_add_co_ci_u32_e64 v20, null, s5, v20, vcc_lo
	v_add_co_u32 v45, vcc_lo, s4, v45
	s_wait_alu 0xfffd
	v_add_co_ci_u32_e64 v46, null, s5, v46, vcc_lo
	s_clause 0x1
	global_load_b64 v[19:20], v[19:20], off
	global_load_b64 v[51:52], v[45:46], off
	v_lshlrev_b64_e32 v[45:46], 1, v[47:48]
	s_delay_alu instid0(VALU_DEP_1) | instskip(SKIP_1) | instid1(VALU_DEP_2)
	v_add_co_u32 v45, vcc_lo, s4, v45
	s_wait_alu 0xfffd
	v_add_co_ci_u32_e64 v46, null, s5, v46, vcc_lo
	global_load_b64 v[53:54], v[45:46], off
	v_lshlrev_b64_e32 v[45:46], 1, v[49:50]
	s_delay_alu instid0(VALU_DEP_1) | instskip(SKIP_1) | instid1(VALU_DEP_2)
	v_add_co_u32 v45, vcc_lo, s4, v45
	s_wait_alu 0xfffd
	v_add_co_ci_u32_e64 v46, null, s5, v46, vcc_lo
	global_load_b64 v[49:50], v[45:46], off
	global_load_b128 v[45:48], v[5:6], off offset:400
	v_add_co_u32 v5, vcc_lo, 0x200, v5
	s_wait_alu 0xfffd
	v_add_co_ci_u32_e64 v6, null, 0, v6, vcc_lo
	v_add_co_u32 v0, vcc_lo, v0, 16
	s_wait_alu 0xfffd
	v_add_co_ci_u32_e64 v1, null, 0, v1, vcc_lo
	;; [unrolled: 3-line block ×3, first 2 shown]
	s_delay_alu instid0(VALU_DEP_3)
	v_cmp_ge_i64_e32 vcc_lo, v[0:1], v[2:3]
	s_wait_alu 0xfffe
	s_or_b32 s6, vcc_lo, s6
	s_wait_loadcnt 0x4
	v_fma_mix_f32 v7, v11, v19, v8 op_sel_hi:[1,1,0]
	v_fma_mix_f32 v8, v11, v19, v24 op_sel:[1,0,0] op_sel_hi:[1,1,0]
	v_fma_mix_f32 v11, v12, v19, v23 op_sel_hi:[1,1,0]
	v_fma_mix_f32 v12, v12, v19, v22 op_sel:[1,0,0] op_sel_hi:[1,1,0]
	s_delay_alu instid0(VALU_DEP_4) | instskip(NEXT) | instid1(VALU_DEP_4)
	v_fma_mix_f32 v7, v13, v19, v7 op_sel:[0,1,0] op_sel_hi:[1,1,0]
	v_fma_mix_f32 v8, v13, v19, v8 op_sel:[1,1,0] op_sel_hi:[1,1,0]
	s_delay_alu instid0(VALU_DEP_4) | instskip(NEXT) | instid1(VALU_DEP_4)
	v_fma_mix_f32 v11, v14, v19, v11 op_sel:[0,1,0] op_sel_hi:[1,1,0]
	v_fma_mix_f32 v12, v14, v19, v12 op_sel:[1,1,0] op_sel_hi:[1,1,0]
	s_delay_alu instid0(VALU_DEP_4) | instskip(NEXT) | instid1(VALU_DEP_4)
	v_fma_mix_f32 v7, v15, v20, v7 op_sel_hi:[1,1,0]
	v_fma_mix_f32 v8, v15, v20, v8 op_sel:[1,0,0] op_sel_hi:[1,1,0]
	s_delay_alu instid0(VALU_DEP_4) | instskip(NEXT) | instid1(VALU_DEP_4)
	v_fma_mix_f32 v11, v16, v20, v11 op_sel_hi:[1,1,0]
	v_fma_mix_f32 v12, v16, v20, v12 op_sel:[1,0,0] op_sel_hi:[1,1,0]
	s_delay_alu instid0(VALU_DEP_4) | instskip(NEXT) | instid1(VALU_DEP_4)
	v_fma_mix_f32 v7, v17, v20, v7 op_sel:[0,1,0] op_sel_hi:[1,1,0]
	v_fma_mix_f32 v8, v17, v20, v8 op_sel:[1,1,0] op_sel_hi:[1,1,0]
	s_delay_alu instid0(VALU_DEP_4) | instskip(NEXT) | instid1(VALU_DEP_4)
	v_fma_mix_f32 v11, v18, v20, v11 op_sel:[0,1,0] op_sel_hi:[1,1,0]
	v_fma_mix_f32 v12, v18, v20, v12 op_sel:[1,1,0] op_sel_hi:[1,1,0]
	s_wait_loadcnt 0x3
	v_fma_mix_f32 v7, v25, v51, v7 op_sel_hi:[1,1,0]
	v_fma_mix_f32 v8, v25, v51, v8 op_sel:[1,0,0] op_sel_hi:[1,1,0]
	v_fma_mix_f32 v11, v26, v51, v11 op_sel_hi:[1,1,0]
	v_fma_mix_f32 v12, v26, v51, v12 op_sel:[1,0,0] op_sel_hi:[1,1,0]
	s_delay_alu instid0(VALU_DEP_4) | instskip(NEXT) | instid1(VALU_DEP_4)
	v_fma_mix_f32 v7, v27, v51, v7 op_sel:[0,1,0] op_sel_hi:[1,1,0]
	v_fma_mix_f32 v8, v27, v51, v8 op_sel:[1,1,0] op_sel_hi:[1,1,0]
	s_delay_alu instid0(VALU_DEP_4) | instskip(NEXT) | instid1(VALU_DEP_4)
	v_fma_mix_f32 v11, v28, v51, v11 op_sel:[0,1,0] op_sel_hi:[1,1,0]
	v_fma_mix_f32 v12, v28, v51, v12 op_sel:[1,1,0] op_sel_hi:[1,1,0]
	s_delay_alu instid0(VALU_DEP_4) | instskip(NEXT) | instid1(VALU_DEP_4)
	v_fma_mix_f32 v7, v29, v52, v7 op_sel_hi:[1,1,0]
	v_fma_mix_f32 v8, v29, v52, v8 op_sel:[1,0,0] op_sel_hi:[1,1,0]
	s_delay_alu instid0(VALU_DEP_4) | instskip(NEXT) | instid1(VALU_DEP_4)
	v_fma_mix_f32 v11, v30, v52, v11 op_sel_hi:[1,1,0]
	v_fma_mix_f32 v12, v30, v52, v12 op_sel:[1,0,0] op_sel_hi:[1,1,0]
	s_delay_alu instid0(VALU_DEP_4) | instskip(NEXT) | instid1(VALU_DEP_4)
	v_fma_mix_f32 v7, v31, v52, v7 op_sel:[0,1,0] op_sel_hi:[1,1,0]
	v_fma_mix_f32 v8, v31, v52, v8 op_sel:[1,1,0] op_sel_hi:[1,1,0]
	s_delay_alu instid0(VALU_DEP_4) | instskip(NEXT) | instid1(VALU_DEP_4)
	v_fma_mix_f32 v11, v32, v52, v11 op_sel:[0,1,0] op_sel_hi:[1,1,0]
	v_fma_mix_f32 v12, v32, v52, v12 op_sel:[1,1,0] op_sel_hi:[1,1,0]
	s_wait_loadcnt 0x2
	v_fma_mix_f32 v7, v33, v53, v7 op_sel_hi:[1,1,0]
	v_fma_mix_f32 v8, v33, v53, v8 op_sel:[1,0,0] op_sel_hi:[1,1,0]
	v_fma_mix_f32 v11, v34, v53, v11 op_sel_hi:[1,1,0]
	v_fma_mix_f32 v12, v34, v53, v12 op_sel:[1,0,0] op_sel_hi:[1,1,0]
	s_delay_alu instid0(VALU_DEP_4) | instskip(NEXT) | instid1(VALU_DEP_4)
	v_fma_mix_f32 v7, v35, v53, v7 op_sel:[0,1,0] op_sel_hi:[1,1,0]
	v_fma_mix_f32 v8, v35, v53, v8 op_sel:[1,1,0] op_sel_hi:[1,1,0]
	s_delay_alu instid0(VALU_DEP_4) | instskip(NEXT) | instid1(VALU_DEP_4)
	v_fma_mix_f32 v11, v36, v53, v11 op_sel:[0,1,0] op_sel_hi:[1,1,0]
	v_fma_mix_f32 v12, v36, v53, v12 op_sel:[1,1,0] op_sel_hi:[1,1,0]
	s_delay_alu instid0(VALU_DEP_4) | instskip(NEXT) | instid1(VALU_DEP_4)
	v_fma_mix_f32 v7, v37, v54, v7 op_sel_hi:[1,1,0]
	v_fma_mix_f32 v8, v37, v54, v8 op_sel:[1,0,0] op_sel_hi:[1,1,0]
	s_delay_alu instid0(VALU_DEP_4) | instskip(NEXT) | instid1(VALU_DEP_4)
	v_fma_mix_f32 v11, v38, v54, v11 op_sel_hi:[1,1,0]
	v_fma_mix_f32 v12, v38, v54, v12 op_sel:[1,0,0] op_sel_hi:[1,1,0]
	s_delay_alu instid0(VALU_DEP_4) | instskip(NEXT) | instid1(VALU_DEP_4)
	v_fma_mix_f32 v7, v39, v54, v7 op_sel:[0,1,0] op_sel_hi:[1,1,0]
	v_fma_mix_f32 v8, v39, v54, v8 op_sel:[1,1,0] op_sel_hi:[1,1,0]
	s_delay_alu instid0(VALU_DEP_4) | instskip(NEXT) | instid1(VALU_DEP_4)
	v_fma_mix_f32 v11, v40, v54, v11 op_sel:[0,1,0] op_sel_hi:[1,1,0]
	v_fma_mix_f32 v12, v40, v54, v12 op_sel:[1,1,0] op_sel_hi:[1,1,0]
	s_wait_loadcnt 0x1
	v_fma_mix_f32 v7, v41, v49, v7 op_sel_hi:[1,1,0]
	v_fma_mix_f32 v8, v41, v49, v8 op_sel:[1,0,0] op_sel_hi:[1,1,0]
	v_fma_mix_f32 v11, v42, v49, v11 op_sel_hi:[1,1,0]
	v_fma_mix_f32 v12, v42, v49, v12 op_sel:[1,0,0] op_sel_hi:[1,1,0]
	s_delay_alu instid0(VALU_DEP_4) | instskip(NEXT) | instid1(VALU_DEP_4)
	v_fma_mix_f32 v7, v43, v49, v7 op_sel:[0,1,0] op_sel_hi:[1,1,0]
	v_fma_mix_f32 v8, v43, v49, v8 op_sel:[1,1,0] op_sel_hi:[1,1,0]
	s_delay_alu instid0(VALU_DEP_4) | instskip(NEXT) | instid1(VALU_DEP_4)
	v_fma_mix_f32 v11, v44, v49, v11 op_sel:[0,1,0] op_sel_hi:[1,1,0]
	v_fma_mix_f32 v12, v44, v49, v12 op_sel:[1,1,0] op_sel_hi:[1,1,0]
	s_wait_loadcnt 0x0
	v_fma_mix_f32 v7, v45, v50, v7 op_sel_hi:[1,1,0]
	v_fma_mix_f32 v13, v45, v50, v8 op_sel:[1,0,0] op_sel_hi:[1,1,0]
	v_fma_mix_f32 v11, v46, v50, v11 op_sel_hi:[1,1,0]
	v_fma_mix_f32 v12, v46, v50, v12 op_sel:[1,0,0] op_sel_hi:[1,1,0]
	s_delay_alu instid0(VALU_DEP_4) | instskip(NEXT) | instid1(VALU_DEP_4)
	v_fma_mix_f32 v8, v47, v50, v7 op_sel:[0,1,0] op_sel_hi:[1,1,0]
	v_fma_mix_f32 v24, v47, v50, v13 op_sel:[1,1,0] op_sel_hi:[1,1,0]
	s_delay_alu instid0(VALU_DEP_4) | instskip(NEXT) | instid1(VALU_DEP_4)
	v_fma_mix_f32 v23, v48, v50, v11 op_sel:[0,1,0] op_sel_hi:[1,1,0]
	v_fma_mix_f32 v22, v48, v50, v12 op_sel:[1,1,0] op_sel_hi:[1,1,0]
	s_wait_alu 0xfffe
	s_and_not1_b32 exec_lo, exec_lo, s6
	s_cbranch_execnz .LBB95_33
; %bb.34:
	s_or_b32 exec_lo, exec_lo, s6
.LBB95_35:
	s_wait_alu 0xfffe
	s_or_b32 exec_lo, exec_lo, s2
.LBB95_36:
	s_wait_alu 0xfffe
	s_or_b32 exec_lo, exec_lo, s3
.LBB95_37:
	v_mbcnt_lo_u32_b32 v0, -1, 0
	s_mov_b32 s2, -1
	s_delay_alu instid0(VALU_DEP_1) | instskip(NEXT) | instid1(VALU_DEP_1)
	v_xor_b32_e32 v1, 2, v0
	v_cmp_gt_i32_e32 vcc_lo, 32, v1
	s_wait_alu 0xfffd
	v_cndmask_b32_e32 v1, v0, v1, vcc_lo
	s_delay_alu instid0(VALU_DEP_1)
	v_lshlrev_b32_e32 v1, 2, v1
	ds_bpermute_b32 v2, v1, v8
	ds_bpermute_b32 v3, v1, v24
	;; [unrolled: 1-line block ×4, first 2 shown]
	v_xor_b32_e32 v1, 1, v0
	s_delay_alu instid0(VALU_DEP_1)
	v_cmp_gt_i32_e32 vcc_lo, 32, v1
	s_wait_alu 0xfffd
	v_cndmask_b32_e32 v0, v0, v1, vcc_lo
	v_cmp_eq_u32_e32 vcc_lo, 3, v21
	s_wait_dscnt 0x2
	v_add_f32_e32 v1, v24, v3
	s_wait_dscnt 0x0
	v_add_f32_e32 v3, v22, v6
	v_dual_add_f32 v0, v8, v2 :: v_dual_lshlrev_b32 v9, 2, v0
	v_add_f32_e32 v2, v23, v5
	ds_bpermute_b32 v6, v9, v1
	ds_bpermute_b32 v5, v9, v0
	;; [unrolled: 1-line block ×4, first 2 shown]
	s_and_b32 exec_lo, exec_lo, vcc_lo
	s_cbranch_execz .LBB95_10
; %bb.38:
	s_load_b64 s[0:1], s[0:1], 0x50
	s_wait_dscnt 0x2
	v_dual_add_f32 v0, v0, v5 :: v_dual_add_f32 v1, v1, v6
	s_wait_dscnt 0x0
	v_dual_add_f32 v2, v2, v7 :: v_dual_add_f32 v3, v3, v8
	v_lshlrev_b32_e32 v4, 2, v4
	s_delay_alu instid0(VALU_DEP_3) | instskip(NEXT) | instid1(VALU_DEP_3)
	v_dual_mul_f32 v0, s14, v0 :: v_dual_mul_f32 v1, s14, v1
	v_dual_mul_f32 v2, s14, v2 :: v_dual_mul_f32 v3, s14, v3
	s_cmp_eq_f32 s12, 0
	s_cbranch_scc0 .LBB95_40
; %bb.39:
	v_ashrrev_i32_e32 v5, 31, v4
	s_mov_b32 s2, 0
	s_delay_alu instid0(VALU_DEP_1) | instskip(SKIP_1) | instid1(VALU_DEP_1)
	v_lshlrev_b64_e32 v[5:6], 2, v[4:5]
	s_wait_kmcnt 0x0
	v_add_co_u32 v5, vcc_lo, s0, v5
	s_wait_alu 0xfffd
	s_delay_alu instid0(VALU_DEP_2)
	v_add_co_ci_u32_e64 v6, null, s1, v6, vcc_lo
	global_store_b128 v[5:6], v[0:3], off
.LBB95_40:
	s_wait_alu 0xfffe
	s_and_not1_b32 vcc_lo, exec_lo, s2
	s_wait_alu 0xfffe
	s_cbranch_vccnz .LBB95_10
; %bb.41:
	v_ashrrev_i32_e32 v5, 31, v4
	s_delay_alu instid0(VALU_DEP_1) | instskip(SKIP_1) | instid1(VALU_DEP_1)
	v_lshlrev_b64_e32 v[4:5], 2, v[4:5]
	s_wait_kmcnt 0x0
	v_add_co_u32 v8, vcc_lo, s0, v4
	s_wait_alu 0xfffd
	s_delay_alu instid0(VALU_DEP_2)
	v_add_co_ci_u32_e64 v9, null, s1, v5, vcc_lo
	global_load_b128 v[4:7], v[8:9], off
	s_wait_loadcnt 0x0
	v_dual_fmac_f32 v0, s12, v4 :: v_dual_fmac_f32 v1, s12, v5
	v_dual_fmac_f32 v2, s12, v6 :: v_dual_fmac_f32 v3, s12, v7
	global_store_b128 v[8:9], v[0:3], off
	s_endpgm
	.section	.rodata,"a",@progbits
	.p2align	6, 0x0
	.amdhsa_kernel _ZN9rocsparseL18bsrxmvn_4x4_kernelILj128ELj4EfliDF16_DF16_fEEvT3_20rocsparse_direction_NS_24const_host_device_scalarIT1_EES1_PKS1_PKT2_SA_S7_PKT4_PKT5_S5_PT6_21rocsparse_index_base_b
		.amdhsa_group_segment_fixed_size 0
		.amdhsa_private_segment_fixed_size 0
		.amdhsa_kernarg_size 96
		.amdhsa_user_sgpr_count 2
		.amdhsa_user_sgpr_dispatch_ptr 0
		.amdhsa_user_sgpr_queue_ptr 0
		.amdhsa_user_sgpr_kernarg_segment_ptr 1
		.amdhsa_user_sgpr_dispatch_id 0
		.amdhsa_user_sgpr_private_segment_size 0
		.amdhsa_wavefront_size32 1
		.amdhsa_uses_dynamic_stack 0
		.amdhsa_enable_private_segment 0
		.amdhsa_system_sgpr_workgroup_id_x 1
		.amdhsa_system_sgpr_workgroup_id_y 0
		.amdhsa_system_sgpr_workgroup_id_z 0
		.amdhsa_system_sgpr_workgroup_info 0
		.amdhsa_system_vgpr_workitem_id 0
		.amdhsa_next_free_vgpr 61
		.amdhsa_next_free_sgpr 18
		.amdhsa_reserve_vcc 1
		.amdhsa_float_round_mode_32 0
		.amdhsa_float_round_mode_16_64 0
		.amdhsa_float_denorm_mode_32 3
		.amdhsa_float_denorm_mode_16_64 3
		.amdhsa_fp16_overflow 0
		.amdhsa_workgroup_processor_mode 1
		.amdhsa_memory_ordered 1
		.amdhsa_forward_progress 1
		.amdhsa_inst_pref_size 38
		.amdhsa_round_robin_scheduling 0
		.amdhsa_exception_fp_ieee_invalid_op 0
		.amdhsa_exception_fp_denorm_src 0
		.amdhsa_exception_fp_ieee_div_zero 0
		.amdhsa_exception_fp_ieee_overflow 0
		.amdhsa_exception_fp_ieee_underflow 0
		.amdhsa_exception_fp_ieee_inexact 0
		.amdhsa_exception_int_div_zero 0
	.end_amdhsa_kernel
	.section	.text._ZN9rocsparseL18bsrxmvn_4x4_kernelILj128ELj4EfliDF16_DF16_fEEvT3_20rocsparse_direction_NS_24const_host_device_scalarIT1_EES1_PKS1_PKT2_SA_S7_PKT4_PKT5_S5_PT6_21rocsparse_index_base_b,"axG",@progbits,_ZN9rocsparseL18bsrxmvn_4x4_kernelILj128ELj4EfliDF16_DF16_fEEvT3_20rocsparse_direction_NS_24const_host_device_scalarIT1_EES1_PKS1_PKT2_SA_S7_PKT4_PKT5_S5_PT6_21rocsparse_index_base_b,comdat
.Lfunc_end95:
	.size	_ZN9rocsparseL18bsrxmvn_4x4_kernelILj128ELj4EfliDF16_DF16_fEEvT3_20rocsparse_direction_NS_24const_host_device_scalarIT1_EES1_PKS1_PKT2_SA_S7_PKT4_PKT5_S5_PT6_21rocsparse_index_base_b, .Lfunc_end95-_ZN9rocsparseL18bsrxmvn_4x4_kernelILj128ELj4EfliDF16_DF16_fEEvT3_20rocsparse_direction_NS_24const_host_device_scalarIT1_EES1_PKS1_PKT2_SA_S7_PKT4_PKT5_S5_PT6_21rocsparse_index_base_b
                                        ; -- End function
	.set _ZN9rocsparseL18bsrxmvn_4x4_kernelILj128ELj4EfliDF16_DF16_fEEvT3_20rocsparse_direction_NS_24const_host_device_scalarIT1_EES1_PKS1_PKT2_SA_S7_PKT4_PKT5_S5_PT6_21rocsparse_index_base_b.num_vgpr, 61
	.set _ZN9rocsparseL18bsrxmvn_4x4_kernelILj128ELj4EfliDF16_DF16_fEEvT3_20rocsparse_direction_NS_24const_host_device_scalarIT1_EES1_PKS1_PKT2_SA_S7_PKT4_PKT5_S5_PT6_21rocsparse_index_base_b.num_agpr, 0
	.set _ZN9rocsparseL18bsrxmvn_4x4_kernelILj128ELj4EfliDF16_DF16_fEEvT3_20rocsparse_direction_NS_24const_host_device_scalarIT1_EES1_PKS1_PKT2_SA_S7_PKT4_PKT5_S5_PT6_21rocsparse_index_base_b.numbered_sgpr, 18
	.set _ZN9rocsparseL18bsrxmvn_4x4_kernelILj128ELj4EfliDF16_DF16_fEEvT3_20rocsparse_direction_NS_24const_host_device_scalarIT1_EES1_PKS1_PKT2_SA_S7_PKT4_PKT5_S5_PT6_21rocsparse_index_base_b.num_named_barrier, 0
	.set _ZN9rocsparseL18bsrxmvn_4x4_kernelILj128ELj4EfliDF16_DF16_fEEvT3_20rocsparse_direction_NS_24const_host_device_scalarIT1_EES1_PKS1_PKT2_SA_S7_PKT4_PKT5_S5_PT6_21rocsparse_index_base_b.private_seg_size, 0
	.set _ZN9rocsparseL18bsrxmvn_4x4_kernelILj128ELj4EfliDF16_DF16_fEEvT3_20rocsparse_direction_NS_24const_host_device_scalarIT1_EES1_PKS1_PKT2_SA_S7_PKT4_PKT5_S5_PT6_21rocsparse_index_base_b.uses_vcc, 1
	.set _ZN9rocsparseL18bsrxmvn_4x4_kernelILj128ELj4EfliDF16_DF16_fEEvT3_20rocsparse_direction_NS_24const_host_device_scalarIT1_EES1_PKS1_PKT2_SA_S7_PKT4_PKT5_S5_PT6_21rocsparse_index_base_b.uses_flat_scratch, 0
	.set _ZN9rocsparseL18bsrxmvn_4x4_kernelILj128ELj4EfliDF16_DF16_fEEvT3_20rocsparse_direction_NS_24const_host_device_scalarIT1_EES1_PKS1_PKT2_SA_S7_PKT4_PKT5_S5_PT6_21rocsparse_index_base_b.has_dyn_sized_stack, 0
	.set _ZN9rocsparseL18bsrxmvn_4x4_kernelILj128ELj4EfliDF16_DF16_fEEvT3_20rocsparse_direction_NS_24const_host_device_scalarIT1_EES1_PKS1_PKT2_SA_S7_PKT4_PKT5_S5_PT6_21rocsparse_index_base_b.has_recursion, 0
	.set _ZN9rocsparseL18bsrxmvn_4x4_kernelILj128ELj4EfliDF16_DF16_fEEvT3_20rocsparse_direction_NS_24const_host_device_scalarIT1_EES1_PKS1_PKT2_SA_S7_PKT4_PKT5_S5_PT6_21rocsparse_index_base_b.has_indirect_call, 0
	.section	.AMDGPU.csdata,"",@progbits
; Kernel info:
; codeLenInByte = 4756
; TotalNumSgprs: 20
; NumVgprs: 61
; ScratchSize: 0
; MemoryBound: 0
; FloatMode: 240
; IeeeMode: 1
; LDSByteSize: 0 bytes/workgroup (compile time only)
; SGPRBlocks: 0
; VGPRBlocks: 7
; NumSGPRsForWavesPerEU: 20
; NumVGPRsForWavesPerEU: 61
; Occupancy: 16
; WaveLimiterHint : 1
; COMPUTE_PGM_RSRC2:SCRATCH_EN: 0
; COMPUTE_PGM_RSRC2:USER_SGPR: 2
; COMPUTE_PGM_RSRC2:TRAP_HANDLER: 0
; COMPUTE_PGM_RSRC2:TGID_X_EN: 1
; COMPUTE_PGM_RSRC2:TGID_Y_EN: 0
; COMPUTE_PGM_RSRC2:TGID_Z_EN: 0
; COMPUTE_PGM_RSRC2:TIDIG_COMP_CNT: 0
	.section	.text._ZN9rocsparseL18bsrxmvn_4x4_kernelILj128ELj8EfliDF16_DF16_fEEvT3_20rocsparse_direction_NS_24const_host_device_scalarIT1_EES1_PKS1_PKT2_SA_S7_PKT4_PKT5_S5_PT6_21rocsparse_index_base_b,"axG",@progbits,_ZN9rocsparseL18bsrxmvn_4x4_kernelILj128ELj8EfliDF16_DF16_fEEvT3_20rocsparse_direction_NS_24const_host_device_scalarIT1_EES1_PKS1_PKT2_SA_S7_PKT4_PKT5_S5_PT6_21rocsparse_index_base_b,comdat
	.globl	_ZN9rocsparseL18bsrxmvn_4x4_kernelILj128ELj8EfliDF16_DF16_fEEvT3_20rocsparse_direction_NS_24const_host_device_scalarIT1_EES1_PKS1_PKT2_SA_S7_PKT4_PKT5_S5_PT6_21rocsparse_index_base_b ; -- Begin function _ZN9rocsparseL18bsrxmvn_4x4_kernelILj128ELj8EfliDF16_DF16_fEEvT3_20rocsparse_direction_NS_24const_host_device_scalarIT1_EES1_PKS1_PKT2_SA_S7_PKT4_PKT5_S5_PT6_21rocsparse_index_base_b
	.p2align	8
	.type	_ZN9rocsparseL18bsrxmvn_4x4_kernelILj128ELj8EfliDF16_DF16_fEEvT3_20rocsparse_direction_NS_24const_host_device_scalarIT1_EES1_PKS1_PKT2_SA_S7_PKT4_PKT5_S5_PT6_21rocsparse_index_base_b,@function
_ZN9rocsparseL18bsrxmvn_4x4_kernelILj128ELj8EfliDF16_DF16_fEEvT3_20rocsparse_direction_NS_24const_host_device_scalarIT1_EES1_PKS1_PKT2_SA_S7_PKT4_PKT5_S5_PT6_21rocsparse_index_base_b: ; @_ZN9rocsparseL18bsrxmvn_4x4_kernelILj128ELj8EfliDF16_DF16_fEEvT3_20rocsparse_direction_NS_24const_host_device_scalarIT1_EES1_PKS1_PKT2_SA_S7_PKT4_PKT5_S5_PT6_21rocsparse_index_base_b
; %bb.0:
	s_clause 0x2
	s_load_b64 s[16:17], s[0:1], 0x58
	s_load_b64 s[14:15], s[0:1], 0x8
	;; [unrolled: 1-line block ×3, first 2 shown]
	s_wait_kmcnt 0x0
	s_bitcmp1_b32 s17, 0
	s_cselect_b32 s2, -1, 0
	s_delay_alu instid0(SALU_CYCLE_1)
	s_and_b32 vcc_lo, exec_lo, s2
	s_xor_b32 s2, s2, -1
	s_cbranch_vccnz .LBB96_2
; %bb.1:
	s_load_b32 s14, s[14:15], 0x0
.LBB96_2:
	s_and_not1_b32 vcc_lo, exec_lo, s2
	s_cbranch_vccnz .LBB96_4
; %bb.3:
	s_load_b32 s12, s[12:13], 0x0
.LBB96_4:
	s_wait_kmcnt 0x0
	s_cmp_neq_f32 s14, 0
	s_mov_b32 s6, 0
	s_cselect_b32 s2, -1, 0
	s_cmp_neq_f32 s12, 1.0
	s_cselect_b32 s3, -1, 0
	s_delay_alu instid0(SALU_CYCLE_1) | instskip(NEXT) | instid1(SALU_CYCLE_1)
	s_or_b32 s2, s2, s3
	s_and_not1_b32 vcc_lo, exec_lo, s2
	s_cbranch_vccnz .LBB96_10
; %bb.5:
	s_clause 0x1
	s_load_b64 s[4:5], s[0:1], 0x18
	s_load_b64 s[2:3], s[0:1], 0x0
	v_lshrrev_b32_e32 v1, 3, v0
	s_delay_alu instid0(VALU_DEP_1)
	v_lshl_or_b32 v4, ttmp9, 4, v1
	s_wait_kmcnt 0x0
	s_cmp_lg_u64 s[4:5], 0
	s_cbranch_scc0 .LBB96_11
; %bb.6:
	s_load_b32 s6, s[0:1], 0x10
	s_mov_b32 s7, 0
                                        ; implicit-def: $vgpr1
	s_wait_kmcnt 0x0
	v_cmp_gt_i32_e32 vcc_lo, s6, v4
	s_mov_b32 s6, 0
	s_and_saveexec_b32 s8, vcc_lo
	s_delay_alu instid0(SALU_CYCLE_1)
	s_xor_b32 s8, exec_lo, s8
	s_cbranch_execz .LBB96_8
; %bb.7:
	v_ashrrev_i32_e32 v5, 31, v4
	s_mov_b32 s6, exec_lo
	s_delay_alu instid0(VALU_DEP_1) | instskip(NEXT) | instid1(VALU_DEP_1)
	v_lshlrev_b64_e32 v[1:2], 2, v[4:5]
	v_add_co_u32 v1, vcc_lo, s4, v1
	s_delay_alu instid0(VALU_DEP_1)
	v_add_co_ci_u32_e64 v2, null, s5, v2, vcc_lo
	global_load_b32 v1, v[1:2], off
	s_wait_loadcnt 0x0
	v_subrev_nc_u32_e32 v1, s16, v1
.LBB96_8:
	s_or_b32 exec_lo, exec_lo, s8
	s_delay_alu instid0(SALU_CYCLE_1)
	s_and_b32 vcc_lo, exec_lo, s7
	s_wait_alu 0xfffe
	s_cbranch_vccz .LBB96_12
.LBB96_9:
	v_cmp_gt_i32_e32 vcc_lo, s2, v4
	s_and_not1_b32 s2, s6, exec_lo
	s_and_b32 s4, vcc_lo, exec_lo
	s_wait_alu 0xfffe
	s_or_b32 s6, s2, s4
	s_wait_alu 0xfffe
	s_and_saveexec_b32 s2, s6
	s_cbranch_execnz .LBB96_13
.LBB96_10:
	s_endpgm
.LBB96_11:
                                        ; implicit-def: $vgpr1
	s_cbranch_execnz .LBB96_9
.LBB96_12:
	v_mov_b32_e32 v4, v1
	s_and_saveexec_b32 s2, s6
	s_cbranch_execz .LBB96_10
.LBB96_13:
	s_load_b256 s[4:11], s[0:1], 0x20
	s_delay_alu instid0(VALU_DEP_1) | instskip(SKIP_1) | instid1(VALU_DEP_2)
	v_ashrrev_i32_e32 v5, 31, v4
	v_dual_mov_b32 v22, 0 :: v_dual_and_b32 v21, 7, v0
	v_lshlrev_b64_e32 v[1:2], 3, v[4:5]
	s_wait_kmcnt 0x0
	s_delay_alu instid0(VALU_DEP_1) | instskip(SKIP_1) | instid1(VALU_DEP_2)
	v_add_co_u32 v5, vcc_lo, s4, v1
	s_wait_alu 0xfffd
	v_add_co_ci_u32_e64 v6, null, s5, v2, vcc_lo
	v_add_co_u32 v1, vcc_lo, s6, v1
	s_wait_alu 0xfffd
	v_add_co_ci_u32_e64 v2, null, s7, v2, vcc_lo
	v_add_co_u32 v3, vcc_lo, v5, 8
	global_load_b64 v[9:10], v[5:6], off
	s_wait_alu 0xfffd
	v_add_co_ci_u32_e64 v7, null, 0, v6, vcc_lo
	s_cmp_eq_u64 s[6:7], 0
	s_load_b64 s[4:5], s[0:1], 0x40
	s_cselect_b32 vcc_lo, -1, 0
	s_cmp_eq_u32 s3, 1
	s_wait_alu 0xfffe
	v_cndmask_b32_e32 v2, v2, v7, vcc_lo
	v_cndmask_b32_e32 v1, v1, v3, vcc_lo
	global_load_b64 v[2:3], v[1:2], off
	s_wait_loadcnt 0x1
	v_sub_co_u32 v0, vcc_lo, v9, s16
	s_wait_alu 0xfffd
	v_subrev_co_ci_u32_e64 v1, null, 0, v10, vcc_lo
	s_delay_alu instid0(VALU_DEP_2) | instskip(SKIP_1) | instid1(VALU_DEP_2)
	v_add_co_u32 v0, vcc_lo, v0, v21
	s_wait_alu 0xfffd
	v_add_co_ci_u32_e64 v1, null, 0, v1, vcc_lo
	s_delay_alu instid0(VALU_DEP_1) | instskip(SKIP_4) | instid1(VALU_DEP_3)
	v_lshlrev_b64_e32 v[5:6], 5, v[0:1]
	s_wait_loadcnt 0x0
	v_sub_co_u32 v2, vcc_lo, v2, s16
	s_wait_alu 0xfffd
	v_subrev_co_ci_u32_e64 v3, null, 0, v3, vcc_lo
	v_add_co_u32 v5, vcc_lo, s10, v5
	s_delay_alu instid0(VALU_DEP_2)
	v_cmp_lt_i64_e64 s2, v[0:1], v[2:3]
	s_wait_alu 0xfffd
	v_add_co_ci_u32_e64 v6, null, s11, v6, vcc_lo
	s_cbranch_scc1 .LBB96_25
; %bb.14:
	v_dual_mov_b32 v23, 0 :: v_dual_mov_b32 v24, 0
	v_mov_b32_e32 v8, 0
	s_and_saveexec_b32 s3, s2
	s_cbranch_execz .LBB96_24
; %bb.15:
	v_or_b32_e32 v7, 8, v21
	v_not_b32_e32 v12, v9
	v_not_b32_e32 v11, v10
	s_delay_alu instid0(VALU_DEP_3) | instskip(SKIP_3) | instid1(VALU_DEP_3)
	v_sub_co_u32 v7, s6, v7, s16
	s_wait_alu 0xf1ff
	v_sub_co_ci_u32_e64 v8, null, 0, 0, s6
	v_sub_co_u32 v13, s6, s16, v21
	v_add_co_u32 v7, vcc_lo, v7, v9
	s_wait_alu 0xfffd
	s_delay_alu instid0(VALU_DEP_3)
	v_add_co_ci_u32_e64 v8, null, v8, v10, vcc_lo
	s_wait_alu 0xf1ff
	v_sub_co_ci_u32_e64 v14, null, 0, 0, s6
	s_mov_b32 s6, exec_lo
	v_cmp_gt_i64_e32 vcc_lo, v[7:8], v[2:3]
	s_wait_alu 0xfffd
	v_dual_cndmask_b32 v16, v3, v8 :: v_dual_cndmask_b32 v7, v2, v7
	v_add_co_u32 v8, vcc_lo, v13, v12
	s_wait_alu 0xfffd
	v_add_co_ci_u32_e64 v11, null, v14, v11, vcc_lo
	v_mov_b32_e32 v14, v6
	s_delay_alu instid0(VALU_DEP_3) | instskip(SKIP_4) | instid1(VALU_DEP_3)
	v_add_co_u32 v15, vcc_lo, v8, v7
	v_mov_b32_e32 v8, 0
	s_wait_alu 0xfffd
	v_add_co_ci_u32_e64 v16, null, v11, v16, vcc_lo
	v_dual_mov_b32 v12, v1 :: v_dual_mov_b32 v13, v5
	v_dual_mov_b32 v24, v8 :: v_dual_and_b32 v7, 24, v15
	v_dual_mov_b32 v23, v8 :: v_dual_mov_b32 v22, v8
	v_mov_b32_e32 v11, v0
	s_delay_alu instid0(VALU_DEP_3)
	v_cmpx_ne_u64_e32 24, v[7:8]
	s_cbranch_execz .LBB96_19
; %bb.16:
	v_lshrrev_b32_e32 v7, 3, v15
	v_mov_b32_e32 v22, 0
	v_dual_mov_b32 v14, v6 :: v_dual_mov_b32 v13, v5
	v_dual_mov_b32 v12, v1 :: v_dual_mov_b32 v11, v0
	s_delay_alu instid0(VALU_DEP_4) | instskip(SKIP_2) | instid1(VALU_DEP_3)
	v_add_nc_u32_e32 v17, 1, v7
	v_lshlrev_b64_e32 v[7:8], 2, v[0:1]
	v_dual_mov_b32 v23, 0 :: v_dual_mov_b32 v24, 0
	v_and_b32_e32 v19, 3, v17
	s_delay_alu instid0(VALU_DEP_3) | instskip(SKIP_1) | instid1(VALU_DEP_4)
	v_add_co_u32 v17, vcc_lo, s8, v7
	s_wait_alu 0xfffd
	v_add_co_ci_u32_e64 v18, null, s9, v8, vcc_lo
	v_mov_b32_e32 v8, 0
	v_sub_co_u32 v19, s7, 0, v19
	s_wait_alu 0xf1ff
	v_sub_co_ci_u32_e64 v20, null, 0, 0, s7
	s_mov_b32 s7, 0
.LBB96_17:                              ; =>This Inner Loop Header: Depth=1
	global_load_b32 v7, v[17:18], off
	s_clause 0x1
	global_load_b128 v[25:28], v[13:14], off
	global_load_b128 v[29:32], v[13:14], off offset:16
	s_wait_loadcnt 0x2
	v_subrev_nc_u32_e32 v7, s16, v7
	s_delay_alu instid0(VALU_DEP_1) | instskip(NEXT) | instid1(VALU_DEP_1)
	v_lshlrev_b32_e32 v33, 2, v7
	v_ashrrev_i32_e32 v34, 31, v33
	s_delay_alu instid0(VALU_DEP_1) | instskip(SKIP_1) | instid1(VALU_DEP_1)
	v_lshlrev_b64_e32 v[33:34], 1, v[33:34]
	s_wait_kmcnt 0x0
	v_add_co_u32 v33, vcc_lo, s4, v33
	s_wait_alu 0xfffd
	s_delay_alu instid0(VALU_DEP_2)
	v_add_co_ci_u32_e64 v34, null, s5, v34, vcc_lo
	v_add_co_u32 v13, vcc_lo, 0x100, v13
	s_wait_alu 0xfffd
	v_add_co_ci_u32_e64 v14, null, 0, v14, vcc_lo
	global_load_b64 v[33:34], v[33:34], off
	v_add_co_u32 v11, vcc_lo, v11, 8
	s_wait_alu 0xfffd
	v_add_co_ci_u32_e64 v12, null, 0, v12, vcc_lo
	v_add_co_u32 v17, vcc_lo, v17, 32
	s_wait_alu 0xfffd
	v_add_co_ci_u32_e64 v18, null, 0, v18, vcc_lo
	;; [unrolled: 3-line block ×3, first 2 shown]
	s_delay_alu instid0(VALU_DEP_1)
	v_cmp_eq_u64_e32 vcc_lo, 0, v[19:20]
	s_wait_alu 0xfffe
	s_or_b32 s7, vcc_lo, s7
	s_wait_loadcnt 0x0
	v_fma_mix_f32 v7, v25, v33, v8 op_sel_hi:[1,1,0]
	v_fma_mix_f32 v8, v27, v33, v24 op_sel_hi:[1,1,0]
	;; [unrolled: 1-line block ×4, first 2 shown]
	s_delay_alu instid0(VALU_DEP_4) | instskip(NEXT) | instid1(VALU_DEP_4)
	v_fma_mix_f32 v7, v25, v33, v7 op_sel:[1,1,0] op_sel_hi:[1,1,0]
	v_fma_mix_f32 v8, v27, v33, v8 op_sel:[1,1,0] op_sel_hi:[1,1,0]
	s_delay_alu instid0(VALU_DEP_4) | instskip(NEXT) | instid1(VALU_DEP_4)
	v_fma_mix_f32 v23, v29, v33, v23 op_sel:[1,1,0] op_sel_hi:[1,1,0]
	v_fma_mix_f32 v22, v31, v33, v22 op_sel:[1,1,0] op_sel_hi:[1,1,0]
	s_delay_alu instid0(VALU_DEP_4) | instskip(NEXT) | instid1(VALU_DEP_4)
	v_fma_mix_f32 v7, v26, v34, v7 op_sel_hi:[1,1,0]
	v_fma_mix_f32 v24, v28, v34, v8 op_sel_hi:[1,1,0]
	s_delay_alu instid0(VALU_DEP_4) | instskip(NEXT) | instid1(VALU_DEP_4)
	v_fma_mix_f32 v23, v30, v34, v23 op_sel_hi:[1,1,0]
	v_fma_mix_f32 v22, v32, v34, v22 op_sel_hi:[1,1,0]
	s_delay_alu instid0(VALU_DEP_4) | instskip(NEXT) | instid1(VALU_DEP_4)
	v_fma_mix_f32 v8, v26, v34, v7 op_sel:[1,1,0] op_sel_hi:[1,1,0]
	v_fma_mix_f32 v24, v28, v34, v24 op_sel:[1,1,0] op_sel_hi:[1,1,0]
	s_delay_alu instid0(VALU_DEP_4) | instskip(NEXT) | instid1(VALU_DEP_4)
	v_fma_mix_f32 v23, v30, v34, v23 op_sel:[1,1,0] op_sel_hi:[1,1,0]
	v_fma_mix_f32 v22, v32, v34, v22 op_sel:[1,1,0] op_sel_hi:[1,1,0]
	s_wait_alu 0xfffe
	s_and_not1_b32 exec_lo, exec_lo, s7
	s_cbranch_execnz .LBB96_17
; %bb.18:
	s_or_b32 exec_lo, exec_lo, s7
.LBB96_19:
	s_wait_alu 0xfffe
	s_or_b32 exec_lo, exec_lo, s6
	s_delay_alu instid0(SALU_CYCLE_1)
	s_mov_b32 s6, exec_lo
	v_cmpx_lt_u64_e32 23, v[15:16]
	s_cbranch_execz .LBB96_23
; %bb.20:
	v_lshlrev_b64_e32 v[15:16], 2, v[11:12]
	s_mov_b32 s7, 0
	s_delay_alu instid0(VALU_DEP_1) | instskip(SKIP_1) | instid1(VALU_DEP_2)
	v_add_co_u32 v7, vcc_lo, s8, v15
	s_wait_alu 0xfffd
	v_add_co_ci_u32_e64 v16, null, s9, v16, vcc_lo
	s_delay_alu instid0(VALU_DEP_2) | instskip(SKIP_1) | instid1(VALU_DEP_2)
	v_add_co_u32 v15, vcc_lo, v7, 64
	s_wait_alu 0xfffd
	v_add_co_ci_u32_e64 v16, null, 0, v16, vcc_lo
.LBB96_21:                              ; =>This Inner Loop Header: Depth=1
	s_clause 0x3
	global_load_b32 v7, v[15:16], off offset:-64
	global_load_b32 v53, v[15:16], off offset:-32
	global_load_b32 v54, v[15:16], off
	global_load_b32 v55, v[15:16], off offset:32
	s_clause 0x7
	global_load_b128 v[17:20], v[13:14], off
	global_load_b128 v[25:28], v[13:14], off offset:16
	global_load_b128 v[29:32], v[13:14], off offset:256
	;; [unrolled: 1-line block ×7, first 2 shown]
	s_wait_loadcnt 0xb
	v_subrev_nc_u32_e32 v7, s16, v7
	s_wait_loadcnt 0xa
	v_subrev_nc_u32_e32 v56, s16, v53
	s_wait_loadcnt 0x9
	v_subrev_nc_u32_e32 v54, s16, v54
	s_wait_loadcnt 0x8
	v_subrev_nc_u32_e32 v58, s16, v55
	v_lshlrev_b32_e32 v53, 2, v7
	v_lshlrev_b32_e32 v55, 2, v56
	;; [unrolled: 1-line block ×3, first 2 shown]
	s_delay_alu instid0(VALU_DEP_4) | instskip(NEXT) | instid1(VALU_DEP_4)
	v_lshlrev_b32_e32 v59, 2, v58
	v_ashrrev_i32_e32 v54, 31, v53
	s_delay_alu instid0(VALU_DEP_4) | instskip(NEXT) | instid1(VALU_DEP_4)
	v_ashrrev_i32_e32 v56, 31, v55
	v_ashrrev_i32_e32 v58, 31, v57
	s_delay_alu instid0(VALU_DEP_4) | instskip(NEXT) | instid1(VALU_DEP_4)
	v_ashrrev_i32_e32 v60, 31, v59
	v_lshlrev_b64_e32 v[53:54], 1, v[53:54]
	s_delay_alu instid0(VALU_DEP_4) | instskip(NEXT) | instid1(VALU_DEP_4)
	v_lshlrev_b64_e32 v[55:56], 1, v[55:56]
	v_lshlrev_b64_e32 v[57:58], 1, v[57:58]
	s_delay_alu instid0(VALU_DEP_4) | instskip(SKIP_1) | instid1(VALU_DEP_4)
	v_lshlrev_b64_e32 v[59:60], 1, v[59:60]
	s_wait_kmcnt 0x0
	v_add_co_u32 v53, vcc_lo, s4, v53
	s_wait_alu 0xfffd
	v_add_co_ci_u32_e64 v54, null, s5, v54, vcc_lo
	v_add_co_u32 v55, vcc_lo, s4, v55
	s_wait_alu 0xfffd
	v_add_co_ci_u32_e64 v56, null, s5, v56, vcc_lo
	global_load_b64 v[53:54], v[53:54], off
	v_add_co_u32 v57, vcc_lo, s4, v57
	global_load_b64 v[55:56], v[55:56], off
	s_wait_alu 0xfffd
	v_add_co_ci_u32_e64 v58, null, s5, v58, vcc_lo
	v_add_co_u32 v59, vcc_lo, s4, v59
	s_wait_alu 0xfffd
	v_add_co_ci_u32_e64 v60, null, s5, v60, vcc_lo
	global_load_b64 v[57:58], v[57:58], off
	v_add_co_u32 v13, vcc_lo, 0x400, v13
	global_load_b64 v[59:60], v[59:60], off
	s_wait_alu 0xfffd
	v_add_co_ci_u32_e64 v14, null, 0, v14, vcc_lo
	v_add_co_u32 v11, vcc_lo, v11, 32
	s_wait_alu 0xfffd
	v_add_co_ci_u32_e64 v12, null, 0, v12, vcc_lo
	v_add_co_u32 v15, vcc_lo, 0x80, v15
	s_wait_alu 0xfffd
	v_add_co_ci_u32_e64 v16, null, 0, v16, vcc_lo
	s_delay_alu instid0(VALU_DEP_3)
	v_cmp_ge_i64_e32 vcc_lo, v[11:12], v[2:3]
	s_wait_alu 0xfffe
	s_or_b32 s7, vcc_lo, s7
	s_wait_loadcnt 0x3
	v_fma_mix_f32 v7, v17, v53, v8 op_sel_hi:[1,1,0]
	v_fma_mix_f32 v8, v19, v53, v24 op_sel_hi:[1,1,0]
	v_fma_mix_f32 v23, v25, v53, v23 op_sel_hi:[1,1,0]
	v_fma_mix_f32 v22, v27, v53, v22 op_sel_hi:[1,1,0]
	s_delay_alu instid0(VALU_DEP_4) | instskip(NEXT) | instid1(VALU_DEP_4)
	v_fma_mix_f32 v7, v17, v53, v7 op_sel:[1,1,0] op_sel_hi:[1,1,0]
	v_fma_mix_f32 v8, v19, v53, v8 op_sel:[1,1,0] op_sel_hi:[1,1,0]
	s_delay_alu instid0(VALU_DEP_4) | instskip(NEXT) | instid1(VALU_DEP_4)
	v_fma_mix_f32 v17, v25, v53, v23 op_sel:[1,1,0] op_sel_hi:[1,1,0]
	v_fma_mix_f32 v19, v27, v53, v22 op_sel:[1,1,0] op_sel_hi:[1,1,0]
	s_delay_alu instid0(VALU_DEP_4) | instskip(NEXT) | instid1(VALU_DEP_4)
	v_fma_mix_f32 v7, v18, v54, v7 op_sel_hi:[1,1,0]
	v_fma_mix_f32 v8, v20, v54, v8 op_sel_hi:[1,1,0]
	s_delay_alu instid0(VALU_DEP_4) | instskip(NEXT) | instid1(VALU_DEP_4)
	v_fma_mix_f32 v17, v26, v54, v17 op_sel_hi:[1,1,0]
	v_fma_mix_f32 v19, v28, v54, v19 op_sel_hi:[1,1,0]
	s_delay_alu instid0(VALU_DEP_4) | instskip(NEXT) | instid1(VALU_DEP_4)
	v_fma_mix_f32 v7, v18, v54, v7 op_sel:[1,1,0] op_sel_hi:[1,1,0]
	v_fma_mix_f32 v8, v20, v54, v8 op_sel:[1,1,0] op_sel_hi:[1,1,0]
	s_delay_alu instid0(VALU_DEP_4) | instskip(NEXT) | instid1(VALU_DEP_4)
	v_fma_mix_f32 v17, v26, v54, v17 op_sel:[1,1,0] op_sel_hi:[1,1,0]
	v_fma_mix_f32 v18, v28, v54, v19 op_sel:[1,1,0] op_sel_hi:[1,1,0]
	s_wait_loadcnt 0x2
	v_fma_mix_f32 v7, v29, v55, v7 op_sel_hi:[1,1,0]
	v_fma_mix_f32 v8, v31, v55, v8 op_sel_hi:[1,1,0]
	v_fma_mix_f32 v17, v33, v55, v17 op_sel_hi:[1,1,0]
	v_fma_mix_f32 v18, v35, v55, v18 op_sel_hi:[1,1,0]
	s_delay_alu instid0(VALU_DEP_4) | instskip(NEXT) | instid1(VALU_DEP_4)
	v_fma_mix_f32 v7, v29, v55, v7 op_sel:[1,1,0] op_sel_hi:[1,1,0]
	v_fma_mix_f32 v8, v31, v55, v8 op_sel:[1,1,0] op_sel_hi:[1,1,0]
	s_delay_alu instid0(VALU_DEP_4) | instskip(NEXT) | instid1(VALU_DEP_4)
	v_fma_mix_f32 v17, v33, v55, v17 op_sel:[1,1,0] op_sel_hi:[1,1,0]
	v_fma_mix_f32 v18, v35, v55, v18 op_sel:[1,1,0] op_sel_hi:[1,1,0]
	s_delay_alu instid0(VALU_DEP_4) | instskip(NEXT) | instid1(VALU_DEP_4)
	v_fma_mix_f32 v7, v30, v56, v7 op_sel_hi:[1,1,0]
	v_fma_mix_f32 v8, v32, v56, v8 op_sel_hi:[1,1,0]
	s_delay_alu instid0(VALU_DEP_4) | instskip(NEXT) | instid1(VALU_DEP_4)
	v_fma_mix_f32 v17, v34, v56, v17 op_sel_hi:[1,1,0]
	v_fma_mix_f32 v18, v36, v56, v18 op_sel_hi:[1,1,0]
	s_delay_alu instid0(VALU_DEP_4) | instskip(NEXT) | instid1(VALU_DEP_4)
	v_fma_mix_f32 v7, v30, v56, v7 op_sel:[1,1,0] op_sel_hi:[1,1,0]
	v_fma_mix_f32 v8, v32, v56, v8 op_sel:[1,1,0] op_sel_hi:[1,1,0]
	s_delay_alu instid0(VALU_DEP_4) | instskip(NEXT) | instid1(VALU_DEP_4)
	v_fma_mix_f32 v17, v34, v56, v17 op_sel:[1,1,0] op_sel_hi:[1,1,0]
	v_fma_mix_f32 v18, v36, v56, v18 op_sel:[1,1,0] op_sel_hi:[1,1,0]
	;; [unrolled: 23-line block ×4, first 2 shown]
	s_wait_alu 0xfffe
	s_and_not1_b32 exec_lo, exec_lo, s7
	s_cbranch_execnz .LBB96_21
; %bb.22:
	s_or_b32 exec_lo, exec_lo, s7
.LBB96_23:
	s_wait_alu 0xfffe
	s_or_b32 exec_lo, exec_lo, s6
.LBB96_24:
	s_wait_alu 0xfffe
	s_or_b32 exec_lo, exec_lo, s3
	s_cbranch_execz .LBB96_26
	s_branch .LBB96_37
.LBB96_25:
                                        ; implicit-def: $vgpr22
                                        ; implicit-def: $vgpr23
                                        ; implicit-def: $vgpr24
                                        ; implicit-def: $vgpr8
.LBB96_26:
	v_dual_mov_b32 v22, 0 :: v_dual_mov_b32 v23, 0
	v_mov_b32_e32 v24, 0
	v_mov_b32_e32 v8, 0
	s_and_saveexec_b32 s3, s2
	s_cbranch_execz .LBB96_36
; %bb.27:
	v_or_b32_e32 v7, 8, v21
	s_delay_alu instid0(VALU_DEP_1) | instskip(SKIP_3) | instid1(VALU_DEP_3)
	v_sub_co_u32 v7, s2, v7, s16
	s_wait_alu 0xf1ff
	v_sub_co_ci_u32_e64 v8, null, 0, 0, s2
	v_sub_co_u32 v11, s2, s16, v21
	v_add_co_u32 v7, vcc_lo, v7, v9
	s_wait_alu 0xfffd
	s_delay_alu instid0(VALU_DEP_3)
	v_add_co_ci_u32_e64 v8, null, v8, v10, vcc_lo
	v_not_b32_e32 v9, v9
	v_not_b32_e32 v10, v10
	s_wait_alu 0xf1ff
	v_sub_co_ci_u32_e64 v12, null, 0, 0, s2
	v_cmp_gt_i64_e32 vcc_lo, v[7:8], v[2:3]
	s_mov_b32 s2, exec_lo
	s_wait_alu 0xfffd
	v_cndmask_b32_e32 v13, v3, v8, vcc_lo
	v_cndmask_b32_e32 v7, v2, v7, vcc_lo
	v_add_co_u32 v8, vcc_lo, v11, v9
	s_wait_alu 0xfffd
	v_add_co_ci_u32_e64 v10, null, v12, v10, vcc_lo
	s_delay_alu instid0(VALU_DEP_2) | instskip(SKIP_2) | instid1(VALU_DEP_3)
	v_add_co_u32 v9, vcc_lo, v8, v7
	v_mov_b32_e32 v8, 0
	s_wait_alu 0xfffd
	v_add_co_ci_u32_e64 v10, null, v10, v13, vcc_lo
	s_delay_alu instid0(VALU_DEP_2) | instskip(SKIP_1) | instid1(VALU_DEP_2)
	v_dual_mov_b32 v22, v8 :: v_dual_and_b32 v7, 24, v9
	v_dual_mov_b32 v24, v8 :: v_dual_mov_b32 v23, v8
	v_cmpx_ne_u64_e32 24, v[7:8]
	s_cbranch_execz .LBB96_31
; %bb.28:
	v_lshrrev_b32_e32 v7, 3, v9
	v_dual_mov_b32 v23, 0 :: v_dual_mov_b32 v24, 0
	s_delay_alu instid0(VALU_DEP_2) | instskip(SKIP_1) | instid1(VALU_DEP_2)
	v_dual_mov_b32 v22, 0 :: v_dual_add_nc_u32 v11, 1, v7
	v_lshlrev_b64_e32 v[7:8], 2, v[0:1]
	v_and_b32_e32 v13, 3, v11
	s_delay_alu instid0(VALU_DEP_2) | instskip(SKIP_1) | instid1(VALU_DEP_3)
	v_add_co_u32 v11, vcc_lo, s8, v7
	s_wait_alu 0xfffd
	v_add_co_ci_u32_e64 v12, null, s9, v8, vcc_lo
	v_mov_b32_e32 v8, 0
	v_sub_co_u32 v13, s6, 0, v13
	s_wait_alu 0xf1ff
	v_sub_co_ci_u32_e64 v14, null, 0, 0, s6
	s_mov_b32 s6, 0
.LBB96_29:                              ; =>This Inner Loop Header: Depth=1
	global_load_b32 v7, v[11:12], off
	global_load_b128 v[15:18], v[5:6], off
	s_wait_loadcnt 0x1
	v_subrev_nc_u32_e32 v7, s16, v7
	s_delay_alu instid0(VALU_DEP_1) | instskip(NEXT) | instid1(VALU_DEP_1)
	v_lshlrev_b32_e32 v19, 2, v7
	v_ashrrev_i32_e32 v20, 31, v19
	s_delay_alu instid0(VALU_DEP_1) | instskip(SKIP_1) | instid1(VALU_DEP_1)
	v_lshlrev_b64_e32 v[19:20], 1, v[19:20]
	s_wait_kmcnt 0x0
	v_add_co_u32 v19, vcc_lo, s4, v19
	s_wait_alu 0xfffd
	s_delay_alu instid0(VALU_DEP_2)
	v_add_co_ci_u32_e64 v20, null, s5, v20, vcc_lo
	global_load_b64 v[19:20], v[19:20], off
	global_load_b128 v[25:28], v[5:6], off offset:16
	v_add_co_u32 v5, vcc_lo, 0x100, v5
	s_wait_alu 0xfffd
	v_add_co_ci_u32_e64 v6, null, 0, v6, vcc_lo
	v_add_co_u32 v0, vcc_lo, v0, 8
	s_wait_alu 0xfffd
	v_add_co_ci_u32_e64 v1, null, 0, v1, vcc_lo
	;; [unrolled: 3-line block ×4, first 2 shown]
	s_delay_alu instid0(VALU_DEP_1)
	v_cmp_eq_u64_e32 vcc_lo, 0, v[13:14]
	s_wait_alu 0xfffe
	s_or_b32 s6, vcc_lo, s6
	s_wait_loadcnt 0x1
	v_fma_mix_f32 v7, v15, v19, v8 op_sel_hi:[1,1,0]
	v_fma_mix_f32 v8, v15, v19, v24 op_sel:[1,0,0] op_sel_hi:[1,1,0]
	v_fma_mix_f32 v15, v16, v19, v23 op_sel_hi:[1,1,0]
	v_fma_mix_f32 v16, v16, v19, v22 op_sel:[1,0,0] op_sel_hi:[1,1,0]
	s_delay_alu instid0(VALU_DEP_4) | instskip(NEXT) | instid1(VALU_DEP_4)
	v_fma_mix_f32 v7, v17, v19, v7 op_sel:[0,1,0] op_sel_hi:[1,1,0]
	v_fma_mix_f32 v8, v17, v19, v8 op_sel:[1,1,0] op_sel_hi:[1,1,0]
	s_delay_alu instid0(VALU_DEP_4) | instskip(NEXT) | instid1(VALU_DEP_4)
	v_fma_mix_f32 v15, v18, v19, v15 op_sel:[0,1,0] op_sel_hi:[1,1,0]
	v_fma_mix_f32 v16, v18, v19, v16 op_sel:[1,1,0] op_sel_hi:[1,1,0]
	s_wait_loadcnt 0x0
	v_fma_mix_f32 v7, v25, v20, v7 op_sel_hi:[1,1,0]
	v_fma_mix_f32 v17, v25, v20, v8 op_sel:[1,0,0] op_sel_hi:[1,1,0]
	v_fma_mix_f32 v15, v26, v20, v15 op_sel_hi:[1,1,0]
	v_fma_mix_f32 v16, v26, v20, v16 op_sel:[1,0,0] op_sel_hi:[1,1,0]
	s_delay_alu instid0(VALU_DEP_4) | instskip(NEXT) | instid1(VALU_DEP_4)
	v_fma_mix_f32 v8, v27, v20, v7 op_sel:[0,1,0] op_sel_hi:[1,1,0]
	v_fma_mix_f32 v24, v27, v20, v17 op_sel:[1,1,0] op_sel_hi:[1,1,0]
	s_delay_alu instid0(VALU_DEP_4) | instskip(NEXT) | instid1(VALU_DEP_4)
	v_fma_mix_f32 v23, v28, v20, v15 op_sel:[0,1,0] op_sel_hi:[1,1,0]
	v_fma_mix_f32 v22, v28, v20, v16 op_sel:[1,1,0] op_sel_hi:[1,1,0]
	s_wait_alu 0xfffe
	s_and_not1_b32 exec_lo, exec_lo, s6
	s_cbranch_execnz .LBB96_29
; %bb.30:
	s_or_b32 exec_lo, exec_lo, s6
.LBB96_31:
	s_wait_alu 0xfffe
	s_or_b32 exec_lo, exec_lo, s2
	s_delay_alu instid0(SALU_CYCLE_1)
	s_mov_b32 s2, exec_lo
	v_cmpx_lt_u64_e32 23, v[9:10]
	s_cbranch_execz .LBB96_35
; %bb.32:
	v_lshlrev_b64_e32 v[9:10], 2, v[0:1]
	s_mov_b32 s6, 0
	s_delay_alu instid0(VALU_DEP_1) | instskip(SKIP_1) | instid1(VALU_DEP_2)
	v_add_co_u32 v7, vcc_lo, s8, v9
	s_wait_alu 0xfffd
	v_add_co_ci_u32_e64 v10, null, s9, v10, vcc_lo
	s_delay_alu instid0(VALU_DEP_2) | instskip(SKIP_1) | instid1(VALU_DEP_2)
	v_add_co_u32 v9, vcc_lo, v7, 64
	s_wait_alu 0xfffd
	v_add_co_ci_u32_e64 v10, null, 0, v10, vcc_lo
.LBB96_33:                              ; =>This Inner Loop Header: Depth=1
	s_clause 0x3
	global_load_b32 v7, v[9:10], off offset:-64
	global_load_b32 v19, v[9:10], off offset:-32
	global_load_b32 v20, v[9:10], off
	global_load_b32 v45, v[9:10], off offset:32
	s_clause 0x6
	global_load_b128 v[11:14], v[5:6], off
	global_load_b128 v[15:18], v[5:6], off offset:16
	global_load_b128 v[25:28], v[5:6], off offset:256
	;; [unrolled: 1-line block ×6, first 2 shown]
	s_wait_loadcnt 0xa
	v_subrev_nc_u32_e32 v7, s16, v7
	s_wait_loadcnt 0x9
	v_subrev_nc_u32_e32 v46, s16, v19
	;; [unrolled: 2-line block ×4, first 2 shown]
	v_lshlrev_b32_e32 v19, 2, v7
	v_lshlrev_b32_e32 v45, 2, v46
	;; [unrolled: 1-line block ×3, first 2 shown]
	s_delay_alu instid0(VALU_DEP_4) | instskip(NEXT) | instid1(VALU_DEP_4)
	v_lshlrev_b32_e32 v49, 2, v48
	v_ashrrev_i32_e32 v20, 31, v19
	s_delay_alu instid0(VALU_DEP_4) | instskip(NEXT) | instid1(VALU_DEP_4)
	v_ashrrev_i32_e32 v46, 31, v45
	v_ashrrev_i32_e32 v48, 31, v47
	s_delay_alu instid0(VALU_DEP_4) | instskip(NEXT) | instid1(VALU_DEP_4)
	v_ashrrev_i32_e32 v50, 31, v49
	v_lshlrev_b64_e32 v[19:20], 1, v[19:20]
	s_delay_alu instid0(VALU_DEP_4) | instskip(SKIP_1) | instid1(VALU_DEP_2)
	v_lshlrev_b64_e32 v[45:46], 1, v[45:46]
	s_wait_kmcnt 0x0
	v_add_co_u32 v19, vcc_lo, s4, v19
	s_wait_alu 0xfffd
	s_delay_alu instid0(VALU_DEP_3) | instskip(NEXT) | instid1(VALU_DEP_3)
	v_add_co_ci_u32_e64 v20, null, s5, v20, vcc_lo
	v_add_co_u32 v45, vcc_lo, s4, v45
	s_wait_alu 0xfffd
	v_add_co_ci_u32_e64 v46, null, s5, v46, vcc_lo
	s_clause 0x1
	global_load_b64 v[19:20], v[19:20], off
	global_load_b64 v[51:52], v[45:46], off
	v_lshlrev_b64_e32 v[45:46], 1, v[47:48]
	s_delay_alu instid0(VALU_DEP_1) | instskip(SKIP_1) | instid1(VALU_DEP_2)
	v_add_co_u32 v45, vcc_lo, s4, v45
	s_wait_alu 0xfffd
	v_add_co_ci_u32_e64 v46, null, s5, v46, vcc_lo
	global_load_b64 v[53:54], v[45:46], off
	v_lshlrev_b64_e32 v[45:46], 1, v[49:50]
	s_delay_alu instid0(VALU_DEP_1) | instskip(SKIP_1) | instid1(VALU_DEP_2)
	v_add_co_u32 v45, vcc_lo, s4, v45
	s_wait_alu 0xfffd
	v_add_co_ci_u32_e64 v46, null, s5, v46, vcc_lo
	global_load_b64 v[49:50], v[45:46], off
	global_load_b128 v[45:48], v[5:6], off offset:784
	v_add_co_u32 v5, vcc_lo, 0x400, v5
	s_wait_alu 0xfffd
	v_add_co_ci_u32_e64 v6, null, 0, v6, vcc_lo
	v_add_co_u32 v0, vcc_lo, v0, 32
	s_wait_alu 0xfffd
	v_add_co_ci_u32_e64 v1, null, 0, v1, vcc_lo
	;; [unrolled: 3-line block ×3, first 2 shown]
	s_delay_alu instid0(VALU_DEP_3)
	v_cmp_ge_i64_e32 vcc_lo, v[0:1], v[2:3]
	s_wait_alu 0xfffe
	s_or_b32 s6, vcc_lo, s6
	s_wait_loadcnt 0x4
	v_fma_mix_f32 v7, v11, v19, v8 op_sel_hi:[1,1,0]
	v_fma_mix_f32 v8, v11, v19, v24 op_sel:[1,0,0] op_sel_hi:[1,1,0]
	v_fma_mix_f32 v11, v12, v19, v23 op_sel_hi:[1,1,0]
	v_fma_mix_f32 v12, v12, v19, v22 op_sel:[1,0,0] op_sel_hi:[1,1,0]
	s_delay_alu instid0(VALU_DEP_4) | instskip(NEXT) | instid1(VALU_DEP_4)
	v_fma_mix_f32 v7, v13, v19, v7 op_sel:[0,1,0] op_sel_hi:[1,1,0]
	v_fma_mix_f32 v8, v13, v19, v8 op_sel:[1,1,0] op_sel_hi:[1,1,0]
	s_delay_alu instid0(VALU_DEP_4) | instskip(NEXT) | instid1(VALU_DEP_4)
	v_fma_mix_f32 v11, v14, v19, v11 op_sel:[0,1,0] op_sel_hi:[1,1,0]
	v_fma_mix_f32 v12, v14, v19, v12 op_sel:[1,1,0] op_sel_hi:[1,1,0]
	s_delay_alu instid0(VALU_DEP_4) | instskip(NEXT) | instid1(VALU_DEP_4)
	v_fma_mix_f32 v7, v15, v20, v7 op_sel_hi:[1,1,0]
	v_fma_mix_f32 v8, v15, v20, v8 op_sel:[1,0,0] op_sel_hi:[1,1,0]
	s_delay_alu instid0(VALU_DEP_4) | instskip(NEXT) | instid1(VALU_DEP_4)
	v_fma_mix_f32 v11, v16, v20, v11 op_sel_hi:[1,1,0]
	v_fma_mix_f32 v12, v16, v20, v12 op_sel:[1,0,0] op_sel_hi:[1,1,0]
	s_delay_alu instid0(VALU_DEP_4) | instskip(NEXT) | instid1(VALU_DEP_4)
	v_fma_mix_f32 v7, v17, v20, v7 op_sel:[0,1,0] op_sel_hi:[1,1,0]
	v_fma_mix_f32 v8, v17, v20, v8 op_sel:[1,1,0] op_sel_hi:[1,1,0]
	s_delay_alu instid0(VALU_DEP_4) | instskip(NEXT) | instid1(VALU_DEP_4)
	v_fma_mix_f32 v11, v18, v20, v11 op_sel:[0,1,0] op_sel_hi:[1,1,0]
	v_fma_mix_f32 v12, v18, v20, v12 op_sel:[1,1,0] op_sel_hi:[1,1,0]
	s_wait_loadcnt 0x3
	v_fma_mix_f32 v7, v25, v51, v7 op_sel_hi:[1,1,0]
	v_fma_mix_f32 v8, v25, v51, v8 op_sel:[1,0,0] op_sel_hi:[1,1,0]
	v_fma_mix_f32 v11, v26, v51, v11 op_sel_hi:[1,1,0]
	v_fma_mix_f32 v12, v26, v51, v12 op_sel:[1,0,0] op_sel_hi:[1,1,0]
	s_delay_alu instid0(VALU_DEP_4) | instskip(NEXT) | instid1(VALU_DEP_4)
	v_fma_mix_f32 v7, v27, v51, v7 op_sel:[0,1,0] op_sel_hi:[1,1,0]
	v_fma_mix_f32 v8, v27, v51, v8 op_sel:[1,1,0] op_sel_hi:[1,1,0]
	s_delay_alu instid0(VALU_DEP_4) | instskip(NEXT) | instid1(VALU_DEP_4)
	v_fma_mix_f32 v11, v28, v51, v11 op_sel:[0,1,0] op_sel_hi:[1,1,0]
	v_fma_mix_f32 v12, v28, v51, v12 op_sel:[1,1,0] op_sel_hi:[1,1,0]
	s_delay_alu instid0(VALU_DEP_4) | instskip(NEXT) | instid1(VALU_DEP_4)
	v_fma_mix_f32 v7, v29, v52, v7 op_sel_hi:[1,1,0]
	v_fma_mix_f32 v8, v29, v52, v8 op_sel:[1,0,0] op_sel_hi:[1,1,0]
	s_delay_alu instid0(VALU_DEP_4) | instskip(NEXT) | instid1(VALU_DEP_4)
	v_fma_mix_f32 v11, v30, v52, v11 op_sel_hi:[1,1,0]
	v_fma_mix_f32 v12, v30, v52, v12 op_sel:[1,0,0] op_sel_hi:[1,1,0]
	s_delay_alu instid0(VALU_DEP_4) | instskip(NEXT) | instid1(VALU_DEP_4)
	v_fma_mix_f32 v7, v31, v52, v7 op_sel:[0,1,0] op_sel_hi:[1,1,0]
	v_fma_mix_f32 v8, v31, v52, v8 op_sel:[1,1,0] op_sel_hi:[1,1,0]
	s_delay_alu instid0(VALU_DEP_4) | instskip(NEXT) | instid1(VALU_DEP_4)
	v_fma_mix_f32 v11, v32, v52, v11 op_sel:[0,1,0] op_sel_hi:[1,1,0]
	v_fma_mix_f32 v12, v32, v52, v12 op_sel:[1,1,0] op_sel_hi:[1,1,0]
	;; [unrolled: 23-line block ×3, first 2 shown]
	s_wait_loadcnt 0x1
	v_fma_mix_f32 v7, v41, v49, v7 op_sel_hi:[1,1,0]
	v_fma_mix_f32 v8, v41, v49, v8 op_sel:[1,0,0] op_sel_hi:[1,1,0]
	v_fma_mix_f32 v11, v42, v49, v11 op_sel_hi:[1,1,0]
	v_fma_mix_f32 v12, v42, v49, v12 op_sel:[1,0,0] op_sel_hi:[1,1,0]
	s_delay_alu instid0(VALU_DEP_4) | instskip(NEXT) | instid1(VALU_DEP_4)
	v_fma_mix_f32 v7, v43, v49, v7 op_sel:[0,1,0] op_sel_hi:[1,1,0]
	v_fma_mix_f32 v8, v43, v49, v8 op_sel:[1,1,0] op_sel_hi:[1,1,0]
	s_delay_alu instid0(VALU_DEP_4) | instskip(NEXT) | instid1(VALU_DEP_4)
	v_fma_mix_f32 v11, v44, v49, v11 op_sel:[0,1,0] op_sel_hi:[1,1,0]
	v_fma_mix_f32 v12, v44, v49, v12 op_sel:[1,1,0] op_sel_hi:[1,1,0]
	s_wait_loadcnt 0x0
	v_fma_mix_f32 v7, v45, v50, v7 op_sel_hi:[1,1,0]
	v_fma_mix_f32 v13, v45, v50, v8 op_sel:[1,0,0] op_sel_hi:[1,1,0]
	v_fma_mix_f32 v11, v46, v50, v11 op_sel_hi:[1,1,0]
	v_fma_mix_f32 v12, v46, v50, v12 op_sel:[1,0,0] op_sel_hi:[1,1,0]
	s_delay_alu instid0(VALU_DEP_4) | instskip(NEXT) | instid1(VALU_DEP_4)
	v_fma_mix_f32 v8, v47, v50, v7 op_sel:[0,1,0] op_sel_hi:[1,1,0]
	v_fma_mix_f32 v24, v47, v50, v13 op_sel:[1,1,0] op_sel_hi:[1,1,0]
	s_delay_alu instid0(VALU_DEP_4) | instskip(NEXT) | instid1(VALU_DEP_4)
	v_fma_mix_f32 v23, v48, v50, v11 op_sel:[0,1,0] op_sel_hi:[1,1,0]
	v_fma_mix_f32 v22, v48, v50, v12 op_sel:[1,1,0] op_sel_hi:[1,1,0]
	s_wait_alu 0xfffe
	s_and_not1_b32 exec_lo, exec_lo, s6
	s_cbranch_execnz .LBB96_33
; %bb.34:
	s_or_b32 exec_lo, exec_lo, s6
.LBB96_35:
	s_wait_alu 0xfffe
	s_or_b32 exec_lo, exec_lo, s2
.LBB96_36:
	s_wait_alu 0xfffe
	s_or_b32 exec_lo, exec_lo, s3
.LBB96_37:
	v_mbcnt_lo_u32_b32 v0, -1, 0
	s_mov_b32 s2, -1
	s_delay_alu instid0(VALU_DEP_1) | instskip(SKIP_2) | instid1(VALU_DEP_3)
	v_xor_b32_e32 v1, 4, v0
	v_xor_b32_e32 v6, 2, v0
	;; [unrolled: 1-line block ×3, first 2 shown]
	v_cmp_gt_i32_e32 vcc_lo, 32, v1
	s_wait_alu 0xfffd
	v_cndmask_b32_e32 v1, v0, v1, vcc_lo
	v_cmp_gt_i32_e32 vcc_lo, 32, v6
	s_wait_alu 0xfffd
	v_cndmask_b32_e32 v6, v0, v6, vcc_lo
	v_cmp_gt_i32_e32 vcc_lo, 32, v10
	s_delay_alu instid0(VALU_DEP_2)
	v_lshlrev_b32_e32 v6, 2, v6
	s_wait_alu 0xfffd
	v_dual_cndmask_b32 v0, v0, v10 :: v_dual_lshlrev_b32 v1, 2, v1
	v_cmp_eq_u32_e32 vcc_lo, 7, v21
	ds_bpermute_b32 v2, v1, v8
	v_lshlrev_b32_e32 v10, 2, v0
	s_wait_dscnt 0x0
	v_add_f32_e32 v2, v8, v2
	ds_bpermute_b32 v3, v1, v24
	ds_bpermute_b32 v5, v1, v23
	;; [unrolled: 1-line block ×3, first 2 shown]
	s_wait_dscnt 0x2
	v_add_f32_e32 v3, v24, v3
	s_wait_dscnt 0x1
	v_add_f32_e32 v5, v23, v5
	;; [unrolled: 2-line block ×3, first 2 shown]
	ds_bpermute_b32 v1, v6, v2
	ds_bpermute_b32 v8, v6, v3
	;; [unrolled: 1-line block ×4, first 2 shown]
	s_wait_dscnt 0x2
	v_dual_add_f32 v0, v2, v1 :: v_dual_add_f32 v1, v3, v8
	s_wait_dscnt 0x0
	v_dual_add_f32 v2, v5, v9 :: v_dual_add_f32 v3, v7, v6
	ds_bpermute_b32 v5, v10, v0
	ds_bpermute_b32 v6, v10, v1
	;; [unrolled: 1-line block ×4, first 2 shown]
	s_and_b32 exec_lo, exec_lo, vcc_lo
	s_cbranch_execz .LBB96_10
; %bb.38:
	s_load_b64 s[0:1], s[0:1], 0x50
	s_wait_dscnt 0x2
	v_dual_add_f32 v0, v0, v5 :: v_dual_add_f32 v1, v1, v6
	s_wait_dscnt 0x0
	v_dual_add_f32 v2, v2, v7 :: v_dual_add_f32 v3, v3, v8
	v_lshlrev_b32_e32 v4, 2, v4
	s_delay_alu instid0(VALU_DEP_3) | instskip(NEXT) | instid1(VALU_DEP_3)
	v_dual_mul_f32 v0, s14, v0 :: v_dual_mul_f32 v1, s14, v1
	v_dual_mul_f32 v2, s14, v2 :: v_dual_mul_f32 v3, s14, v3
	s_cmp_eq_f32 s12, 0
	s_cbranch_scc0 .LBB96_40
; %bb.39:
	v_ashrrev_i32_e32 v5, 31, v4
	s_mov_b32 s2, 0
	s_delay_alu instid0(VALU_DEP_1) | instskip(SKIP_1) | instid1(VALU_DEP_1)
	v_lshlrev_b64_e32 v[5:6], 2, v[4:5]
	s_wait_kmcnt 0x0
	v_add_co_u32 v5, vcc_lo, s0, v5
	s_wait_alu 0xfffd
	s_delay_alu instid0(VALU_DEP_2)
	v_add_co_ci_u32_e64 v6, null, s1, v6, vcc_lo
	global_store_b128 v[5:6], v[0:3], off
.LBB96_40:
	s_wait_alu 0xfffe
	s_and_not1_b32 vcc_lo, exec_lo, s2
	s_wait_alu 0xfffe
	s_cbranch_vccnz .LBB96_10
; %bb.41:
	v_ashrrev_i32_e32 v5, 31, v4
	s_delay_alu instid0(VALU_DEP_1) | instskip(SKIP_1) | instid1(VALU_DEP_1)
	v_lshlrev_b64_e32 v[4:5], 2, v[4:5]
	s_wait_kmcnt 0x0
	v_add_co_u32 v8, vcc_lo, s0, v4
	s_wait_alu 0xfffd
	s_delay_alu instid0(VALU_DEP_2)
	v_add_co_ci_u32_e64 v9, null, s1, v5, vcc_lo
	global_load_b128 v[4:7], v[8:9], off
	s_wait_loadcnt 0x0
	v_dual_fmac_f32 v0, s12, v4 :: v_dual_fmac_f32 v1, s12, v5
	v_dual_fmac_f32 v2, s12, v6 :: v_dual_fmac_f32 v3, s12, v7
	global_store_b128 v[8:9], v[0:3], off
	s_endpgm
	.section	.rodata,"a",@progbits
	.p2align	6, 0x0
	.amdhsa_kernel _ZN9rocsparseL18bsrxmvn_4x4_kernelILj128ELj8EfliDF16_DF16_fEEvT3_20rocsparse_direction_NS_24const_host_device_scalarIT1_EES1_PKS1_PKT2_SA_S7_PKT4_PKT5_S5_PT6_21rocsparse_index_base_b
		.amdhsa_group_segment_fixed_size 0
		.amdhsa_private_segment_fixed_size 0
		.amdhsa_kernarg_size 96
		.amdhsa_user_sgpr_count 2
		.amdhsa_user_sgpr_dispatch_ptr 0
		.amdhsa_user_sgpr_queue_ptr 0
		.amdhsa_user_sgpr_kernarg_segment_ptr 1
		.amdhsa_user_sgpr_dispatch_id 0
		.amdhsa_user_sgpr_private_segment_size 0
		.amdhsa_wavefront_size32 1
		.amdhsa_uses_dynamic_stack 0
		.amdhsa_enable_private_segment 0
		.amdhsa_system_sgpr_workgroup_id_x 1
		.amdhsa_system_sgpr_workgroup_id_y 0
		.amdhsa_system_sgpr_workgroup_id_z 0
		.amdhsa_system_sgpr_workgroup_info 0
		.amdhsa_system_vgpr_workitem_id 0
		.amdhsa_next_free_vgpr 61
		.amdhsa_next_free_sgpr 18
		.amdhsa_reserve_vcc 1
		.amdhsa_float_round_mode_32 0
		.amdhsa_float_round_mode_16_64 0
		.amdhsa_float_denorm_mode_32 3
		.amdhsa_float_denorm_mode_16_64 3
		.amdhsa_fp16_overflow 0
		.amdhsa_workgroup_processor_mode 1
		.amdhsa_memory_ordered 1
		.amdhsa_forward_progress 1
		.amdhsa_inst_pref_size 38
		.amdhsa_round_robin_scheduling 0
		.amdhsa_exception_fp_ieee_invalid_op 0
		.amdhsa_exception_fp_denorm_src 0
		.amdhsa_exception_fp_ieee_div_zero 0
		.amdhsa_exception_fp_ieee_overflow 0
		.amdhsa_exception_fp_ieee_underflow 0
		.amdhsa_exception_fp_ieee_inexact 0
		.amdhsa_exception_int_div_zero 0
	.end_amdhsa_kernel
	.section	.text._ZN9rocsparseL18bsrxmvn_4x4_kernelILj128ELj8EfliDF16_DF16_fEEvT3_20rocsparse_direction_NS_24const_host_device_scalarIT1_EES1_PKS1_PKT2_SA_S7_PKT4_PKT5_S5_PT6_21rocsparse_index_base_b,"axG",@progbits,_ZN9rocsparseL18bsrxmvn_4x4_kernelILj128ELj8EfliDF16_DF16_fEEvT3_20rocsparse_direction_NS_24const_host_device_scalarIT1_EES1_PKS1_PKT2_SA_S7_PKT4_PKT5_S5_PT6_21rocsparse_index_base_b,comdat
.Lfunc_end96:
	.size	_ZN9rocsparseL18bsrxmvn_4x4_kernelILj128ELj8EfliDF16_DF16_fEEvT3_20rocsparse_direction_NS_24const_host_device_scalarIT1_EES1_PKS1_PKT2_SA_S7_PKT4_PKT5_S5_PT6_21rocsparse_index_base_b, .Lfunc_end96-_ZN9rocsparseL18bsrxmvn_4x4_kernelILj128ELj8EfliDF16_DF16_fEEvT3_20rocsparse_direction_NS_24const_host_device_scalarIT1_EES1_PKS1_PKT2_SA_S7_PKT4_PKT5_S5_PT6_21rocsparse_index_base_b
                                        ; -- End function
	.set _ZN9rocsparseL18bsrxmvn_4x4_kernelILj128ELj8EfliDF16_DF16_fEEvT3_20rocsparse_direction_NS_24const_host_device_scalarIT1_EES1_PKS1_PKT2_SA_S7_PKT4_PKT5_S5_PT6_21rocsparse_index_base_b.num_vgpr, 61
	.set _ZN9rocsparseL18bsrxmvn_4x4_kernelILj128ELj8EfliDF16_DF16_fEEvT3_20rocsparse_direction_NS_24const_host_device_scalarIT1_EES1_PKS1_PKT2_SA_S7_PKT4_PKT5_S5_PT6_21rocsparse_index_base_b.num_agpr, 0
	.set _ZN9rocsparseL18bsrxmvn_4x4_kernelILj128ELj8EfliDF16_DF16_fEEvT3_20rocsparse_direction_NS_24const_host_device_scalarIT1_EES1_PKS1_PKT2_SA_S7_PKT4_PKT5_S5_PT6_21rocsparse_index_base_b.numbered_sgpr, 18
	.set _ZN9rocsparseL18bsrxmvn_4x4_kernelILj128ELj8EfliDF16_DF16_fEEvT3_20rocsparse_direction_NS_24const_host_device_scalarIT1_EES1_PKS1_PKT2_SA_S7_PKT4_PKT5_S5_PT6_21rocsparse_index_base_b.num_named_barrier, 0
	.set _ZN9rocsparseL18bsrxmvn_4x4_kernelILj128ELj8EfliDF16_DF16_fEEvT3_20rocsparse_direction_NS_24const_host_device_scalarIT1_EES1_PKS1_PKT2_SA_S7_PKT4_PKT5_S5_PT6_21rocsparse_index_base_b.private_seg_size, 0
	.set _ZN9rocsparseL18bsrxmvn_4x4_kernelILj128ELj8EfliDF16_DF16_fEEvT3_20rocsparse_direction_NS_24const_host_device_scalarIT1_EES1_PKS1_PKT2_SA_S7_PKT4_PKT5_S5_PT6_21rocsparse_index_base_b.uses_vcc, 1
	.set _ZN9rocsparseL18bsrxmvn_4x4_kernelILj128ELj8EfliDF16_DF16_fEEvT3_20rocsparse_direction_NS_24const_host_device_scalarIT1_EES1_PKS1_PKT2_SA_S7_PKT4_PKT5_S5_PT6_21rocsparse_index_base_b.uses_flat_scratch, 0
	.set _ZN9rocsparseL18bsrxmvn_4x4_kernelILj128ELj8EfliDF16_DF16_fEEvT3_20rocsparse_direction_NS_24const_host_device_scalarIT1_EES1_PKS1_PKT2_SA_S7_PKT4_PKT5_S5_PT6_21rocsparse_index_base_b.has_dyn_sized_stack, 0
	.set _ZN9rocsparseL18bsrxmvn_4x4_kernelILj128ELj8EfliDF16_DF16_fEEvT3_20rocsparse_direction_NS_24const_host_device_scalarIT1_EES1_PKS1_PKT2_SA_S7_PKT4_PKT5_S5_PT6_21rocsparse_index_base_b.has_recursion, 0
	.set _ZN9rocsparseL18bsrxmvn_4x4_kernelILj128ELj8EfliDF16_DF16_fEEvT3_20rocsparse_direction_NS_24const_host_device_scalarIT1_EES1_PKS1_PKT2_SA_S7_PKT4_PKT5_S5_PT6_21rocsparse_index_base_b.has_indirect_call, 0
	.section	.AMDGPU.csdata,"",@progbits
; Kernel info:
; codeLenInByte = 4844
; TotalNumSgprs: 20
; NumVgprs: 61
; ScratchSize: 0
; MemoryBound: 0
; FloatMode: 240
; IeeeMode: 1
; LDSByteSize: 0 bytes/workgroup (compile time only)
; SGPRBlocks: 0
; VGPRBlocks: 7
; NumSGPRsForWavesPerEU: 20
; NumVGPRsForWavesPerEU: 61
; Occupancy: 16
; WaveLimiterHint : 1
; COMPUTE_PGM_RSRC2:SCRATCH_EN: 0
; COMPUTE_PGM_RSRC2:USER_SGPR: 2
; COMPUTE_PGM_RSRC2:TRAP_HANDLER: 0
; COMPUTE_PGM_RSRC2:TGID_X_EN: 1
; COMPUTE_PGM_RSRC2:TGID_Y_EN: 0
; COMPUTE_PGM_RSRC2:TGID_Z_EN: 0
; COMPUTE_PGM_RSRC2:TIDIG_COMP_CNT: 0
	.section	.text._ZN9rocsparseL18bsrxmvn_4x4_kernelILj128ELj16EfliDF16_DF16_fEEvT3_20rocsparse_direction_NS_24const_host_device_scalarIT1_EES1_PKS1_PKT2_SA_S7_PKT4_PKT5_S5_PT6_21rocsparse_index_base_b,"axG",@progbits,_ZN9rocsparseL18bsrxmvn_4x4_kernelILj128ELj16EfliDF16_DF16_fEEvT3_20rocsparse_direction_NS_24const_host_device_scalarIT1_EES1_PKS1_PKT2_SA_S7_PKT4_PKT5_S5_PT6_21rocsparse_index_base_b,comdat
	.globl	_ZN9rocsparseL18bsrxmvn_4x4_kernelILj128ELj16EfliDF16_DF16_fEEvT3_20rocsparse_direction_NS_24const_host_device_scalarIT1_EES1_PKS1_PKT2_SA_S7_PKT4_PKT5_S5_PT6_21rocsparse_index_base_b ; -- Begin function _ZN9rocsparseL18bsrxmvn_4x4_kernelILj128ELj16EfliDF16_DF16_fEEvT3_20rocsparse_direction_NS_24const_host_device_scalarIT1_EES1_PKS1_PKT2_SA_S7_PKT4_PKT5_S5_PT6_21rocsparse_index_base_b
	.p2align	8
	.type	_ZN9rocsparseL18bsrxmvn_4x4_kernelILj128ELj16EfliDF16_DF16_fEEvT3_20rocsparse_direction_NS_24const_host_device_scalarIT1_EES1_PKS1_PKT2_SA_S7_PKT4_PKT5_S5_PT6_21rocsparse_index_base_b,@function
_ZN9rocsparseL18bsrxmvn_4x4_kernelILj128ELj16EfliDF16_DF16_fEEvT3_20rocsparse_direction_NS_24const_host_device_scalarIT1_EES1_PKS1_PKT2_SA_S7_PKT4_PKT5_S5_PT6_21rocsparse_index_base_b: ; @_ZN9rocsparseL18bsrxmvn_4x4_kernelILj128ELj16EfliDF16_DF16_fEEvT3_20rocsparse_direction_NS_24const_host_device_scalarIT1_EES1_PKS1_PKT2_SA_S7_PKT4_PKT5_S5_PT6_21rocsparse_index_base_b
; %bb.0:
	s_clause 0x2
	s_load_b64 s[16:17], s[0:1], 0x58
	s_load_b64 s[14:15], s[0:1], 0x8
	;; [unrolled: 1-line block ×3, first 2 shown]
	s_wait_kmcnt 0x0
	s_bitcmp1_b32 s17, 0
	s_cselect_b32 s2, -1, 0
	s_delay_alu instid0(SALU_CYCLE_1)
	s_and_b32 vcc_lo, exec_lo, s2
	s_xor_b32 s2, s2, -1
	s_cbranch_vccnz .LBB97_2
; %bb.1:
	s_load_b32 s14, s[14:15], 0x0
.LBB97_2:
	s_and_not1_b32 vcc_lo, exec_lo, s2
	s_cbranch_vccnz .LBB97_4
; %bb.3:
	s_load_b32 s12, s[12:13], 0x0
.LBB97_4:
	s_wait_kmcnt 0x0
	s_cmp_neq_f32 s14, 0
	s_mov_b32 s6, 0
	s_cselect_b32 s2, -1, 0
	s_cmp_neq_f32 s12, 1.0
	s_cselect_b32 s3, -1, 0
	s_delay_alu instid0(SALU_CYCLE_1) | instskip(NEXT) | instid1(SALU_CYCLE_1)
	s_or_b32 s2, s2, s3
	s_and_not1_b32 vcc_lo, exec_lo, s2
	s_cbranch_vccnz .LBB97_10
; %bb.5:
	s_clause 0x1
	s_load_b64 s[4:5], s[0:1], 0x18
	s_load_b64 s[2:3], s[0:1], 0x0
	v_lshrrev_b32_e32 v1, 4, v0
	s_delay_alu instid0(VALU_DEP_1)
	v_lshl_or_b32 v4, ttmp9, 3, v1
	s_wait_kmcnt 0x0
	s_cmp_lg_u64 s[4:5], 0
	s_cbranch_scc0 .LBB97_11
; %bb.6:
	s_load_b32 s6, s[0:1], 0x10
	s_mov_b32 s7, 0
                                        ; implicit-def: $vgpr1
	s_wait_kmcnt 0x0
	v_cmp_gt_i32_e32 vcc_lo, s6, v4
	s_mov_b32 s6, 0
	s_and_saveexec_b32 s8, vcc_lo
	s_delay_alu instid0(SALU_CYCLE_1)
	s_xor_b32 s8, exec_lo, s8
	s_cbranch_execz .LBB97_8
; %bb.7:
	v_ashrrev_i32_e32 v5, 31, v4
	s_mov_b32 s6, exec_lo
	s_delay_alu instid0(VALU_DEP_1) | instskip(NEXT) | instid1(VALU_DEP_1)
	v_lshlrev_b64_e32 v[1:2], 2, v[4:5]
	v_add_co_u32 v1, vcc_lo, s4, v1
	s_delay_alu instid0(VALU_DEP_1)
	v_add_co_ci_u32_e64 v2, null, s5, v2, vcc_lo
	global_load_b32 v1, v[1:2], off
	s_wait_loadcnt 0x0
	v_subrev_nc_u32_e32 v1, s16, v1
.LBB97_8:
	s_or_b32 exec_lo, exec_lo, s8
	s_delay_alu instid0(SALU_CYCLE_1)
	s_and_b32 vcc_lo, exec_lo, s7
	s_wait_alu 0xfffe
	s_cbranch_vccz .LBB97_12
.LBB97_9:
	v_cmp_gt_i32_e32 vcc_lo, s2, v4
	s_and_not1_b32 s2, s6, exec_lo
	s_and_b32 s4, vcc_lo, exec_lo
	s_wait_alu 0xfffe
	s_or_b32 s6, s2, s4
	s_wait_alu 0xfffe
	s_and_saveexec_b32 s2, s6
	s_cbranch_execnz .LBB97_13
.LBB97_10:
	s_endpgm
.LBB97_11:
                                        ; implicit-def: $vgpr1
	s_cbranch_execnz .LBB97_9
.LBB97_12:
	v_mov_b32_e32 v4, v1
	s_and_saveexec_b32 s2, s6
	s_cbranch_execz .LBB97_10
.LBB97_13:
	s_load_b256 s[4:11], s[0:1], 0x20
	s_delay_alu instid0(VALU_DEP_1) | instskip(SKIP_1) | instid1(VALU_DEP_2)
	v_ashrrev_i32_e32 v5, 31, v4
	v_dual_mov_b32 v22, 0 :: v_dual_and_b32 v21, 15, v0
	v_lshlrev_b64_e32 v[1:2], 3, v[4:5]
	s_wait_kmcnt 0x0
	s_delay_alu instid0(VALU_DEP_1) | instskip(SKIP_1) | instid1(VALU_DEP_2)
	v_add_co_u32 v5, vcc_lo, s4, v1
	s_wait_alu 0xfffd
	v_add_co_ci_u32_e64 v6, null, s5, v2, vcc_lo
	v_add_co_u32 v1, vcc_lo, s6, v1
	s_wait_alu 0xfffd
	v_add_co_ci_u32_e64 v2, null, s7, v2, vcc_lo
	v_add_co_u32 v3, vcc_lo, v5, 8
	global_load_b64 v[9:10], v[5:6], off
	s_wait_alu 0xfffd
	v_add_co_ci_u32_e64 v7, null, 0, v6, vcc_lo
	s_cmp_eq_u64 s[6:7], 0
	s_load_b64 s[4:5], s[0:1], 0x40
	s_cselect_b32 vcc_lo, -1, 0
	s_cmp_eq_u32 s3, 1
	s_wait_alu 0xfffe
	v_cndmask_b32_e32 v2, v2, v7, vcc_lo
	v_cndmask_b32_e32 v1, v1, v3, vcc_lo
	global_load_b64 v[2:3], v[1:2], off
	s_wait_loadcnt 0x1
	v_sub_co_u32 v0, vcc_lo, v9, s16
	s_wait_alu 0xfffd
	v_subrev_co_ci_u32_e64 v1, null, 0, v10, vcc_lo
	s_delay_alu instid0(VALU_DEP_2) | instskip(SKIP_1) | instid1(VALU_DEP_2)
	v_add_co_u32 v0, vcc_lo, v0, v21
	s_wait_alu 0xfffd
	v_add_co_ci_u32_e64 v1, null, 0, v1, vcc_lo
	s_delay_alu instid0(VALU_DEP_1) | instskip(SKIP_4) | instid1(VALU_DEP_3)
	v_lshlrev_b64_e32 v[5:6], 5, v[0:1]
	s_wait_loadcnt 0x0
	v_sub_co_u32 v2, vcc_lo, v2, s16
	s_wait_alu 0xfffd
	v_subrev_co_ci_u32_e64 v3, null, 0, v3, vcc_lo
	v_add_co_u32 v5, vcc_lo, s10, v5
	s_delay_alu instid0(VALU_DEP_2)
	v_cmp_lt_i64_e64 s2, v[0:1], v[2:3]
	s_wait_alu 0xfffd
	v_add_co_ci_u32_e64 v6, null, s11, v6, vcc_lo
	s_cbranch_scc1 .LBB97_25
; %bb.14:
	v_dual_mov_b32 v23, 0 :: v_dual_mov_b32 v24, 0
	v_mov_b32_e32 v8, 0
	s_and_saveexec_b32 s3, s2
	s_cbranch_execz .LBB97_24
; %bb.15:
	v_or_b32_e32 v7, 16, v21
	v_not_b32_e32 v12, v9
	v_not_b32_e32 v11, v10
	s_delay_alu instid0(VALU_DEP_3) | instskip(SKIP_3) | instid1(VALU_DEP_3)
	v_sub_co_u32 v7, s6, v7, s16
	s_wait_alu 0xf1ff
	v_sub_co_ci_u32_e64 v8, null, 0, 0, s6
	v_sub_co_u32 v13, s6, s16, v21
	v_add_co_u32 v7, vcc_lo, v7, v9
	s_wait_alu 0xfffd
	s_delay_alu instid0(VALU_DEP_3)
	v_add_co_ci_u32_e64 v8, null, v8, v10, vcc_lo
	s_wait_alu 0xf1ff
	v_sub_co_ci_u32_e64 v14, null, 0, 0, s6
	s_mov_b32 s6, exec_lo
	v_cmp_gt_i64_e32 vcc_lo, v[7:8], v[2:3]
	s_wait_alu 0xfffd
	v_dual_cndmask_b32 v16, v3, v8 :: v_dual_cndmask_b32 v7, v2, v7
	v_add_co_u32 v8, vcc_lo, v13, v12
	s_wait_alu 0xfffd
	v_add_co_ci_u32_e64 v11, null, v14, v11, vcc_lo
	v_mov_b32_e32 v14, v6
	s_delay_alu instid0(VALU_DEP_3) | instskip(SKIP_4) | instid1(VALU_DEP_3)
	v_add_co_u32 v15, vcc_lo, v8, v7
	v_mov_b32_e32 v8, 0
	s_wait_alu 0xfffd
	v_add_co_ci_u32_e64 v16, null, v11, v16, vcc_lo
	v_dual_mov_b32 v12, v1 :: v_dual_mov_b32 v13, v5
	v_dual_mov_b32 v24, v8 :: v_dual_and_b32 v7, 48, v15
	v_dual_mov_b32 v23, v8 :: v_dual_mov_b32 v22, v8
	v_mov_b32_e32 v11, v0
	s_delay_alu instid0(VALU_DEP_3)
	v_cmpx_ne_u64_e32 48, v[7:8]
	s_cbranch_execz .LBB97_19
; %bb.16:
	v_lshrrev_b32_e32 v7, 4, v15
	v_mov_b32_e32 v22, 0
	v_dual_mov_b32 v14, v6 :: v_dual_mov_b32 v13, v5
	v_dual_mov_b32 v12, v1 :: v_dual_mov_b32 v11, v0
	s_delay_alu instid0(VALU_DEP_4) | instskip(SKIP_2) | instid1(VALU_DEP_3)
	v_add_nc_u32_e32 v17, 1, v7
	v_lshlrev_b64_e32 v[7:8], 2, v[0:1]
	v_dual_mov_b32 v23, 0 :: v_dual_mov_b32 v24, 0
	v_and_b32_e32 v19, 3, v17
	s_delay_alu instid0(VALU_DEP_3) | instskip(SKIP_1) | instid1(VALU_DEP_4)
	v_add_co_u32 v17, vcc_lo, s8, v7
	s_wait_alu 0xfffd
	v_add_co_ci_u32_e64 v18, null, s9, v8, vcc_lo
	v_mov_b32_e32 v8, 0
	v_sub_co_u32 v19, s7, 0, v19
	s_wait_alu 0xf1ff
	v_sub_co_ci_u32_e64 v20, null, 0, 0, s7
	s_mov_b32 s7, 0
.LBB97_17:                              ; =>This Inner Loop Header: Depth=1
	global_load_b32 v7, v[17:18], off
	s_clause 0x1
	global_load_b128 v[25:28], v[13:14], off
	global_load_b128 v[29:32], v[13:14], off offset:16
	s_wait_loadcnt 0x2
	v_subrev_nc_u32_e32 v7, s16, v7
	s_delay_alu instid0(VALU_DEP_1) | instskip(NEXT) | instid1(VALU_DEP_1)
	v_lshlrev_b32_e32 v33, 2, v7
	v_ashrrev_i32_e32 v34, 31, v33
	s_delay_alu instid0(VALU_DEP_1) | instskip(SKIP_1) | instid1(VALU_DEP_1)
	v_lshlrev_b64_e32 v[33:34], 1, v[33:34]
	s_wait_kmcnt 0x0
	v_add_co_u32 v33, vcc_lo, s4, v33
	s_wait_alu 0xfffd
	s_delay_alu instid0(VALU_DEP_2)
	v_add_co_ci_u32_e64 v34, null, s5, v34, vcc_lo
	v_add_co_u32 v13, vcc_lo, 0x200, v13
	s_wait_alu 0xfffd
	v_add_co_ci_u32_e64 v14, null, 0, v14, vcc_lo
	global_load_b64 v[33:34], v[33:34], off
	v_add_co_u32 v11, vcc_lo, v11, 16
	s_wait_alu 0xfffd
	v_add_co_ci_u32_e64 v12, null, 0, v12, vcc_lo
	v_add_co_u32 v17, vcc_lo, v17, 64
	s_wait_alu 0xfffd
	v_add_co_ci_u32_e64 v18, null, 0, v18, vcc_lo
	;; [unrolled: 3-line block ×3, first 2 shown]
	s_delay_alu instid0(VALU_DEP_1)
	v_cmp_eq_u64_e32 vcc_lo, 0, v[19:20]
	s_wait_alu 0xfffe
	s_or_b32 s7, vcc_lo, s7
	s_wait_loadcnt 0x0
	v_fma_mix_f32 v7, v25, v33, v8 op_sel_hi:[1,1,0]
	v_fma_mix_f32 v8, v27, v33, v24 op_sel_hi:[1,1,0]
	;; [unrolled: 1-line block ×4, first 2 shown]
	s_delay_alu instid0(VALU_DEP_4) | instskip(NEXT) | instid1(VALU_DEP_4)
	v_fma_mix_f32 v7, v25, v33, v7 op_sel:[1,1,0] op_sel_hi:[1,1,0]
	v_fma_mix_f32 v8, v27, v33, v8 op_sel:[1,1,0] op_sel_hi:[1,1,0]
	s_delay_alu instid0(VALU_DEP_4) | instskip(NEXT) | instid1(VALU_DEP_4)
	v_fma_mix_f32 v23, v29, v33, v23 op_sel:[1,1,0] op_sel_hi:[1,1,0]
	v_fma_mix_f32 v22, v31, v33, v22 op_sel:[1,1,0] op_sel_hi:[1,1,0]
	s_delay_alu instid0(VALU_DEP_4) | instskip(NEXT) | instid1(VALU_DEP_4)
	v_fma_mix_f32 v7, v26, v34, v7 op_sel_hi:[1,1,0]
	v_fma_mix_f32 v24, v28, v34, v8 op_sel_hi:[1,1,0]
	s_delay_alu instid0(VALU_DEP_4) | instskip(NEXT) | instid1(VALU_DEP_4)
	v_fma_mix_f32 v23, v30, v34, v23 op_sel_hi:[1,1,0]
	v_fma_mix_f32 v22, v32, v34, v22 op_sel_hi:[1,1,0]
	s_delay_alu instid0(VALU_DEP_4) | instskip(NEXT) | instid1(VALU_DEP_4)
	v_fma_mix_f32 v8, v26, v34, v7 op_sel:[1,1,0] op_sel_hi:[1,1,0]
	v_fma_mix_f32 v24, v28, v34, v24 op_sel:[1,1,0] op_sel_hi:[1,1,0]
	s_delay_alu instid0(VALU_DEP_4) | instskip(NEXT) | instid1(VALU_DEP_4)
	v_fma_mix_f32 v23, v30, v34, v23 op_sel:[1,1,0] op_sel_hi:[1,1,0]
	v_fma_mix_f32 v22, v32, v34, v22 op_sel:[1,1,0] op_sel_hi:[1,1,0]
	s_wait_alu 0xfffe
	s_and_not1_b32 exec_lo, exec_lo, s7
	s_cbranch_execnz .LBB97_17
; %bb.18:
	s_or_b32 exec_lo, exec_lo, s7
.LBB97_19:
	s_wait_alu 0xfffe
	s_or_b32 exec_lo, exec_lo, s6
	s_delay_alu instid0(SALU_CYCLE_1)
	s_mov_b32 s6, exec_lo
	v_cmpx_lt_u64_e32 47, v[15:16]
	s_cbranch_execz .LBB97_23
; %bb.20:
	v_lshlrev_b64_e32 v[15:16], 2, v[11:12]
	s_mov_b32 s7, 0
	s_delay_alu instid0(VALU_DEP_1) | instskip(SKIP_1) | instid1(VALU_DEP_2)
	v_add_co_u32 v7, vcc_lo, s8, v15
	s_wait_alu 0xfffd
	v_add_co_ci_u32_e64 v16, null, s9, v16, vcc_lo
	s_delay_alu instid0(VALU_DEP_2) | instskip(SKIP_1) | instid1(VALU_DEP_2)
	v_add_co_u32 v15, vcc_lo, 0x80, v7
	s_wait_alu 0xfffd
	v_add_co_ci_u32_e64 v16, null, 0, v16, vcc_lo
.LBB97_21:                              ; =>This Inner Loop Header: Depth=1
	s_clause 0x3
	global_load_b32 v7, v[15:16], off offset:-128
	global_load_b32 v53, v[15:16], off offset:-64
	global_load_b32 v54, v[15:16], off
	global_load_b32 v55, v[15:16], off offset:64
	s_clause 0x7
	global_load_b128 v[17:20], v[13:14], off
	global_load_b128 v[25:28], v[13:14], off offset:16
	global_load_b128 v[29:32], v[13:14], off offset:512
	global_load_b128 v[33:36], v[13:14], off offset:528
	global_load_b128 v[37:40], v[13:14], off offset:1024
	global_load_b128 v[41:44], v[13:14], off offset:1040
	global_load_b128 v[45:48], v[13:14], off offset:1536
	global_load_b128 v[49:52], v[13:14], off offset:1552
	s_wait_loadcnt 0xb
	v_subrev_nc_u32_e32 v7, s16, v7
	s_wait_loadcnt 0xa
	v_subrev_nc_u32_e32 v56, s16, v53
	;; [unrolled: 2-line block ×4, first 2 shown]
	v_lshlrev_b32_e32 v53, 2, v7
	v_lshlrev_b32_e32 v55, 2, v56
	;; [unrolled: 1-line block ×3, first 2 shown]
	s_delay_alu instid0(VALU_DEP_4) | instskip(NEXT) | instid1(VALU_DEP_4)
	v_lshlrev_b32_e32 v59, 2, v58
	v_ashrrev_i32_e32 v54, 31, v53
	s_delay_alu instid0(VALU_DEP_4) | instskip(NEXT) | instid1(VALU_DEP_4)
	v_ashrrev_i32_e32 v56, 31, v55
	v_ashrrev_i32_e32 v58, 31, v57
	s_delay_alu instid0(VALU_DEP_4) | instskip(NEXT) | instid1(VALU_DEP_4)
	v_ashrrev_i32_e32 v60, 31, v59
	v_lshlrev_b64_e32 v[53:54], 1, v[53:54]
	s_delay_alu instid0(VALU_DEP_4) | instskip(NEXT) | instid1(VALU_DEP_4)
	v_lshlrev_b64_e32 v[55:56], 1, v[55:56]
	v_lshlrev_b64_e32 v[57:58], 1, v[57:58]
	s_delay_alu instid0(VALU_DEP_4) | instskip(SKIP_1) | instid1(VALU_DEP_4)
	v_lshlrev_b64_e32 v[59:60], 1, v[59:60]
	s_wait_kmcnt 0x0
	v_add_co_u32 v53, vcc_lo, s4, v53
	s_wait_alu 0xfffd
	v_add_co_ci_u32_e64 v54, null, s5, v54, vcc_lo
	v_add_co_u32 v55, vcc_lo, s4, v55
	s_wait_alu 0xfffd
	v_add_co_ci_u32_e64 v56, null, s5, v56, vcc_lo
	global_load_b64 v[53:54], v[53:54], off
	v_add_co_u32 v57, vcc_lo, s4, v57
	global_load_b64 v[55:56], v[55:56], off
	s_wait_alu 0xfffd
	v_add_co_ci_u32_e64 v58, null, s5, v58, vcc_lo
	v_add_co_u32 v59, vcc_lo, s4, v59
	s_wait_alu 0xfffd
	v_add_co_ci_u32_e64 v60, null, s5, v60, vcc_lo
	global_load_b64 v[57:58], v[57:58], off
	v_add_co_u32 v13, vcc_lo, 0x800, v13
	global_load_b64 v[59:60], v[59:60], off
	s_wait_alu 0xfffd
	v_add_co_ci_u32_e64 v14, null, 0, v14, vcc_lo
	v_add_co_u32 v11, vcc_lo, v11, 64
	s_wait_alu 0xfffd
	v_add_co_ci_u32_e64 v12, null, 0, v12, vcc_lo
	v_add_co_u32 v15, vcc_lo, 0x100, v15
	s_wait_alu 0xfffd
	v_add_co_ci_u32_e64 v16, null, 0, v16, vcc_lo
	s_delay_alu instid0(VALU_DEP_3)
	v_cmp_ge_i64_e32 vcc_lo, v[11:12], v[2:3]
	s_wait_alu 0xfffe
	s_or_b32 s7, vcc_lo, s7
	s_wait_loadcnt 0x3
	v_fma_mix_f32 v7, v17, v53, v8 op_sel_hi:[1,1,0]
	v_fma_mix_f32 v8, v19, v53, v24 op_sel_hi:[1,1,0]
	v_fma_mix_f32 v23, v25, v53, v23 op_sel_hi:[1,1,0]
	v_fma_mix_f32 v22, v27, v53, v22 op_sel_hi:[1,1,0]
	s_delay_alu instid0(VALU_DEP_4) | instskip(NEXT) | instid1(VALU_DEP_4)
	v_fma_mix_f32 v7, v17, v53, v7 op_sel:[1,1,0] op_sel_hi:[1,1,0]
	v_fma_mix_f32 v8, v19, v53, v8 op_sel:[1,1,0] op_sel_hi:[1,1,0]
	s_delay_alu instid0(VALU_DEP_4) | instskip(NEXT) | instid1(VALU_DEP_4)
	v_fma_mix_f32 v17, v25, v53, v23 op_sel:[1,1,0] op_sel_hi:[1,1,0]
	v_fma_mix_f32 v19, v27, v53, v22 op_sel:[1,1,0] op_sel_hi:[1,1,0]
	s_delay_alu instid0(VALU_DEP_4) | instskip(NEXT) | instid1(VALU_DEP_4)
	v_fma_mix_f32 v7, v18, v54, v7 op_sel_hi:[1,1,0]
	v_fma_mix_f32 v8, v20, v54, v8 op_sel_hi:[1,1,0]
	s_delay_alu instid0(VALU_DEP_4) | instskip(NEXT) | instid1(VALU_DEP_4)
	v_fma_mix_f32 v17, v26, v54, v17 op_sel_hi:[1,1,0]
	v_fma_mix_f32 v19, v28, v54, v19 op_sel_hi:[1,1,0]
	s_delay_alu instid0(VALU_DEP_4) | instskip(NEXT) | instid1(VALU_DEP_4)
	v_fma_mix_f32 v7, v18, v54, v7 op_sel:[1,1,0] op_sel_hi:[1,1,0]
	v_fma_mix_f32 v8, v20, v54, v8 op_sel:[1,1,0] op_sel_hi:[1,1,0]
	s_delay_alu instid0(VALU_DEP_4) | instskip(NEXT) | instid1(VALU_DEP_4)
	v_fma_mix_f32 v17, v26, v54, v17 op_sel:[1,1,0] op_sel_hi:[1,1,0]
	v_fma_mix_f32 v18, v28, v54, v19 op_sel:[1,1,0] op_sel_hi:[1,1,0]
	s_wait_loadcnt 0x2
	v_fma_mix_f32 v7, v29, v55, v7 op_sel_hi:[1,1,0]
	v_fma_mix_f32 v8, v31, v55, v8 op_sel_hi:[1,1,0]
	v_fma_mix_f32 v17, v33, v55, v17 op_sel_hi:[1,1,0]
	v_fma_mix_f32 v18, v35, v55, v18 op_sel_hi:[1,1,0]
	s_delay_alu instid0(VALU_DEP_4) | instskip(NEXT) | instid1(VALU_DEP_4)
	v_fma_mix_f32 v7, v29, v55, v7 op_sel:[1,1,0] op_sel_hi:[1,1,0]
	v_fma_mix_f32 v8, v31, v55, v8 op_sel:[1,1,0] op_sel_hi:[1,1,0]
	s_delay_alu instid0(VALU_DEP_4) | instskip(NEXT) | instid1(VALU_DEP_4)
	v_fma_mix_f32 v17, v33, v55, v17 op_sel:[1,1,0] op_sel_hi:[1,1,0]
	v_fma_mix_f32 v18, v35, v55, v18 op_sel:[1,1,0] op_sel_hi:[1,1,0]
	s_delay_alu instid0(VALU_DEP_4) | instskip(NEXT) | instid1(VALU_DEP_4)
	v_fma_mix_f32 v7, v30, v56, v7 op_sel_hi:[1,1,0]
	v_fma_mix_f32 v8, v32, v56, v8 op_sel_hi:[1,1,0]
	s_delay_alu instid0(VALU_DEP_4) | instskip(NEXT) | instid1(VALU_DEP_4)
	v_fma_mix_f32 v17, v34, v56, v17 op_sel_hi:[1,1,0]
	v_fma_mix_f32 v18, v36, v56, v18 op_sel_hi:[1,1,0]
	s_delay_alu instid0(VALU_DEP_4) | instskip(NEXT) | instid1(VALU_DEP_4)
	v_fma_mix_f32 v7, v30, v56, v7 op_sel:[1,1,0] op_sel_hi:[1,1,0]
	v_fma_mix_f32 v8, v32, v56, v8 op_sel:[1,1,0] op_sel_hi:[1,1,0]
	s_delay_alu instid0(VALU_DEP_4) | instskip(NEXT) | instid1(VALU_DEP_4)
	v_fma_mix_f32 v17, v34, v56, v17 op_sel:[1,1,0] op_sel_hi:[1,1,0]
	v_fma_mix_f32 v18, v36, v56, v18 op_sel:[1,1,0] op_sel_hi:[1,1,0]
	;; [unrolled: 23-line block ×4, first 2 shown]
	s_wait_alu 0xfffe
	s_and_not1_b32 exec_lo, exec_lo, s7
	s_cbranch_execnz .LBB97_21
; %bb.22:
	s_or_b32 exec_lo, exec_lo, s7
.LBB97_23:
	s_wait_alu 0xfffe
	s_or_b32 exec_lo, exec_lo, s6
.LBB97_24:
	s_wait_alu 0xfffe
	s_or_b32 exec_lo, exec_lo, s3
	s_cbranch_execz .LBB97_26
	s_branch .LBB97_37
.LBB97_25:
                                        ; implicit-def: $vgpr22
                                        ; implicit-def: $vgpr23
                                        ; implicit-def: $vgpr24
                                        ; implicit-def: $vgpr8
.LBB97_26:
	v_dual_mov_b32 v22, 0 :: v_dual_mov_b32 v23, 0
	v_mov_b32_e32 v24, 0
	v_mov_b32_e32 v8, 0
	s_and_saveexec_b32 s3, s2
	s_cbranch_execz .LBB97_36
; %bb.27:
	v_or_b32_e32 v7, 16, v21
	s_delay_alu instid0(VALU_DEP_1) | instskip(SKIP_3) | instid1(VALU_DEP_3)
	v_sub_co_u32 v7, s2, v7, s16
	s_wait_alu 0xf1ff
	v_sub_co_ci_u32_e64 v8, null, 0, 0, s2
	v_sub_co_u32 v11, s2, s16, v21
	v_add_co_u32 v7, vcc_lo, v7, v9
	s_wait_alu 0xfffd
	s_delay_alu instid0(VALU_DEP_3)
	v_add_co_ci_u32_e64 v8, null, v8, v10, vcc_lo
	v_not_b32_e32 v9, v9
	v_not_b32_e32 v10, v10
	s_wait_alu 0xf1ff
	v_sub_co_ci_u32_e64 v12, null, 0, 0, s2
	v_cmp_gt_i64_e32 vcc_lo, v[7:8], v[2:3]
	s_mov_b32 s2, exec_lo
	s_wait_alu 0xfffd
	v_cndmask_b32_e32 v13, v3, v8, vcc_lo
	v_cndmask_b32_e32 v7, v2, v7, vcc_lo
	v_add_co_u32 v8, vcc_lo, v11, v9
	s_wait_alu 0xfffd
	v_add_co_ci_u32_e64 v10, null, v12, v10, vcc_lo
	s_delay_alu instid0(VALU_DEP_2) | instskip(SKIP_2) | instid1(VALU_DEP_3)
	v_add_co_u32 v9, vcc_lo, v8, v7
	v_mov_b32_e32 v8, 0
	s_wait_alu 0xfffd
	v_add_co_ci_u32_e64 v10, null, v10, v13, vcc_lo
	s_delay_alu instid0(VALU_DEP_2) | instskip(SKIP_1) | instid1(VALU_DEP_2)
	v_dual_mov_b32 v22, v8 :: v_dual_and_b32 v7, 48, v9
	v_dual_mov_b32 v24, v8 :: v_dual_mov_b32 v23, v8
	v_cmpx_ne_u64_e32 48, v[7:8]
	s_cbranch_execz .LBB97_31
; %bb.28:
	v_lshrrev_b32_e32 v7, 4, v9
	v_dual_mov_b32 v23, 0 :: v_dual_mov_b32 v24, 0
	s_delay_alu instid0(VALU_DEP_2) | instskip(SKIP_1) | instid1(VALU_DEP_2)
	v_dual_mov_b32 v22, 0 :: v_dual_add_nc_u32 v11, 1, v7
	v_lshlrev_b64_e32 v[7:8], 2, v[0:1]
	v_and_b32_e32 v13, 3, v11
	s_delay_alu instid0(VALU_DEP_2) | instskip(SKIP_1) | instid1(VALU_DEP_3)
	v_add_co_u32 v11, vcc_lo, s8, v7
	s_wait_alu 0xfffd
	v_add_co_ci_u32_e64 v12, null, s9, v8, vcc_lo
	v_mov_b32_e32 v8, 0
	v_sub_co_u32 v13, s6, 0, v13
	s_wait_alu 0xf1ff
	v_sub_co_ci_u32_e64 v14, null, 0, 0, s6
	s_mov_b32 s6, 0
.LBB97_29:                              ; =>This Inner Loop Header: Depth=1
	global_load_b32 v7, v[11:12], off
	global_load_b128 v[15:18], v[5:6], off
	s_wait_loadcnt 0x1
	v_subrev_nc_u32_e32 v7, s16, v7
	s_delay_alu instid0(VALU_DEP_1) | instskip(NEXT) | instid1(VALU_DEP_1)
	v_lshlrev_b32_e32 v19, 2, v7
	v_ashrrev_i32_e32 v20, 31, v19
	s_delay_alu instid0(VALU_DEP_1) | instskip(SKIP_1) | instid1(VALU_DEP_1)
	v_lshlrev_b64_e32 v[19:20], 1, v[19:20]
	s_wait_kmcnt 0x0
	v_add_co_u32 v19, vcc_lo, s4, v19
	s_wait_alu 0xfffd
	s_delay_alu instid0(VALU_DEP_2)
	v_add_co_ci_u32_e64 v20, null, s5, v20, vcc_lo
	global_load_b64 v[19:20], v[19:20], off
	global_load_b128 v[25:28], v[5:6], off offset:16
	v_add_co_u32 v5, vcc_lo, 0x200, v5
	s_wait_alu 0xfffd
	v_add_co_ci_u32_e64 v6, null, 0, v6, vcc_lo
	v_add_co_u32 v0, vcc_lo, v0, 16
	s_wait_alu 0xfffd
	v_add_co_ci_u32_e64 v1, null, 0, v1, vcc_lo
	v_add_co_u32 v11, vcc_lo, v11, 64
	s_wait_alu 0xfffd
	v_add_co_ci_u32_e64 v12, null, 0, v12, vcc_lo
	v_add_co_u32 v13, vcc_lo, v13, 1
	s_wait_alu 0xfffd
	v_add_co_ci_u32_e64 v14, null, 0, v14, vcc_lo
	s_delay_alu instid0(VALU_DEP_1)
	v_cmp_eq_u64_e32 vcc_lo, 0, v[13:14]
	s_wait_alu 0xfffe
	s_or_b32 s6, vcc_lo, s6
	s_wait_loadcnt 0x1
	v_fma_mix_f32 v7, v15, v19, v8 op_sel_hi:[1,1,0]
	v_fma_mix_f32 v8, v15, v19, v24 op_sel:[1,0,0] op_sel_hi:[1,1,0]
	v_fma_mix_f32 v15, v16, v19, v23 op_sel_hi:[1,1,0]
	v_fma_mix_f32 v16, v16, v19, v22 op_sel:[1,0,0] op_sel_hi:[1,1,0]
	s_delay_alu instid0(VALU_DEP_4) | instskip(NEXT) | instid1(VALU_DEP_4)
	v_fma_mix_f32 v7, v17, v19, v7 op_sel:[0,1,0] op_sel_hi:[1,1,0]
	v_fma_mix_f32 v8, v17, v19, v8 op_sel:[1,1,0] op_sel_hi:[1,1,0]
	s_delay_alu instid0(VALU_DEP_4) | instskip(NEXT) | instid1(VALU_DEP_4)
	v_fma_mix_f32 v15, v18, v19, v15 op_sel:[0,1,0] op_sel_hi:[1,1,0]
	v_fma_mix_f32 v16, v18, v19, v16 op_sel:[1,1,0] op_sel_hi:[1,1,0]
	s_wait_loadcnt 0x0
	v_fma_mix_f32 v7, v25, v20, v7 op_sel_hi:[1,1,0]
	v_fma_mix_f32 v17, v25, v20, v8 op_sel:[1,0,0] op_sel_hi:[1,1,0]
	v_fma_mix_f32 v15, v26, v20, v15 op_sel_hi:[1,1,0]
	v_fma_mix_f32 v16, v26, v20, v16 op_sel:[1,0,0] op_sel_hi:[1,1,0]
	s_delay_alu instid0(VALU_DEP_4) | instskip(NEXT) | instid1(VALU_DEP_4)
	v_fma_mix_f32 v8, v27, v20, v7 op_sel:[0,1,0] op_sel_hi:[1,1,0]
	v_fma_mix_f32 v24, v27, v20, v17 op_sel:[1,1,0] op_sel_hi:[1,1,0]
	s_delay_alu instid0(VALU_DEP_4) | instskip(NEXT) | instid1(VALU_DEP_4)
	v_fma_mix_f32 v23, v28, v20, v15 op_sel:[0,1,0] op_sel_hi:[1,1,0]
	v_fma_mix_f32 v22, v28, v20, v16 op_sel:[1,1,0] op_sel_hi:[1,1,0]
	s_wait_alu 0xfffe
	s_and_not1_b32 exec_lo, exec_lo, s6
	s_cbranch_execnz .LBB97_29
; %bb.30:
	s_or_b32 exec_lo, exec_lo, s6
.LBB97_31:
	s_wait_alu 0xfffe
	s_or_b32 exec_lo, exec_lo, s2
	s_delay_alu instid0(SALU_CYCLE_1)
	s_mov_b32 s2, exec_lo
	v_cmpx_lt_u64_e32 47, v[9:10]
	s_cbranch_execz .LBB97_35
; %bb.32:
	v_lshlrev_b64_e32 v[9:10], 2, v[0:1]
	s_mov_b32 s6, 0
	s_delay_alu instid0(VALU_DEP_1) | instskip(SKIP_1) | instid1(VALU_DEP_2)
	v_add_co_u32 v7, vcc_lo, s8, v9
	s_wait_alu 0xfffd
	v_add_co_ci_u32_e64 v10, null, s9, v10, vcc_lo
	s_delay_alu instid0(VALU_DEP_2) | instskip(SKIP_1) | instid1(VALU_DEP_2)
	v_add_co_u32 v9, vcc_lo, 0x80, v7
	s_wait_alu 0xfffd
	v_add_co_ci_u32_e64 v10, null, 0, v10, vcc_lo
.LBB97_33:                              ; =>This Inner Loop Header: Depth=1
	s_clause 0x3
	global_load_b32 v7, v[9:10], off offset:-128
	global_load_b32 v19, v[9:10], off offset:-64
	global_load_b32 v20, v[9:10], off
	global_load_b32 v45, v[9:10], off offset:64
	s_clause 0x6
	global_load_b128 v[11:14], v[5:6], off
	global_load_b128 v[15:18], v[5:6], off offset:16
	global_load_b128 v[25:28], v[5:6], off offset:512
	;; [unrolled: 1-line block ×6, first 2 shown]
	s_wait_loadcnt 0xa
	v_subrev_nc_u32_e32 v7, s16, v7
	s_wait_loadcnt 0x9
	v_subrev_nc_u32_e32 v46, s16, v19
	;; [unrolled: 2-line block ×4, first 2 shown]
	v_lshlrev_b32_e32 v19, 2, v7
	v_lshlrev_b32_e32 v45, 2, v46
	;; [unrolled: 1-line block ×3, first 2 shown]
	s_delay_alu instid0(VALU_DEP_4) | instskip(NEXT) | instid1(VALU_DEP_4)
	v_lshlrev_b32_e32 v49, 2, v48
	v_ashrrev_i32_e32 v20, 31, v19
	s_delay_alu instid0(VALU_DEP_4) | instskip(NEXT) | instid1(VALU_DEP_4)
	v_ashrrev_i32_e32 v46, 31, v45
	v_ashrrev_i32_e32 v48, 31, v47
	s_delay_alu instid0(VALU_DEP_4) | instskip(NEXT) | instid1(VALU_DEP_4)
	v_ashrrev_i32_e32 v50, 31, v49
	v_lshlrev_b64_e32 v[19:20], 1, v[19:20]
	s_delay_alu instid0(VALU_DEP_4) | instskip(SKIP_1) | instid1(VALU_DEP_2)
	v_lshlrev_b64_e32 v[45:46], 1, v[45:46]
	s_wait_kmcnt 0x0
	v_add_co_u32 v19, vcc_lo, s4, v19
	s_wait_alu 0xfffd
	s_delay_alu instid0(VALU_DEP_3) | instskip(NEXT) | instid1(VALU_DEP_3)
	v_add_co_ci_u32_e64 v20, null, s5, v20, vcc_lo
	v_add_co_u32 v45, vcc_lo, s4, v45
	s_wait_alu 0xfffd
	v_add_co_ci_u32_e64 v46, null, s5, v46, vcc_lo
	s_clause 0x1
	global_load_b64 v[19:20], v[19:20], off
	global_load_b64 v[51:52], v[45:46], off
	v_lshlrev_b64_e32 v[45:46], 1, v[47:48]
	s_delay_alu instid0(VALU_DEP_1) | instskip(SKIP_1) | instid1(VALU_DEP_2)
	v_add_co_u32 v45, vcc_lo, s4, v45
	s_wait_alu 0xfffd
	v_add_co_ci_u32_e64 v46, null, s5, v46, vcc_lo
	global_load_b64 v[53:54], v[45:46], off
	v_lshlrev_b64_e32 v[45:46], 1, v[49:50]
	s_delay_alu instid0(VALU_DEP_1) | instskip(SKIP_1) | instid1(VALU_DEP_2)
	v_add_co_u32 v45, vcc_lo, s4, v45
	s_wait_alu 0xfffd
	v_add_co_ci_u32_e64 v46, null, s5, v46, vcc_lo
	global_load_b64 v[49:50], v[45:46], off
	global_load_b128 v[45:48], v[5:6], off offset:1552
	v_add_co_u32 v5, vcc_lo, 0x800, v5
	s_wait_alu 0xfffd
	v_add_co_ci_u32_e64 v6, null, 0, v6, vcc_lo
	v_add_co_u32 v0, vcc_lo, v0, 64
	s_wait_alu 0xfffd
	v_add_co_ci_u32_e64 v1, null, 0, v1, vcc_lo
	;; [unrolled: 3-line block ×3, first 2 shown]
	s_delay_alu instid0(VALU_DEP_3)
	v_cmp_ge_i64_e32 vcc_lo, v[0:1], v[2:3]
	s_wait_alu 0xfffe
	s_or_b32 s6, vcc_lo, s6
	s_wait_loadcnt 0x4
	v_fma_mix_f32 v7, v11, v19, v8 op_sel_hi:[1,1,0]
	v_fma_mix_f32 v8, v11, v19, v24 op_sel:[1,0,0] op_sel_hi:[1,1,0]
	v_fma_mix_f32 v11, v12, v19, v23 op_sel_hi:[1,1,0]
	v_fma_mix_f32 v12, v12, v19, v22 op_sel:[1,0,0] op_sel_hi:[1,1,0]
	s_delay_alu instid0(VALU_DEP_4) | instskip(NEXT) | instid1(VALU_DEP_4)
	v_fma_mix_f32 v7, v13, v19, v7 op_sel:[0,1,0] op_sel_hi:[1,1,0]
	v_fma_mix_f32 v8, v13, v19, v8 op_sel:[1,1,0] op_sel_hi:[1,1,0]
	s_delay_alu instid0(VALU_DEP_4) | instskip(NEXT) | instid1(VALU_DEP_4)
	v_fma_mix_f32 v11, v14, v19, v11 op_sel:[0,1,0] op_sel_hi:[1,1,0]
	v_fma_mix_f32 v12, v14, v19, v12 op_sel:[1,1,0] op_sel_hi:[1,1,0]
	s_delay_alu instid0(VALU_DEP_4) | instskip(NEXT) | instid1(VALU_DEP_4)
	v_fma_mix_f32 v7, v15, v20, v7 op_sel_hi:[1,1,0]
	v_fma_mix_f32 v8, v15, v20, v8 op_sel:[1,0,0] op_sel_hi:[1,1,0]
	s_delay_alu instid0(VALU_DEP_4) | instskip(NEXT) | instid1(VALU_DEP_4)
	v_fma_mix_f32 v11, v16, v20, v11 op_sel_hi:[1,1,0]
	v_fma_mix_f32 v12, v16, v20, v12 op_sel:[1,0,0] op_sel_hi:[1,1,0]
	s_delay_alu instid0(VALU_DEP_4) | instskip(NEXT) | instid1(VALU_DEP_4)
	v_fma_mix_f32 v7, v17, v20, v7 op_sel:[0,1,0] op_sel_hi:[1,1,0]
	v_fma_mix_f32 v8, v17, v20, v8 op_sel:[1,1,0] op_sel_hi:[1,1,0]
	s_delay_alu instid0(VALU_DEP_4) | instskip(NEXT) | instid1(VALU_DEP_4)
	v_fma_mix_f32 v11, v18, v20, v11 op_sel:[0,1,0] op_sel_hi:[1,1,0]
	v_fma_mix_f32 v12, v18, v20, v12 op_sel:[1,1,0] op_sel_hi:[1,1,0]
	s_wait_loadcnt 0x3
	v_fma_mix_f32 v7, v25, v51, v7 op_sel_hi:[1,1,0]
	v_fma_mix_f32 v8, v25, v51, v8 op_sel:[1,0,0] op_sel_hi:[1,1,0]
	v_fma_mix_f32 v11, v26, v51, v11 op_sel_hi:[1,1,0]
	v_fma_mix_f32 v12, v26, v51, v12 op_sel:[1,0,0] op_sel_hi:[1,1,0]
	s_delay_alu instid0(VALU_DEP_4) | instskip(NEXT) | instid1(VALU_DEP_4)
	v_fma_mix_f32 v7, v27, v51, v7 op_sel:[0,1,0] op_sel_hi:[1,1,0]
	v_fma_mix_f32 v8, v27, v51, v8 op_sel:[1,1,0] op_sel_hi:[1,1,0]
	s_delay_alu instid0(VALU_DEP_4) | instskip(NEXT) | instid1(VALU_DEP_4)
	v_fma_mix_f32 v11, v28, v51, v11 op_sel:[0,1,0] op_sel_hi:[1,1,0]
	v_fma_mix_f32 v12, v28, v51, v12 op_sel:[1,1,0] op_sel_hi:[1,1,0]
	s_delay_alu instid0(VALU_DEP_4) | instskip(NEXT) | instid1(VALU_DEP_4)
	v_fma_mix_f32 v7, v29, v52, v7 op_sel_hi:[1,1,0]
	v_fma_mix_f32 v8, v29, v52, v8 op_sel:[1,0,0] op_sel_hi:[1,1,0]
	s_delay_alu instid0(VALU_DEP_4) | instskip(NEXT) | instid1(VALU_DEP_4)
	v_fma_mix_f32 v11, v30, v52, v11 op_sel_hi:[1,1,0]
	v_fma_mix_f32 v12, v30, v52, v12 op_sel:[1,0,0] op_sel_hi:[1,1,0]
	s_delay_alu instid0(VALU_DEP_4) | instskip(NEXT) | instid1(VALU_DEP_4)
	v_fma_mix_f32 v7, v31, v52, v7 op_sel:[0,1,0] op_sel_hi:[1,1,0]
	v_fma_mix_f32 v8, v31, v52, v8 op_sel:[1,1,0] op_sel_hi:[1,1,0]
	s_delay_alu instid0(VALU_DEP_4) | instskip(NEXT) | instid1(VALU_DEP_4)
	v_fma_mix_f32 v11, v32, v52, v11 op_sel:[0,1,0] op_sel_hi:[1,1,0]
	v_fma_mix_f32 v12, v32, v52, v12 op_sel:[1,1,0] op_sel_hi:[1,1,0]
	;; [unrolled: 23-line block ×3, first 2 shown]
	s_wait_loadcnt 0x1
	v_fma_mix_f32 v7, v41, v49, v7 op_sel_hi:[1,1,0]
	v_fma_mix_f32 v8, v41, v49, v8 op_sel:[1,0,0] op_sel_hi:[1,1,0]
	v_fma_mix_f32 v11, v42, v49, v11 op_sel_hi:[1,1,0]
	v_fma_mix_f32 v12, v42, v49, v12 op_sel:[1,0,0] op_sel_hi:[1,1,0]
	s_delay_alu instid0(VALU_DEP_4) | instskip(NEXT) | instid1(VALU_DEP_4)
	v_fma_mix_f32 v7, v43, v49, v7 op_sel:[0,1,0] op_sel_hi:[1,1,0]
	v_fma_mix_f32 v8, v43, v49, v8 op_sel:[1,1,0] op_sel_hi:[1,1,0]
	s_delay_alu instid0(VALU_DEP_4) | instskip(NEXT) | instid1(VALU_DEP_4)
	v_fma_mix_f32 v11, v44, v49, v11 op_sel:[0,1,0] op_sel_hi:[1,1,0]
	v_fma_mix_f32 v12, v44, v49, v12 op_sel:[1,1,0] op_sel_hi:[1,1,0]
	s_wait_loadcnt 0x0
	v_fma_mix_f32 v7, v45, v50, v7 op_sel_hi:[1,1,0]
	v_fma_mix_f32 v13, v45, v50, v8 op_sel:[1,0,0] op_sel_hi:[1,1,0]
	v_fma_mix_f32 v11, v46, v50, v11 op_sel_hi:[1,1,0]
	v_fma_mix_f32 v12, v46, v50, v12 op_sel:[1,0,0] op_sel_hi:[1,1,0]
	s_delay_alu instid0(VALU_DEP_4) | instskip(NEXT) | instid1(VALU_DEP_4)
	v_fma_mix_f32 v8, v47, v50, v7 op_sel:[0,1,0] op_sel_hi:[1,1,0]
	v_fma_mix_f32 v24, v47, v50, v13 op_sel:[1,1,0] op_sel_hi:[1,1,0]
	s_delay_alu instid0(VALU_DEP_4) | instskip(NEXT) | instid1(VALU_DEP_4)
	v_fma_mix_f32 v23, v48, v50, v11 op_sel:[0,1,0] op_sel_hi:[1,1,0]
	v_fma_mix_f32 v22, v48, v50, v12 op_sel:[1,1,0] op_sel_hi:[1,1,0]
	s_wait_alu 0xfffe
	s_and_not1_b32 exec_lo, exec_lo, s6
	s_cbranch_execnz .LBB97_33
; %bb.34:
	s_or_b32 exec_lo, exec_lo, s6
.LBB97_35:
	s_wait_alu 0xfffe
	s_or_b32 exec_lo, exec_lo, s2
.LBB97_36:
	s_wait_alu 0xfffe
	s_or_b32 exec_lo, exec_lo, s3
.LBB97_37:
	v_mbcnt_lo_u32_b32 v0, -1, 0
	s_mov_b32 s2, -1
	s_delay_alu instid0(VALU_DEP_1) | instskip(SKIP_2) | instid1(VALU_DEP_3)
	v_xor_b32_e32 v1, 8, v0
	v_xor_b32_e32 v6, 4, v0
	;; [unrolled: 1-line block ×3, first 2 shown]
	v_cmp_gt_i32_e32 vcc_lo, 32, v1
	s_wait_alu 0xfffd
	v_cndmask_b32_e32 v1, v0, v1, vcc_lo
	v_cmp_gt_i32_e32 vcc_lo, 32, v6
	s_wait_alu 0xfffd
	v_cndmask_b32_e32 v6, v0, v6, vcc_lo
	v_cmp_gt_i32_e32 vcc_lo, 32, v10
	s_delay_alu instid0(VALU_DEP_2)
	v_lshlrev_b32_e32 v6, 2, v6
	s_wait_alu 0xfffd
	v_dual_cndmask_b32 v10, v0, v10 :: v_dual_lshlrev_b32 v1, 2, v1
	ds_bpermute_b32 v2, v1, v8
	v_lshlrev_b32_e32 v10, 2, v10
	s_wait_dscnt 0x0
	v_add_f32_e32 v2, v8, v2
	ds_bpermute_b32 v3, v1, v24
	ds_bpermute_b32 v5, v1, v23
	ds_bpermute_b32 v1, v1, v22
	ds_bpermute_b32 v7, v6, v2
	s_wait_dscnt 0x3
	v_add_f32_e32 v3, v24, v3
	s_wait_dscnt 0x2
	v_add_f32_e32 v5, v23, v5
	;; [unrolled: 2-line block ×3, first 2 shown]
	ds_bpermute_b32 v8, v6, v3
	ds_bpermute_b32 v9, v6, v5
	;; [unrolled: 1-line block ×3, first 2 shown]
	s_wait_dscnt 0x2
	v_dual_add_f32 v2, v2, v7 :: v_dual_add_f32 v3, v3, v8
	s_wait_dscnt 0x1
	v_add_f32_e32 v5, v5, v9
	ds_bpermute_b32 v7, v10, v3
	s_wait_dscnt 0x1
	v_add_f32_e32 v6, v1, v6
	ds_bpermute_b32 v1, v10, v2
	ds_bpermute_b32 v8, v10, v5
	ds_bpermute_b32 v9, v10, v6
	v_xor_b32_e32 v10, 1, v0
	s_delay_alu instid0(VALU_DEP_1) | instskip(SKIP_3) | instid1(VALU_DEP_2)
	v_cmp_gt_i32_e32 vcc_lo, 32, v10
	s_wait_alu 0xfffd
	v_cndmask_b32_e32 v0, v0, v10, vcc_lo
	v_cmp_eq_u32_e32 vcc_lo, 15, v21
	v_lshlrev_b32_e32 v10, 2, v0
	s_wait_dscnt 0x2
	v_dual_add_f32 v0, v2, v1 :: v_dual_add_f32 v1, v3, v7
	s_wait_dscnt 0x0
	v_dual_add_f32 v2, v5, v8 :: v_dual_add_f32 v3, v6, v9
	ds_bpermute_b32 v5, v10, v0
	ds_bpermute_b32 v6, v10, v1
	;; [unrolled: 1-line block ×4, first 2 shown]
	s_and_b32 exec_lo, exec_lo, vcc_lo
	s_cbranch_execz .LBB97_10
; %bb.38:
	s_load_b64 s[0:1], s[0:1], 0x50
	s_wait_dscnt 0x2
	v_dual_add_f32 v0, v0, v5 :: v_dual_add_f32 v1, v1, v6
	s_wait_dscnt 0x0
	v_dual_add_f32 v2, v2, v7 :: v_dual_add_f32 v3, v3, v8
	v_lshlrev_b32_e32 v4, 2, v4
	s_delay_alu instid0(VALU_DEP_3) | instskip(NEXT) | instid1(VALU_DEP_3)
	v_dual_mul_f32 v0, s14, v0 :: v_dual_mul_f32 v1, s14, v1
	v_dual_mul_f32 v2, s14, v2 :: v_dual_mul_f32 v3, s14, v3
	s_cmp_eq_f32 s12, 0
	s_cbranch_scc0 .LBB97_40
; %bb.39:
	v_ashrrev_i32_e32 v5, 31, v4
	s_mov_b32 s2, 0
	s_delay_alu instid0(VALU_DEP_1) | instskip(SKIP_1) | instid1(VALU_DEP_1)
	v_lshlrev_b64_e32 v[5:6], 2, v[4:5]
	s_wait_kmcnt 0x0
	v_add_co_u32 v5, vcc_lo, s0, v5
	s_wait_alu 0xfffd
	s_delay_alu instid0(VALU_DEP_2)
	v_add_co_ci_u32_e64 v6, null, s1, v6, vcc_lo
	global_store_b128 v[5:6], v[0:3], off
.LBB97_40:
	s_wait_alu 0xfffe
	s_and_not1_b32 vcc_lo, exec_lo, s2
	s_wait_alu 0xfffe
	s_cbranch_vccnz .LBB97_10
; %bb.41:
	v_ashrrev_i32_e32 v5, 31, v4
	s_delay_alu instid0(VALU_DEP_1) | instskip(SKIP_1) | instid1(VALU_DEP_1)
	v_lshlrev_b64_e32 v[4:5], 2, v[4:5]
	s_wait_kmcnt 0x0
	v_add_co_u32 v8, vcc_lo, s0, v4
	s_wait_alu 0xfffd
	s_delay_alu instid0(VALU_DEP_2)
	v_add_co_ci_u32_e64 v9, null, s1, v5, vcc_lo
	global_load_b128 v[4:7], v[8:9], off
	s_wait_loadcnt 0x0
	v_dual_fmac_f32 v0, s12, v4 :: v_dual_fmac_f32 v1, s12, v5
	v_dual_fmac_f32 v2, s12, v6 :: v_dual_fmac_f32 v3, s12, v7
	global_store_b128 v[8:9], v[0:3], off
	s_endpgm
	.section	.rodata,"a",@progbits
	.p2align	6, 0x0
	.amdhsa_kernel _ZN9rocsparseL18bsrxmvn_4x4_kernelILj128ELj16EfliDF16_DF16_fEEvT3_20rocsparse_direction_NS_24const_host_device_scalarIT1_EES1_PKS1_PKT2_SA_S7_PKT4_PKT5_S5_PT6_21rocsparse_index_base_b
		.amdhsa_group_segment_fixed_size 0
		.amdhsa_private_segment_fixed_size 0
		.amdhsa_kernarg_size 96
		.amdhsa_user_sgpr_count 2
		.amdhsa_user_sgpr_dispatch_ptr 0
		.amdhsa_user_sgpr_queue_ptr 0
		.amdhsa_user_sgpr_kernarg_segment_ptr 1
		.amdhsa_user_sgpr_dispatch_id 0
		.amdhsa_user_sgpr_private_segment_size 0
		.amdhsa_wavefront_size32 1
		.amdhsa_uses_dynamic_stack 0
		.amdhsa_enable_private_segment 0
		.amdhsa_system_sgpr_workgroup_id_x 1
		.amdhsa_system_sgpr_workgroup_id_y 0
		.amdhsa_system_sgpr_workgroup_id_z 0
		.amdhsa_system_sgpr_workgroup_info 0
		.amdhsa_system_vgpr_workitem_id 0
		.amdhsa_next_free_vgpr 61
		.amdhsa_next_free_sgpr 18
		.amdhsa_reserve_vcc 1
		.amdhsa_float_round_mode_32 0
		.amdhsa_float_round_mode_16_64 0
		.amdhsa_float_denorm_mode_32 3
		.amdhsa_float_denorm_mode_16_64 3
		.amdhsa_fp16_overflow 0
		.amdhsa_workgroup_processor_mode 1
		.amdhsa_memory_ordered 1
		.amdhsa_forward_progress 1
		.amdhsa_inst_pref_size 39
		.amdhsa_round_robin_scheduling 0
		.amdhsa_exception_fp_ieee_invalid_op 0
		.amdhsa_exception_fp_denorm_src 0
		.amdhsa_exception_fp_ieee_div_zero 0
		.amdhsa_exception_fp_ieee_overflow 0
		.amdhsa_exception_fp_ieee_underflow 0
		.amdhsa_exception_fp_ieee_inexact 0
		.amdhsa_exception_int_div_zero 0
	.end_amdhsa_kernel
	.section	.text._ZN9rocsparseL18bsrxmvn_4x4_kernelILj128ELj16EfliDF16_DF16_fEEvT3_20rocsparse_direction_NS_24const_host_device_scalarIT1_EES1_PKS1_PKT2_SA_S7_PKT4_PKT5_S5_PT6_21rocsparse_index_base_b,"axG",@progbits,_ZN9rocsparseL18bsrxmvn_4x4_kernelILj128ELj16EfliDF16_DF16_fEEvT3_20rocsparse_direction_NS_24const_host_device_scalarIT1_EES1_PKS1_PKT2_SA_S7_PKT4_PKT5_S5_PT6_21rocsparse_index_base_b,comdat
.Lfunc_end97:
	.size	_ZN9rocsparseL18bsrxmvn_4x4_kernelILj128ELj16EfliDF16_DF16_fEEvT3_20rocsparse_direction_NS_24const_host_device_scalarIT1_EES1_PKS1_PKT2_SA_S7_PKT4_PKT5_S5_PT6_21rocsparse_index_base_b, .Lfunc_end97-_ZN9rocsparseL18bsrxmvn_4x4_kernelILj128ELj16EfliDF16_DF16_fEEvT3_20rocsparse_direction_NS_24const_host_device_scalarIT1_EES1_PKS1_PKT2_SA_S7_PKT4_PKT5_S5_PT6_21rocsparse_index_base_b
                                        ; -- End function
	.set _ZN9rocsparseL18bsrxmvn_4x4_kernelILj128ELj16EfliDF16_DF16_fEEvT3_20rocsparse_direction_NS_24const_host_device_scalarIT1_EES1_PKS1_PKT2_SA_S7_PKT4_PKT5_S5_PT6_21rocsparse_index_base_b.num_vgpr, 61
	.set _ZN9rocsparseL18bsrxmvn_4x4_kernelILj128ELj16EfliDF16_DF16_fEEvT3_20rocsparse_direction_NS_24const_host_device_scalarIT1_EES1_PKS1_PKT2_SA_S7_PKT4_PKT5_S5_PT6_21rocsparse_index_base_b.num_agpr, 0
	.set _ZN9rocsparseL18bsrxmvn_4x4_kernelILj128ELj16EfliDF16_DF16_fEEvT3_20rocsparse_direction_NS_24const_host_device_scalarIT1_EES1_PKS1_PKT2_SA_S7_PKT4_PKT5_S5_PT6_21rocsparse_index_base_b.numbered_sgpr, 18
	.set _ZN9rocsparseL18bsrxmvn_4x4_kernelILj128ELj16EfliDF16_DF16_fEEvT3_20rocsparse_direction_NS_24const_host_device_scalarIT1_EES1_PKS1_PKT2_SA_S7_PKT4_PKT5_S5_PT6_21rocsparse_index_base_b.num_named_barrier, 0
	.set _ZN9rocsparseL18bsrxmvn_4x4_kernelILj128ELj16EfliDF16_DF16_fEEvT3_20rocsparse_direction_NS_24const_host_device_scalarIT1_EES1_PKS1_PKT2_SA_S7_PKT4_PKT5_S5_PT6_21rocsparse_index_base_b.private_seg_size, 0
	.set _ZN9rocsparseL18bsrxmvn_4x4_kernelILj128ELj16EfliDF16_DF16_fEEvT3_20rocsparse_direction_NS_24const_host_device_scalarIT1_EES1_PKS1_PKT2_SA_S7_PKT4_PKT5_S5_PT6_21rocsparse_index_base_b.uses_vcc, 1
	.set _ZN9rocsparseL18bsrxmvn_4x4_kernelILj128ELj16EfliDF16_DF16_fEEvT3_20rocsparse_direction_NS_24const_host_device_scalarIT1_EES1_PKS1_PKT2_SA_S7_PKT4_PKT5_S5_PT6_21rocsparse_index_base_b.uses_flat_scratch, 0
	.set _ZN9rocsparseL18bsrxmvn_4x4_kernelILj128ELj16EfliDF16_DF16_fEEvT3_20rocsparse_direction_NS_24const_host_device_scalarIT1_EES1_PKS1_PKT2_SA_S7_PKT4_PKT5_S5_PT6_21rocsparse_index_base_b.has_dyn_sized_stack, 0
	.set _ZN9rocsparseL18bsrxmvn_4x4_kernelILj128ELj16EfliDF16_DF16_fEEvT3_20rocsparse_direction_NS_24const_host_device_scalarIT1_EES1_PKS1_PKT2_SA_S7_PKT4_PKT5_S5_PT6_21rocsparse_index_base_b.has_recursion, 0
	.set _ZN9rocsparseL18bsrxmvn_4x4_kernelILj128ELj16EfliDF16_DF16_fEEvT3_20rocsparse_direction_NS_24const_host_device_scalarIT1_EES1_PKS1_PKT2_SA_S7_PKT4_PKT5_S5_PT6_21rocsparse_index_base_b.has_indirect_call, 0
	.section	.AMDGPU.csdata,"",@progbits
; Kernel info:
; codeLenInByte = 4936
; TotalNumSgprs: 20
; NumVgprs: 61
; ScratchSize: 0
; MemoryBound: 0
; FloatMode: 240
; IeeeMode: 1
; LDSByteSize: 0 bytes/workgroup (compile time only)
; SGPRBlocks: 0
; VGPRBlocks: 7
; NumSGPRsForWavesPerEU: 20
; NumVGPRsForWavesPerEU: 61
; Occupancy: 16
; WaveLimiterHint : 1
; COMPUTE_PGM_RSRC2:SCRATCH_EN: 0
; COMPUTE_PGM_RSRC2:USER_SGPR: 2
; COMPUTE_PGM_RSRC2:TRAP_HANDLER: 0
; COMPUTE_PGM_RSRC2:TGID_X_EN: 1
; COMPUTE_PGM_RSRC2:TGID_Y_EN: 0
; COMPUTE_PGM_RSRC2:TGID_Z_EN: 0
; COMPUTE_PGM_RSRC2:TIDIG_COMP_CNT: 0
	.section	.text._ZN9rocsparseL18bsrxmvn_4x4_kernelILj128ELj32EfliDF16_DF16_fEEvT3_20rocsparse_direction_NS_24const_host_device_scalarIT1_EES1_PKS1_PKT2_SA_S7_PKT4_PKT5_S5_PT6_21rocsparse_index_base_b,"axG",@progbits,_ZN9rocsparseL18bsrxmvn_4x4_kernelILj128ELj32EfliDF16_DF16_fEEvT3_20rocsparse_direction_NS_24const_host_device_scalarIT1_EES1_PKS1_PKT2_SA_S7_PKT4_PKT5_S5_PT6_21rocsparse_index_base_b,comdat
	.globl	_ZN9rocsparseL18bsrxmvn_4x4_kernelILj128ELj32EfliDF16_DF16_fEEvT3_20rocsparse_direction_NS_24const_host_device_scalarIT1_EES1_PKS1_PKT2_SA_S7_PKT4_PKT5_S5_PT6_21rocsparse_index_base_b ; -- Begin function _ZN9rocsparseL18bsrxmvn_4x4_kernelILj128ELj32EfliDF16_DF16_fEEvT3_20rocsparse_direction_NS_24const_host_device_scalarIT1_EES1_PKS1_PKT2_SA_S7_PKT4_PKT5_S5_PT6_21rocsparse_index_base_b
	.p2align	8
	.type	_ZN9rocsparseL18bsrxmvn_4x4_kernelILj128ELj32EfliDF16_DF16_fEEvT3_20rocsparse_direction_NS_24const_host_device_scalarIT1_EES1_PKS1_PKT2_SA_S7_PKT4_PKT5_S5_PT6_21rocsparse_index_base_b,@function
_ZN9rocsparseL18bsrxmvn_4x4_kernelILj128ELj32EfliDF16_DF16_fEEvT3_20rocsparse_direction_NS_24const_host_device_scalarIT1_EES1_PKS1_PKT2_SA_S7_PKT4_PKT5_S5_PT6_21rocsparse_index_base_b: ; @_ZN9rocsparseL18bsrxmvn_4x4_kernelILj128ELj32EfliDF16_DF16_fEEvT3_20rocsparse_direction_NS_24const_host_device_scalarIT1_EES1_PKS1_PKT2_SA_S7_PKT4_PKT5_S5_PT6_21rocsparse_index_base_b
; %bb.0:
	s_clause 0x2
	s_load_b64 s[16:17], s[0:1], 0x58
	s_load_b64 s[14:15], s[0:1], 0x8
	;; [unrolled: 1-line block ×3, first 2 shown]
	s_wait_kmcnt 0x0
	s_bitcmp1_b32 s17, 0
	s_cselect_b32 s2, -1, 0
	s_delay_alu instid0(SALU_CYCLE_1)
	s_and_b32 vcc_lo, exec_lo, s2
	s_xor_b32 s2, s2, -1
	s_cbranch_vccnz .LBB98_2
; %bb.1:
	s_load_b32 s14, s[14:15], 0x0
.LBB98_2:
	s_and_not1_b32 vcc_lo, exec_lo, s2
	s_cbranch_vccnz .LBB98_4
; %bb.3:
	s_load_b32 s12, s[12:13], 0x0
.LBB98_4:
	s_wait_kmcnt 0x0
	s_cmp_neq_f32 s14, 0
	s_mov_b32 s6, 0
	s_cselect_b32 s2, -1, 0
	s_cmp_neq_f32 s12, 1.0
	s_cselect_b32 s3, -1, 0
	s_delay_alu instid0(SALU_CYCLE_1) | instskip(NEXT) | instid1(SALU_CYCLE_1)
	s_or_b32 s2, s2, s3
	s_and_not1_b32 vcc_lo, exec_lo, s2
	s_cbranch_vccnz .LBB98_10
; %bb.5:
	s_clause 0x1
	s_load_b64 s[4:5], s[0:1], 0x18
	s_load_b64 s[2:3], s[0:1], 0x0
	v_lshrrev_b32_e32 v1, 5, v0
	s_delay_alu instid0(VALU_DEP_1)
	v_lshl_or_b32 v4, ttmp9, 2, v1
	s_wait_kmcnt 0x0
	s_cmp_lg_u64 s[4:5], 0
	s_cbranch_scc0 .LBB98_11
; %bb.6:
	s_load_b32 s6, s[0:1], 0x10
	s_mov_b32 s7, 0
                                        ; implicit-def: $vgpr1
	s_wait_kmcnt 0x0
	v_cmp_gt_i32_e32 vcc_lo, s6, v4
	s_mov_b32 s6, 0
	s_and_saveexec_b32 s8, vcc_lo
	s_delay_alu instid0(SALU_CYCLE_1)
	s_xor_b32 s8, exec_lo, s8
	s_cbranch_execz .LBB98_8
; %bb.7:
	v_ashrrev_i32_e32 v5, 31, v4
	s_mov_b32 s6, exec_lo
	s_delay_alu instid0(VALU_DEP_1) | instskip(NEXT) | instid1(VALU_DEP_1)
	v_lshlrev_b64_e32 v[1:2], 2, v[4:5]
	v_add_co_u32 v1, vcc_lo, s4, v1
	s_delay_alu instid0(VALU_DEP_1)
	v_add_co_ci_u32_e64 v2, null, s5, v2, vcc_lo
	global_load_b32 v1, v[1:2], off
	s_wait_loadcnt 0x0
	v_subrev_nc_u32_e32 v1, s16, v1
.LBB98_8:
	s_or_b32 exec_lo, exec_lo, s8
	s_delay_alu instid0(SALU_CYCLE_1)
	s_and_b32 vcc_lo, exec_lo, s7
	s_wait_alu 0xfffe
	s_cbranch_vccz .LBB98_12
.LBB98_9:
	v_cmp_gt_i32_e32 vcc_lo, s2, v4
	s_and_not1_b32 s2, s6, exec_lo
	s_and_b32 s4, vcc_lo, exec_lo
	s_wait_alu 0xfffe
	s_or_b32 s6, s2, s4
	s_wait_alu 0xfffe
	s_and_saveexec_b32 s2, s6
	s_cbranch_execnz .LBB98_13
.LBB98_10:
	s_endpgm
.LBB98_11:
                                        ; implicit-def: $vgpr1
	s_cbranch_execnz .LBB98_9
.LBB98_12:
	v_mov_b32_e32 v4, v1
	s_and_saveexec_b32 s2, s6
	s_cbranch_execz .LBB98_10
.LBB98_13:
	s_load_b256 s[4:11], s[0:1], 0x20
	s_delay_alu instid0(VALU_DEP_1) | instskip(SKIP_1) | instid1(VALU_DEP_2)
	v_ashrrev_i32_e32 v5, 31, v4
	v_dual_mov_b32 v22, 0 :: v_dual_and_b32 v21, 31, v0
	v_lshlrev_b64_e32 v[1:2], 3, v[4:5]
	s_wait_kmcnt 0x0
	s_delay_alu instid0(VALU_DEP_1) | instskip(SKIP_1) | instid1(VALU_DEP_2)
	v_add_co_u32 v5, vcc_lo, s4, v1
	s_wait_alu 0xfffd
	v_add_co_ci_u32_e64 v6, null, s5, v2, vcc_lo
	v_add_co_u32 v1, vcc_lo, s6, v1
	s_wait_alu 0xfffd
	v_add_co_ci_u32_e64 v2, null, s7, v2, vcc_lo
	v_add_co_u32 v3, vcc_lo, v5, 8
	global_load_b64 v[9:10], v[5:6], off
	s_wait_alu 0xfffd
	v_add_co_ci_u32_e64 v7, null, 0, v6, vcc_lo
	s_cmp_eq_u64 s[6:7], 0
	s_load_b64 s[4:5], s[0:1], 0x40
	s_cselect_b32 vcc_lo, -1, 0
	s_cmp_eq_u32 s3, 1
	s_wait_alu 0xfffe
	v_cndmask_b32_e32 v2, v2, v7, vcc_lo
	v_cndmask_b32_e32 v1, v1, v3, vcc_lo
	global_load_b64 v[2:3], v[1:2], off
	s_wait_loadcnt 0x1
	v_sub_co_u32 v0, vcc_lo, v9, s16
	s_wait_alu 0xfffd
	v_subrev_co_ci_u32_e64 v1, null, 0, v10, vcc_lo
	s_delay_alu instid0(VALU_DEP_2) | instskip(SKIP_1) | instid1(VALU_DEP_2)
	v_add_co_u32 v0, vcc_lo, v0, v21
	s_wait_alu 0xfffd
	v_add_co_ci_u32_e64 v1, null, 0, v1, vcc_lo
	s_delay_alu instid0(VALU_DEP_1) | instskip(SKIP_4) | instid1(VALU_DEP_3)
	v_lshlrev_b64_e32 v[5:6], 5, v[0:1]
	s_wait_loadcnt 0x0
	v_sub_co_u32 v2, vcc_lo, v2, s16
	s_wait_alu 0xfffd
	v_subrev_co_ci_u32_e64 v3, null, 0, v3, vcc_lo
	v_add_co_u32 v5, vcc_lo, s10, v5
	s_delay_alu instid0(VALU_DEP_2)
	v_cmp_lt_i64_e64 s2, v[0:1], v[2:3]
	s_wait_alu 0xfffd
	v_add_co_ci_u32_e64 v6, null, s11, v6, vcc_lo
	s_cbranch_scc1 .LBB98_25
; %bb.14:
	v_dual_mov_b32 v23, 0 :: v_dual_mov_b32 v24, 0
	v_mov_b32_e32 v8, 0
	s_and_saveexec_b32 s3, s2
	s_cbranch_execz .LBB98_24
; %bb.15:
	v_or_b32_e32 v7, 32, v21
	v_not_b32_e32 v12, v9
	v_not_b32_e32 v11, v10
	s_delay_alu instid0(VALU_DEP_3) | instskip(SKIP_3) | instid1(VALU_DEP_3)
	v_sub_co_u32 v7, s6, v7, s16
	s_wait_alu 0xf1ff
	v_sub_co_ci_u32_e64 v8, null, 0, 0, s6
	v_sub_co_u32 v13, s6, s16, v21
	v_add_co_u32 v7, vcc_lo, v7, v9
	s_wait_alu 0xfffd
	s_delay_alu instid0(VALU_DEP_3)
	v_add_co_ci_u32_e64 v8, null, v8, v10, vcc_lo
	s_wait_alu 0xf1ff
	v_sub_co_ci_u32_e64 v14, null, 0, 0, s6
	s_mov_b32 s6, exec_lo
	v_cmp_gt_i64_e32 vcc_lo, v[7:8], v[2:3]
	s_wait_alu 0xfffd
	v_dual_cndmask_b32 v16, v3, v8 :: v_dual_cndmask_b32 v7, v2, v7
	v_add_co_u32 v8, vcc_lo, v13, v12
	s_wait_alu 0xfffd
	v_add_co_ci_u32_e64 v11, null, v14, v11, vcc_lo
	v_mov_b32_e32 v14, v6
	s_delay_alu instid0(VALU_DEP_3) | instskip(SKIP_4) | instid1(VALU_DEP_3)
	v_add_co_u32 v15, vcc_lo, v8, v7
	v_mov_b32_e32 v8, 0
	s_wait_alu 0xfffd
	v_add_co_ci_u32_e64 v16, null, v11, v16, vcc_lo
	v_dual_mov_b32 v12, v1 :: v_dual_mov_b32 v13, v5
	v_dual_mov_b32 v24, v8 :: v_dual_and_b32 v7, 0x60, v15
	v_dual_mov_b32 v23, v8 :: v_dual_mov_b32 v22, v8
	v_mov_b32_e32 v11, v0
	s_delay_alu instid0(VALU_DEP_3)
	v_cmpx_ne_u64_e32 0x60, v[7:8]
	s_cbranch_execz .LBB98_19
; %bb.16:
	v_lshrrev_b32_e32 v7, 5, v15
	v_mov_b32_e32 v22, 0
	v_dual_mov_b32 v14, v6 :: v_dual_mov_b32 v13, v5
	v_dual_mov_b32 v12, v1 :: v_dual_mov_b32 v11, v0
	s_delay_alu instid0(VALU_DEP_4) | instskip(SKIP_2) | instid1(VALU_DEP_3)
	v_add_nc_u32_e32 v17, 1, v7
	v_lshlrev_b64_e32 v[7:8], 2, v[0:1]
	v_dual_mov_b32 v23, 0 :: v_dual_mov_b32 v24, 0
	v_and_b32_e32 v19, 3, v17
	s_delay_alu instid0(VALU_DEP_3) | instskip(SKIP_1) | instid1(VALU_DEP_4)
	v_add_co_u32 v17, vcc_lo, s8, v7
	s_wait_alu 0xfffd
	v_add_co_ci_u32_e64 v18, null, s9, v8, vcc_lo
	v_mov_b32_e32 v8, 0
	v_sub_co_u32 v19, s7, 0, v19
	s_wait_alu 0xf1ff
	v_sub_co_ci_u32_e64 v20, null, 0, 0, s7
	s_mov_b32 s7, 0
.LBB98_17:                              ; =>This Inner Loop Header: Depth=1
	global_load_b32 v7, v[17:18], off
	s_clause 0x1
	global_load_b128 v[25:28], v[13:14], off
	global_load_b128 v[29:32], v[13:14], off offset:16
	s_wait_loadcnt 0x2
	v_subrev_nc_u32_e32 v7, s16, v7
	s_delay_alu instid0(VALU_DEP_1) | instskip(NEXT) | instid1(VALU_DEP_1)
	v_lshlrev_b32_e32 v33, 2, v7
	v_ashrrev_i32_e32 v34, 31, v33
	s_delay_alu instid0(VALU_DEP_1) | instskip(SKIP_1) | instid1(VALU_DEP_1)
	v_lshlrev_b64_e32 v[33:34], 1, v[33:34]
	s_wait_kmcnt 0x0
	v_add_co_u32 v33, vcc_lo, s4, v33
	s_wait_alu 0xfffd
	s_delay_alu instid0(VALU_DEP_2)
	v_add_co_ci_u32_e64 v34, null, s5, v34, vcc_lo
	v_add_co_u32 v13, vcc_lo, 0x400, v13
	s_wait_alu 0xfffd
	v_add_co_ci_u32_e64 v14, null, 0, v14, vcc_lo
	global_load_b64 v[33:34], v[33:34], off
	v_add_co_u32 v11, vcc_lo, v11, 32
	s_wait_alu 0xfffd
	v_add_co_ci_u32_e64 v12, null, 0, v12, vcc_lo
	v_add_co_u32 v17, vcc_lo, 0x80, v17
	s_wait_alu 0xfffd
	v_add_co_ci_u32_e64 v18, null, 0, v18, vcc_lo
	;; [unrolled: 3-line block ×3, first 2 shown]
	s_delay_alu instid0(VALU_DEP_1)
	v_cmp_eq_u64_e32 vcc_lo, 0, v[19:20]
	s_wait_alu 0xfffe
	s_or_b32 s7, vcc_lo, s7
	s_wait_loadcnt 0x0
	v_fma_mix_f32 v7, v25, v33, v8 op_sel_hi:[1,1,0]
	v_fma_mix_f32 v8, v27, v33, v24 op_sel_hi:[1,1,0]
	;; [unrolled: 1-line block ×4, first 2 shown]
	s_delay_alu instid0(VALU_DEP_4) | instskip(NEXT) | instid1(VALU_DEP_4)
	v_fma_mix_f32 v7, v25, v33, v7 op_sel:[1,1,0] op_sel_hi:[1,1,0]
	v_fma_mix_f32 v8, v27, v33, v8 op_sel:[1,1,0] op_sel_hi:[1,1,0]
	s_delay_alu instid0(VALU_DEP_4) | instskip(NEXT) | instid1(VALU_DEP_4)
	v_fma_mix_f32 v23, v29, v33, v23 op_sel:[1,1,0] op_sel_hi:[1,1,0]
	v_fma_mix_f32 v22, v31, v33, v22 op_sel:[1,1,0] op_sel_hi:[1,1,0]
	s_delay_alu instid0(VALU_DEP_4) | instskip(NEXT) | instid1(VALU_DEP_4)
	v_fma_mix_f32 v7, v26, v34, v7 op_sel_hi:[1,1,0]
	v_fma_mix_f32 v24, v28, v34, v8 op_sel_hi:[1,1,0]
	s_delay_alu instid0(VALU_DEP_4) | instskip(NEXT) | instid1(VALU_DEP_4)
	v_fma_mix_f32 v23, v30, v34, v23 op_sel_hi:[1,1,0]
	v_fma_mix_f32 v22, v32, v34, v22 op_sel_hi:[1,1,0]
	s_delay_alu instid0(VALU_DEP_4) | instskip(NEXT) | instid1(VALU_DEP_4)
	v_fma_mix_f32 v8, v26, v34, v7 op_sel:[1,1,0] op_sel_hi:[1,1,0]
	v_fma_mix_f32 v24, v28, v34, v24 op_sel:[1,1,0] op_sel_hi:[1,1,0]
	s_delay_alu instid0(VALU_DEP_4) | instskip(NEXT) | instid1(VALU_DEP_4)
	v_fma_mix_f32 v23, v30, v34, v23 op_sel:[1,1,0] op_sel_hi:[1,1,0]
	v_fma_mix_f32 v22, v32, v34, v22 op_sel:[1,1,0] op_sel_hi:[1,1,0]
	s_wait_alu 0xfffe
	s_and_not1_b32 exec_lo, exec_lo, s7
	s_cbranch_execnz .LBB98_17
; %bb.18:
	s_or_b32 exec_lo, exec_lo, s7
.LBB98_19:
	s_wait_alu 0xfffe
	s_or_b32 exec_lo, exec_lo, s6
	s_delay_alu instid0(SALU_CYCLE_1)
	s_mov_b32 s6, exec_lo
	v_cmpx_lt_u64_e32 0x5f, v[15:16]
	s_cbranch_execz .LBB98_23
; %bb.20:
	v_lshlrev_b64_e32 v[15:16], 2, v[11:12]
	s_mov_b32 s7, 0
	s_delay_alu instid0(VALU_DEP_1) | instskip(SKIP_1) | instid1(VALU_DEP_2)
	v_add_co_u32 v7, vcc_lo, s8, v15
	s_wait_alu 0xfffd
	v_add_co_ci_u32_e64 v16, null, s9, v16, vcc_lo
	s_delay_alu instid0(VALU_DEP_2) | instskip(SKIP_1) | instid1(VALU_DEP_2)
	v_add_co_u32 v15, vcc_lo, 0x100, v7
	s_wait_alu 0xfffd
	v_add_co_ci_u32_e64 v16, null, 0, v16, vcc_lo
.LBB98_21:                              ; =>This Inner Loop Header: Depth=1
	s_clause 0x3
	global_load_b32 v7, v[15:16], off offset:-256
	global_load_b32 v53, v[15:16], off offset:-128
	global_load_b32 v54, v[15:16], off
	global_load_b32 v55, v[15:16], off offset:128
	s_clause 0x7
	global_load_b128 v[17:20], v[13:14], off
	global_load_b128 v[25:28], v[13:14], off offset:16
	global_load_b128 v[29:32], v[13:14], off offset:1024
	global_load_b128 v[33:36], v[13:14], off offset:1040
	global_load_b128 v[37:40], v[13:14], off offset:2048
	global_load_b128 v[41:44], v[13:14], off offset:2064
	global_load_b128 v[45:48], v[13:14], off offset:3072
	global_load_b128 v[49:52], v[13:14], off offset:3088
	s_wait_loadcnt 0xb
	v_subrev_nc_u32_e32 v7, s16, v7
	s_wait_loadcnt 0xa
	v_subrev_nc_u32_e32 v56, s16, v53
	;; [unrolled: 2-line block ×4, first 2 shown]
	v_lshlrev_b32_e32 v53, 2, v7
	v_lshlrev_b32_e32 v55, 2, v56
	;; [unrolled: 1-line block ×3, first 2 shown]
	s_delay_alu instid0(VALU_DEP_4) | instskip(NEXT) | instid1(VALU_DEP_4)
	v_lshlrev_b32_e32 v59, 2, v58
	v_ashrrev_i32_e32 v54, 31, v53
	s_delay_alu instid0(VALU_DEP_4) | instskip(NEXT) | instid1(VALU_DEP_4)
	v_ashrrev_i32_e32 v56, 31, v55
	v_ashrrev_i32_e32 v58, 31, v57
	s_delay_alu instid0(VALU_DEP_4) | instskip(NEXT) | instid1(VALU_DEP_4)
	v_ashrrev_i32_e32 v60, 31, v59
	v_lshlrev_b64_e32 v[53:54], 1, v[53:54]
	s_delay_alu instid0(VALU_DEP_4) | instskip(NEXT) | instid1(VALU_DEP_4)
	v_lshlrev_b64_e32 v[55:56], 1, v[55:56]
	v_lshlrev_b64_e32 v[57:58], 1, v[57:58]
	s_delay_alu instid0(VALU_DEP_4) | instskip(SKIP_1) | instid1(VALU_DEP_4)
	v_lshlrev_b64_e32 v[59:60], 1, v[59:60]
	s_wait_kmcnt 0x0
	v_add_co_u32 v53, vcc_lo, s4, v53
	s_wait_alu 0xfffd
	v_add_co_ci_u32_e64 v54, null, s5, v54, vcc_lo
	v_add_co_u32 v55, vcc_lo, s4, v55
	s_wait_alu 0xfffd
	v_add_co_ci_u32_e64 v56, null, s5, v56, vcc_lo
	global_load_b64 v[53:54], v[53:54], off
	v_add_co_u32 v57, vcc_lo, s4, v57
	global_load_b64 v[55:56], v[55:56], off
	s_wait_alu 0xfffd
	v_add_co_ci_u32_e64 v58, null, s5, v58, vcc_lo
	v_add_co_u32 v59, vcc_lo, s4, v59
	s_wait_alu 0xfffd
	v_add_co_ci_u32_e64 v60, null, s5, v60, vcc_lo
	global_load_b64 v[57:58], v[57:58], off
	v_add_co_u32 v13, vcc_lo, 0x1000, v13
	global_load_b64 v[59:60], v[59:60], off
	s_wait_alu 0xfffd
	v_add_co_ci_u32_e64 v14, null, 0, v14, vcc_lo
	v_add_co_u32 v11, vcc_lo, 0x80, v11
	s_wait_alu 0xfffd
	v_add_co_ci_u32_e64 v12, null, 0, v12, vcc_lo
	v_add_co_u32 v15, vcc_lo, 0x200, v15
	s_wait_alu 0xfffd
	v_add_co_ci_u32_e64 v16, null, 0, v16, vcc_lo
	s_delay_alu instid0(VALU_DEP_3)
	v_cmp_ge_i64_e32 vcc_lo, v[11:12], v[2:3]
	s_wait_alu 0xfffe
	s_or_b32 s7, vcc_lo, s7
	s_wait_loadcnt 0x3
	v_fma_mix_f32 v7, v17, v53, v8 op_sel_hi:[1,1,0]
	v_fma_mix_f32 v8, v19, v53, v24 op_sel_hi:[1,1,0]
	v_fma_mix_f32 v23, v25, v53, v23 op_sel_hi:[1,1,0]
	v_fma_mix_f32 v22, v27, v53, v22 op_sel_hi:[1,1,0]
	s_delay_alu instid0(VALU_DEP_4) | instskip(NEXT) | instid1(VALU_DEP_4)
	v_fma_mix_f32 v7, v17, v53, v7 op_sel:[1,1,0] op_sel_hi:[1,1,0]
	v_fma_mix_f32 v8, v19, v53, v8 op_sel:[1,1,0] op_sel_hi:[1,1,0]
	s_delay_alu instid0(VALU_DEP_4) | instskip(NEXT) | instid1(VALU_DEP_4)
	v_fma_mix_f32 v17, v25, v53, v23 op_sel:[1,1,0] op_sel_hi:[1,1,0]
	v_fma_mix_f32 v19, v27, v53, v22 op_sel:[1,1,0] op_sel_hi:[1,1,0]
	s_delay_alu instid0(VALU_DEP_4) | instskip(NEXT) | instid1(VALU_DEP_4)
	v_fma_mix_f32 v7, v18, v54, v7 op_sel_hi:[1,1,0]
	v_fma_mix_f32 v8, v20, v54, v8 op_sel_hi:[1,1,0]
	s_delay_alu instid0(VALU_DEP_4) | instskip(NEXT) | instid1(VALU_DEP_4)
	v_fma_mix_f32 v17, v26, v54, v17 op_sel_hi:[1,1,0]
	v_fma_mix_f32 v19, v28, v54, v19 op_sel_hi:[1,1,0]
	s_delay_alu instid0(VALU_DEP_4) | instskip(NEXT) | instid1(VALU_DEP_4)
	v_fma_mix_f32 v7, v18, v54, v7 op_sel:[1,1,0] op_sel_hi:[1,1,0]
	v_fma_mix_f32 v8, v20, v54, v8 op_sel:[1,1,0] op_sel_hi:[1,1,0]
	s_delay_alu instid0(VALU_DEP_4) | instskip(NEXT) | instid1(VALU_DEP_4)
	v_fma_mix_f32 v17, v26, v54, v17 op_sel:[1,1,0] op_sel_hi:[1,1,0]
	v_fma_mix_f32 v18, v28, v54, v19 op_sel:[1,1,0] op_sel_hi:[1,1,0]
	s_wait_loadcnt 0x2
	v_fma_mix_f32 v7, v29, v55, v7 op_sel_hi:[1,1,0]
	v_fma_mix_f32 v8, v31, v55, v8 op_sel_hi:[1,1,0]
	v_fma_mix_f32 v17, v33, v55, v17 op_sel_hi:[1,1,0]
	v_fma_mix_f32 v18, v35, v55, v18 op_sel_hi:[1,1,0]
	s_delay_alu instid0(VALU_DEP_4) | instskip(NEXT) | instid1(VALU_DEP_4)
	v_fma_mix_f32 v7, v29, v55, v7 op_sel:[1,1,0] op_sel_hi:[1,1,0]
	v_fma_mix_f32 v8, v31, v55, v8 op_sel:[1,1,0] op_sel_hi:[1,1,0]
	s_delay_alu instid0(VALU_DEP_4) | instskip(NEXT) | instid1(VALU_DEP_4)
	v_fma_mix_f32 v17, v33, v55, v17 op_sel:[1,1,0] op_sel_hi:[1,1,0]
	v_fma_mix_f32 v18, v35, v55, v18 op_sel:[1,1,0] op_sel_hi:[1,1,0]
	s_delay_alu instid0(VALU_DEP_4) | instskip(NEXT) | instid1(VALU_DEP_4)
	v_fma_mix_f32 v7, v30, v56, v7 op_sel_hi:[1,1,0]
	v_fma_mix_f32 v8, v32, v56, v8 op_sel_hi:[1,1,0]
	s_delay_alu instid0(VALU_DEP_4) | instskip(NEXT) | instid1(VALU_DEP_4)
	v_fma_mix_f32 v17, v34, v56, v17 op_sel_hi:[1,1,0]
	v_fma_mix_f32 v18, v36, v56, v18 op_sel_hi:[1,1,0]
	s_delay_alu instid0(VALU_DEP_4) | instskip(NEXT) | instid1(VALU_DEP_4)
	v_fma_mix_f32 v7, v30, v56, v7 op_sel:[1,1,0] op_sel_hi:[1,1,0]
	v_fma_mix_f32 v8, v32, v56, v8 op_sel:[1,1,0] op_sel_hi:[1,1,0]
	s_delay_alu instid0(VALU_DEP_4) | instskip(NEXT) | instid1(VALU_DEP_4)
	v_fma_mix_f32 v17, v34, v56, v17 op_sel:[1,1,0] op_sel_hi:[1,1,0]
	v_fma_mix_f32 v18, v36, v56, v18 op_sel:[1,1,0] op_sel_hi:[1,1,0]
	;; [unrolled: 23-line block ×4, first 2 shown]
	s_wait_alu 0xfffe
	s_and_not1_b32 exec_lo, exec_lo, s7
	s_cbranch_execnz .LBB98_21
; %bb.22:
	s_or_b32 exec_lo, exec_lo, s7
.LBB98_23:
	s_wait_alu 0xfffe
	s_or_b32 exec_lo, exec_lo, s6
.LBB98_24:
	s_wait_alu 0xfffe
	s_or_b32 exec_lo, exec_lo, s3
	s_cbranch_execz .LBB98_26
	s_branch .LBB98_37
.LBB98_25:
                                        ; implicit-def: $vgpr22
                                        ; implicit-def: $vgpr23
                                        ; implicit-def: $vgpr24
                                        ; implicit-def: $vgpr8
.LBB98_26:
	v_dual_mov_b32 v22, 0 :: v_dual_mov_b32 v23, 0
	v_mov_b32_e32 v24, 0
	v_mov_b32_e32 v8, 0
	s_and_saveexec_b32 s3, s2
	s_cbranch_execz .LBB98_36
; %bb.27:
	v_or_b32_e32 v7, 32, v21
	s_delay_alu instid0(VALU_DEP_1) | instskip(SKIP_3) | instid1(VALU_DEP_3)
	v_sub_co_u32 v7, s2, v7, s16
	s_wait_alu 0xf1ff
	v_sub_co_ci_u32_e64 v8, null, 0, 0, s2
	v_sub_co_u32 v11, s2, s16, v21
	v_add_co_u32 v7, vcc_lo, v7, v9
	s_wait_alu 0xfffd
	s_delay_alu instid0(VALU_DEP_3)
	v_add_co_ci_u32_e64 v8, null, v8, v10, vcc_lo
	v_not_b32_e32 v9, v9
	v_not_b32_e32 v10, v10
	s_wait_alu 0xf1ff
	v_sub_co_ci_u32_e64 v12, null, 0, 0, s2
	v_cmp_gt_i64_e32 vcc_lo, v[7:8], v[2:3]
	s_mov_b32 s2, exec_lo
	s_wait_alu 0xfffd
	v_cndmask_b32_e32 v13, v3, v8, vcc_lo
	v_cndmask_b32_e32 v7, v2, v7, vcc_lo
	v_add_co_u32 v8, vcc_lo, v11, v9
	s_wait_alu 0xfffd
	v_add_co_ci_u32_e64 v10, null, v12, v10, vcc_lo
	s_delay_alu instid0(VALU_DEP_2) | instskip(SKIP_2) | instid1(VALU_DEP_3)
	v_add_co_u32 v9, vcc_lo, v8, v7
	v_mov_b32_e32 v8, 0
	s_wait_alu 0xfffd
	v_add_co_ci_u32_e64 v10, null, v10, v13, vcc_lo
	s_delay_alu instid0(VALU_DEP_2) | instskip(SKIP_1) | instid1(VALU_DEP_2)
	v_dual_mov_b32 v22, v8 :: v_dual_and_b32 v7, 0x60, v9
	v_dual_mov_b32 v24, v8 :: v_dual_mov_b32 v23, v8
	v_cmpx_ne_u64_e32 0x60, v[7:8]
	s_cbranch_execz .LBB98_31
; %bb.28:
	v_lshrrev_b32_e32 v7, 5, v9
	v_dual_mov_b32 v23, 0 :: v_dual_mov_b32 v24, 0
	s_delay_alu instid0(VALU_DEP_2) | instskip(SKIP_1) | instid1(VALU_DEP_2)
	v_dual_mov_b32 v22, 0 :: v_dual_add_nc_u32 v11, 1, v7
	v_lshlrev_b64_e32 v[7:8], 2, v[0:1]
	v_and_b32_e32 v13, 3, v11
	s_delay_alu instid0(VALU_DEP_2) | instskip(SKIP_1) | instid1(VALU_DEP_3)
	v_add_co_u32 v11, vcc_lo, s8, v7
	s_wait_alu 0xfffd
	v_add_co_ci_u32_e64 v12, null, s9, v8, vcc_lo
	v_mov_b32_e32 v8, 0
	v_sub_co_u32 v13, s6, 0, v13
	s_wait_alu 0xf1ff
	v_sub_co_ci_u32_e64 v14, null, 0, 0, s6
	s_mov_b32 s6, 0
.LBB98_29:                              ; =>This Inner Loop Header: Depth=1
	global_load_b32 v7, v[11:12], off
	global_load_b128 v[15:18], v[5:6], off
	s_wait_loadcnt 0x1
	v_subrev_nc_u32_e32 v7, s16, v7
	s_delay_alu instid0(VALU_DEP_1) | instskip(NEXT) | instid1(VALU_DEP_1)
	v_lshlrev_b32_e32 v19, 2, v7
	v_ashrrev_i32_e32 v20, 31, v19
	s_delay_alu instid0(VALU_DEP_1) | instskip(SKIP_1) | instid1(VALU_DEP_1)
	v_lshlrev_b64_e32 v[19:20], 1, v[19:20]
	s_wait_kmcnt 0x0
	v_add_co_u32 v19, vcc_lo, s4, v19
	s_wait_alu 0xfffd
	s_delay_alu instid0(VALU_DEP_2)
	v_add_co_ci_u32_e64 v20, null, s5, v20, vcc_lo
	global_load_b64 v[19:20], v[19:20], off
	global_load_b128 v[25:28], v[5:6], off offset:16
	v_add_co_u32 v5, vcc_lo, 0x400, v5
	s_wait_alu 0xfffd
	v_add_co_ci_u32_e64 v6, null, 0, v6, vcc_lo
	v_add_co_u32 v0, vcc_lo, v0, 32
	s_wait_alu 0xfffd
	v_add_co_ci_u32_e64 v1, null, 0, v1, vcc_lo
	;; [unrolled: 3-line block ×4, first 2 shown]
	s_delay_alu instid0(VALU_DEP_1)
	v_cmp_eq_u64_e32 vcc_lo, 0, v[13:14]
	s_wait_alu 0xfffe
	s_or_b32 s6, vcc_lo, s6
	s_wait_loadcnt 0x1
	v_fma_mix_f32 v7, v15, v19, v8 op_sel_hi:[1,1,0]
	v_fma_mix_f32 v8, v15, v19, v24 op_sel:[1,0,0] op_sel_hi:[1,1,0]
	v_fma_mix_f32 v15, v16, v19, v23 op_sel_hi:[1,1,0]
	v_fma_mix_f32 v16, v16, v19, v22 op_sel:[1,0,0] op_sel_hi:[1,1,0]
	s_delay_alu instid0(VALU_DEP_4) | instskip(NEXT) | instid1(VALU_DEP_4)
	v_fma_mix_f32 v7, v17, v19, v7 op_sel:[0,1,0] op_sel_hi:[1,1,0]
	v_fma_mix_f32 v8, v17, v19, v8 op_sel:[1,1,0] op_sel_hi:[1,1,0]
	s_delay_alu instid0(VALU_DEP_4) | instskip(NEXT) | instid1(VALU_DEP_4)
	v_fma_mix_f32 v15, v18, v19, v15 op_sel:[0,1,0] op_sel_hi:[1,1,0]
	v_fma_mix_f32 v16, v18, v19, v16 op_sel:[1,1,0] op_sel_hi:[1,1,0]
	s_wait_loadcnt 0x0
	v_fma_mix_f32 v7, v25, v20, v7 op_sel_hi:[1,1,0]
	v_fma_mix_f32 v17, v25, v20, v8 op_sel:[1,0,0] op_sel_hi:[1,1,0]
	v_fma_mix_f32 v15, v26, v20, v15 op_sel_hi:[1,1,0]
	v_fma_mix_f32 v16, v26, v20, v16 op_sel:[1,0,0] op_sel_hi:[1,1,0]
	s_delay_alu instid0(VALU_DEP_4) | instskip(NEXT) | instid1(VALU_DEP_4)
	v_fma_mix_f32 v8, v27, v20, v7 op_sel:[0,1,0] op_sel_hi:[1,1,0]
	v_fma_mix_f32 v24, v27, v20, v17 op_sel:[1,1,0] op_sel_hi:[1,1,0]
	s_delay_alu instid0(VALU_DEP_4) | instskip(NEXT) | instid1(VALU_DEP_4)
	v_fma_mix_f32 v23, v28, v20, v15 op_sel:[0,1,0] op_sel_hi:[1,1,0]
	v_fma_mix_f32 v22, v28, v20, v16 op_sel:[1,1,0] op_sel_hi:[1,1,0]
	s_wait_alu 0xfffe
	s_and_not1_b32 exec_lo, exec_lo, s6
	s_cbranch_execnz .LBB98_29
; %bb.30:
	s_or_b32 exec_lo, exec_lo, s6
.LBB98_31:
	s_wait_alu 0xfffe
	s_or_b32 exec_lo, exec_lo, s2
	s_delay_alu instid0(SALU_CYCLE_1)
	s_mov_b32 s2, exec_lo
	v_cmpx_lt_u64_e32 0x5f, v[9:10]
	s_cbranch_execz .LBB98_35
; %bb.32:
	v_lshlrev_b64_e32 v[9:10], 2, v[0:1]
	s_mov_b32 s6, 0
	s_delay_alu instid0(VALU_DEP_1) | instskip(SKIP_1) | instid1(VALU_DEP_2)
	v_add_co_u32 v7, vcc_lo, s8, v9
	s_wait_alu 0xfffd
	v_add_co_ci_u32_e64 v10, null, s9, v10, vcc_lo
	s_delay_alu instid0(VALU_DEP_2) | instskip(SKIP_1) | instid1(VALU_DEP_2)
	v_add_co_u32 v9, vcc_lo, 0x100, v7
	s_wait_alu 0xfffd
	v_add_co_ci_u32_e64 v10, null, 0, v10, vcc_lo
.LBB98_33:                              ; =>This Inner Loop Header: Depth=1
	s_clause 0x3
	global_load_b32 v7, v[9:10], off offset:-256
	global_load_b32 v19, v[9:10], off offset:-128
	global_load_b32 v20, v[9:10], off
	global_load_b32 v45, v[9:10], off offset:128
	s_clause 0x6
	global_load_b128 v[11:14], v[5:6], off
	global_load_b128 v[15:18], v[5:6], off offset:16
	global_load_b128 v[25:28], v[5:6], off offset:1024
	;; [unrolled: 1-line block ×6, first 2 shown]
	s_wait_loadcnt 0xa
	v_subrev_nc_u32_e32 v7, s16, v7
	s_wait_loadcnt 0x9
	v_subrev_nc_u32_e32 v46, s16, v19
	;; [unrolled: 2-line block ×4, first 2 shown]
	v_lshlrev_b32_e32 v19, 2, v7
	v_lshlrev_b32_e32 v45, 2, v46
	;; [unrolled: 1-line block ×3, first 2 shown]
	s_delay_alu instid0(VALU_DEP_4) | instskip(NEXT) | instid1(VALU_DEP_4)
	v_lshlrev_b32_e32 v49, 2, v48
	v_ashrrev_i32_e32 v20, 31, v19
	s_delay_alu instid0(VALU_DEP_4) | instskip(NEXT) | instid1(VALU_DEP_4)
	v_ashrrev_i32_e32 v46, 31, v45
	v_ashrrev_i32_e32 v48, 31, v47
	s_delay_alu instid0(VALU_DEP_4) | instskip(NEXT) | instid1(VALU_DEP_4)
	v_ashrrev_i32_e32 v50, 31, v49
	v_lshlrev_b64_e32 v[19:20], 1, v[19:20]
	s_delay_alu instid0(VALU_DEP_4) | instskip(SKIP_1) | instid1(VALU_DEP_2)
	v_lshlrev_b64_e32 v[45:46], 1, v[45:46]
	s_wait_kmcnt 0x0
	v_add_co_u32 v19, vcc_lo, s4, v19
	s_wait_alu 0xfffd
	s_delay_alu instid0(VALU_DEP_3) | instskip(NEXT) | instid1(VALU_DEP_3)
	v_add_co_ci_u32_e64 v20, null, s5, v20, vcc_lo
	v_add_co_u32 v45, vcc_lo, s4, v45
	s_wait_alu 0xfffd
	v_add_co_ci_u32_e64 v46, null, s5, v46, vcc_lo
	s_clause 0x1
	global_load_b64 v[19:20], v[19:20], off
	global_load_b64 v[51:52], v[45:46], off
	v_lshlrev_b64_e32 v[45:46], 1, v[47:48]
	s_delay_alu instid0(VALU_DEP_1) | instskip(SKIP_1) | instid1(VALU_DEP_2)
	v_add_co_u32 v45, vcc_lo, s4, v45
	s_wait_alu 0xfffd
	v_add_co_ci_u32_e64 v46, null, s5, v46, vcc_lo
	global_load_b64 v[53:54], v[45:46], off
	v_lshlrev_b64_e32 v[45:46], 1, v[49:50]
	s_delay_alu instid0(VALU_DEP_1) | instskip(SKIP_1) | instid1(VALU_DEP_2)
	v_add_co_u32 v45, vcc_lo, s4, v45
	s_wait_alu 0xfffd
	v_add_co_ci_u32_e64 v46, null, s5, v46, vcc_lo
	global_load_b64 v[49:50], v[45:46], off
	global_load_b128 v[45:48], v[5:6], off offset:3088
	v_add_co_u32 v5, vcc_lo, 0x1000, v5
	s_wait_alu 0xfffd
	v_add_co_ci_u32_e64 v6, null, 0, v6, vcc_lo
	v_add_co_u32 v0, vcc_lo, 0x80, v0
	s_wait_alu 0xfffd
	v_add_co_ci_u32_e64 v1, null, 0, v1, vcc_lo
	v_add_co_u32 v9, vcc_lo, 0x200, v9
	s_wait_alu 0xfffd
	v_add_co_ci_u32_e64 v10, null, 0, v10, vcc_lo
	s_delay_alu instid0(VALU_DEP_3)
	v_cmp_ge_i64_e32 vcc_lo, v[0:1], v[2:3]
	s_wait_alu 0xfffe
	s_or_b32 s6, vcc_lo, s6
	s_wait_loadcnt 0x4
	v_fma_mix_f32 v7, v11, v19, v8 op_sel_hi:[1,1,0]
	v_fma_mix_f32 v8, v11, v19, v24 op_sel:[1,0,0] op_sel_hi:[1,1,0]
	v_fma_mix_f32 v11, v12, v19, v23 op_sel_hi:[1,1,0]
	v_fma_mix_f32 v12, v12, v19, v22 op_sel:[1,0,0] op_sel_hi:[1,1,0]
	s_delay_alu instid0(VALU_DEP_4) | instskip(NEXT) | instid1(VALU_DEP_4)
	v_fma_mix_f32 v7, v13, v19, v7 op_sel:[0,1,0] op_sel_hi:[1,1,0]
	v_fma_mix_f32 v8, v13, v19, v8 op_sel:[1,1,0] op_sel_hi:[1,1,0]
	s_delay_alu instid0(VALU_DEP_4) | instskip(NEXT) | instid1(VALU_DEP_4)
	v_fma_mix_f32 v11, v14, v19, v11 op_sel:[0,1,0] op_sel_hi:[1,1,0]
	v_fma_mix_f32 v12, v14, v19, v12 op_sel:[1,1,0] op_sel_hi:[1,1,0]
	s_delay_alu instid0(VALU_DEP_4) | instskip(NEXT) | instid1(VALU_DEP_4)
	v_fma_mix_f32 v7, v15, v20, v7 op_sel_hi:[1,1,0]
	v_fma_mix_f32 v8, v15, v20, v8 op_sel:[1,0,0] op_sel_hi:[1,1,0]
	s_delay_alu instid0(VALU_DEP_4) | instskip(NEXT) | instid1(VALU_DEP_4)
	v_fma_mix_f32 v11, v16, v20, v11 op_sel_hi:[1,1,0]
	v_fma_mix_f32 v12, v16, v20, v12 op_sel:[1,0,0] op_sel_hi:[1,1,0]
	s_delay_alu instid0(VALU_DEP_4) | instskip(NEXT) | instid1(VALU_DEP_4)
	v_fma_mix_f32 v7, v17, v20, v7 op_sel:[0,1,0] op_sel_hi:[1,1,0]
	v_fma_mix_f32 v8, v17, v20, v8 op_sel:[1,1,0] op_sel_hi:[1,1,0]
	s_delay_alu instid0(VALU_DEP_4) | instskip(NEXT) | instid1(VALU_DEP_4)
	v_fma_mix_f32 v11, v18, v20, v11 op_sel:[0,1,0] op_sel_hi:[1,1,0]
	v_fma_mix_f32 v12, v18, v20, v12 op_sel:[1,1,0] op_sel_hi:[1,1,0]
	s_wait_loadcnt 0x3
	v_fma_mix_f32 v7, v25, v51, v7 op_sel_hi:[1,1,0]
	v_fma_mix_f32 v8, v25, v51, v8 op_sel:[1,0,0] op_sel_hi:[1,1,0]
	v_fma_mix_f32 v11, v26, v51, v11 op_sel_hi:[1,1,0]
	v_fma_mix_f32 v12, v26, v51, v12 op_sel:[1,0,0] op_sel_hi:[1,1,0]
	s_delay_alu instid0(VALU_DEP_4) | instskip(NEXT) | instid1(VALU_DEP_4)
	v_fma_mix_f32 v7, v27, v51, v7 op_sel:[0,1,0] op_sel_hi:[1,1,0]
	v_fma_mix_f32 v8, v27, v51, v8 op_sel:[1,1,0] op_sel_hi:[1,1,0]
	s_delay_alu instid0(VALU_DEP_4) | instskip(NEXT) | instid1(VALU_DEP_4)
	v_fma_mix_f32 v11, v28, v51, v11 op_sel:[0,1,0] op_sel_hi:[1,1,0]
	v_fma_mix_f32 v12, v28, v51, v12 op_sel:[1,1,0] op_sel_hi:[1,1,0]
	s_delay_alu instid0(VALU_DEP_4) | instskip(NEXT) | instid1(VALU_DEP_4)
	v_fma_mix_f32 v7, v29, v52, v7 op_sel_hi:[1,1,0]
	v_fma_mix_f32 v8, v29, v52, v8 op_sel:[1,0,0] op_sel_hi:[1,1,0]
	s_delay_alu instid0(VALU_DEP_4) | instskip(NEXT) | instid1(VALU_DEP_4)
	v_fma_mix_f32 v11, v30, v52, v11 op_sel_hi:[1,1,0]
	v_fma_mix_f32 v12, v30, v52, v12 op_sel:[1,0,0] op_sel_hi:[1,1,0]
	s_delay_alu instid0(VALU_DEP_4) | instskip(NEXT) | instid1(VALU_DEP_4)
	v_fma_mix_f32 v7, v31, v52, v7 op_sel:[0,1,0] op_sel_hi:[1,1,0]
	v_fma_mix_f32 v8, v31, v52, v8 op_sel:[1,1,0] op_sel_hi:[1,1,0]
	s_delay_alu instid0(VALU_DEP_4) | instskip(NEXT) | instid1(VALU_DEP_4)
	v_fma_mix_f32 v11, v32, v52, v11 op_sel:[0,1,0] op_sel_hi:[1,1,0]
	v_fma_mix_f32 v12, v32, v52, v12 op_sel:[1,1,0] op_sel_hi:[1,1,0]
	;; [unrolled: 23-line block ×3, first 2 shown]
	s_wait_loadcnt 0x1
	v_fma_mix_f32 v7, v41, v49, v7 op_sel_hi:[1,1,0]
	v_fma_mix_f32 v8, v41, v49, v8 op_sel:[1,0,0] op_sel_hi:[1,1,0]
	v_fma_mix_f32 v11, v42, v49, v11 op_sel_hi:[1,1,0]
	v_fma_mix_f32 v12, v42, v49, v12 op_sel:[1,0,0] op_sel_hi:[1,1,0]
	s_delay_alu instid0(VALU_DEP_4) | instskip(NEXT) | instid1(VALU_DEP_4)
	v_fma_mix_f32 v7, v43, v49, v7 op_sel:[0,1,0] op_sel_hi:[1,1,0]
	v_fma_mix_f32 v8, v43, v49, v8 op_sel:[1,1,0] op_sel_hi:[1,1,0]
	s_delay_alu instid0(VALU_DEP_4) | instskip(NEXT) | instid1(VALU_DEP_4)
	v_fma_mix_f32 v11, v44, v49, v11 op_sel:[0,1,0] op_sel_hi:[1,1,0]
	v_fma_mix_f32 v12, v44, v49, v12 op_sel:[1,1,0] op_sel_hi:[1,1,0]
	s_wait_loadcnt 0x0
	v_fma_mix_f32 v7, v45, v50, v7 op_sel_hi:[1,1,0]
	v_fma_mix_f32 v13, v45, v50, v8 op_sel:[1,0,0] op_sel_hi:[1,1,0]
	v_fma_mix_f32 v11, v46, v50, v11 op_sel_hi:[1,1,0]
	v_fma_mix_f32 v12, v46, v50, v12 op_sel:[1,0,0] op_sel_hi:[1,1,0]
	s_delay_alu instid0(VALU_DEP_4) | instskip(NEXT) | instid1(VALU_DEP_4)
	v_fma_mix_f32 v8, v47, v50, v7 op_sel:[0,1,0] op_sel_hi:[1,1,0]
	v_fma_mix_f32 v24, v47, v50, v13 op_sel:[1,1,0] op_sel_hi:[1,1,0]
	s_delay_alu instid0(VALU_DEP_4) | instskip(NEXT) | instid1(VALU_DEP_4)
	v_fma_mix_f32 v23, v48, v50, v11 op_sel:[0,1,0] op_sel_hi:[1,1,0]
	v_fma_mix_f32 v22, v48, v50, v12 op_sel:[1,1,0] op_sel_hi:[1,1,0]
	s_wait_alu 0xfffe
	s_and_not1_b32 exec_lo, exec_lo, s6
	s_cbranch_execnz .LBB98_33
; %bb.34:
	s_or_b32 exec_lo, exec_lo, s6
.LBB98_35:
	s_wait_alu 0xfffe
	s_or_b32 exec_lo, exec_lo, s2
.LBB98_36:
	s_wait_alu 0xfffe
	s_or_b32 exec_lo, exec_lo, s3
.LBB98_37:
	v_mbcnt_lo_u32_b32 v0, -1, 0
	s_mov_b32 s2, -1
	s_delay_alu instid0(VALU_DEP_1) | instskip(SKIP_2) | instid1(VALU_DEP_3)
	v_xor_b32_e32 v1, 16, v0
	v_xor_b32_e32 v6, 8, v0
	;; [unrolled: 1-line block ×3, first 2 shown]
	v_cmp_gt_i32_e32 vcc_lo, 32, v1
	s_wait_alu 0xfffd
	v_cndmask_b32_e32 v1, v0, v1, vcc_lo
	v_cmp_gt_i32_e32 vcc_lo, 32, v6
	s_wait_alu 0xfffd
	v_cndmask_b32_e32 v6, v0, v6, vcc_lo
	v_cmp_gt_i32_e32 vcc_lo, 32, v10
	s_delay_alu instid0(VALU_DEP_2)
	v_lshlrev_b32_e32 v6, 2, v6
	s_wait_alu 0xfffd
	v_dual_cndmask_b32 v10, v0, v10 :: v_dual_lshlrev_b32 v1, 2, v1
	ds_bpermute_b32 v2, v1, v8
	v_lshlrev_b32_e32 v10, 2, v10
	s_wait_dscnt 0x0
	v_add_f32_e32 v2, v8, v2
	ds_bpermute_b32 v3, v1, v24
	ds_bpermute_b32 v5, v1, v23
	ds_bpermute_b32 v1, v1, v22
	ds_bpermute_b32 v7, v6, v2
	s_wait_dscnt 0x3
	v_add_f32_e32 v3, v24, v3
	s_wait_dscnt 0x2
	v_add_f32_e32 v5, v23, v5
	;; [unrolled: 2-line block ×3, first 2 shown]
	ds_bpermute_b32 v8, v6, v3
	ds_bpermute_b32 v9, v6, v5
	;; [unrolled: 1-line block ×3, first 2 shown]
	s_wait_dscnt 0x2
	v_dual_add_f32 v2, v2, v7 :: v_dual_add_f32 v3, v3, v8
	s_wait_dscnt 0x1
	v_add_f32_e32 v5, v5, v9
	s_wait_dscnt 0x0
	v_add_f32_e32 v1, v1, v6
	ds_bpermute_b32 v6, v10, v2
	ds_bpermute_b32 v7, v10, v3
	;; [unrolled: 1-line block ×4, first 2 shown]
	v_xor_b32_e32 v10, 2, v0
	s_delay_alu instid0(VALU_DEP_1) | instskip(SKIP_2) | instid1(VALU_DEP_1)
	v_cmp_gt_i32_e32 vcc_lo, 32, v10
	s_wait_alu 0xfffd
	v_cndmask_b32_e32 v10, v0, v10, vcc_lo
	v_lshlrev_b32_e32 v10, 2, v10
	s_wait_dscnt 0x2
	v_dual_add_f32 v2, v2, v6 :: v_dual_add_f32 v3, v3, v7
	s_wait_dscnt 0x1
	v_add_f32_e32 v5, v5, v8
	ds_bpermute_b32 v7, v10, v3
	s_wait_dscnt 0x1
	v_add_f32_e32 v6, v1, v9
	ds_bpermute_b32 v1, v10, v2
	ds_bpermute_b32 v8, v10, v5
	;; [unrolled: 1-line block ×3, first 2 shown]
	v_xor_b32_e32 v10, 1, v0
	s_delay_alu instid0(VALU_DEP_1) | instskip(SKIP_3) | instid1(VALU_DEP_2)
	v_cmp_gt_i32_e32 vcc_lo, 32, v10
	s_wait_alu 0xfffd
	v_cndmask_b32_e32 v0, v0, v10, vcc_lo
	v_cmp_eq_u32_e32 vcc_lo, 31, v21
	v_lshlrev_b32_e32 v10, 2, v0
	s_wait_dscnt 0x2
	v_dual_add_f32 v0, v2, v1 :: v_dual_add_f32 v1, v3, v7
	s_wait_dscnt 0x0
	v_dual_add_f32 v2, v5, v8 :: v_dual_add_f32 v3, v6, v9
	ds_bpermute_b32 v5, v10, v0
	ds_bpermute_b32 v6, v10, v1
	;; [unrolled: 1-line block ×4, first 2 shown]
	s_and_b32 exec_lo, exec_lo, vcc_lo
	s_cbranch_execz .LBB98_10
; %bb.38:
	s_load_b64 s[0:1], s[0:1], 0x50
	s_wait_dscnt 0x2
	v_dual_add_f32 v0, v0, v5 :: v_dual_add_f32 v1, v1, v6
	s_wait_dscnt 0x0
	v_dual_add_f32 v2, v2, v7 :: v_dual_add_f32 v3, v3, v8
	v_lshlrev_b32_e32 v4, 2, v4
	s_delay_alu instid0(VALU_DEP_3) | instskip(NEXT) | instid1(VALU_DEP_3)
	v_dual_mul_f32 v0, s14, v0 :: v_dual_mul_f32 v1, s14, v1
	v_dual_mul_f32 v2, s14, v2 :: v_dual_mul_f32 v3, s14, v3
	s_cmp_eq_f32 s12, 0
	s_cbranch_scc0 .LBB98_40
; %bb.39:
	v_ashrrev_i32_e32 v5, 31, v4
	s_mov_b32 s2, 0
	s_delay_alu instid0(VALU_DEP_1) | instskip(SKIP_1) | instid1(VALU_DEP_1)
	v_lshlrev_b64_e32 v[5:6], 2, v[4:5]
	s_wait_kmcnt 0x0
	v_add_co_u32 v5, vcc_lo, s0, v5
	s_wait_alu 0xfffd
	s_delay_alu instid0(VALU_DEP_2)
	v_add_co_ci_u32_e64 v6, null, s1, v6, vcc_lo
	global_store_b128 v[5:6], v[0:3], off
.LBB98_40:
	s_wait_alu 0xfffe
	s_and_not1_b32 vcc_lo, exec_lo, s2
	s_wait_alu 0xfffe
	s_cbranch_vccnz .LBB98_10
; %bb.41:
	v_ashrrev_i32_e32 v5, 31, v4
	s_delay_alu instid0(VALU_DEP_1) | instskip(SKIP_1) | instid1(VALU_DEP_1)
	v_lshlrev_b64_e32 v[4:5], 2, v[4:5]
	s_wait_kmcnt 0x0
	v_add_co_u32 v8, vcc_lo, s0, v4
	s_wait_alu 0xfffd
	s_delay_alu instid0(VALU_DEP_2)
	v_add_co_ci_u32_e64 v9, null, s1, v5, vcc_lo
	global_load_b128 v[4:7], v[8:9], off
	s_wait_loadcnt 0x0
	v_dual_fmac_f32 v0, s12, v4 :: v_dual_fmac_f32 v1, s12, v5
	v_dual_fmac_f32 v2, s12, v6 :: v_dual_fmac_f32 v3, s12, v7
	global_store_b128 v[8:9], v[0:3], off
	s_endpgm
	.section	.rodata,"a",@progbits
	.p2align	6, 0x0
	.amdhsa_kernel _ZN9rocsparseL18bsrxmvn_4x4_kernelILj128ELj32EfliDF16_DF16_fEEvT3_20rocsparse_direction_NS_24const_host_device_scalarIT1_EES1_PKS1_PKT2_SA_S7_PKT4_PKT5_S5_PT6_21rocsparse_index_base_b
		.amdhsa_group_segment_fixed_size 0
		.amdhsa_private_segment_fixed_size 0
		.amdhsa_kernarg_size 96
		.amdhsa_user_sgpr_count 2
		.amdhsa_user_sgpr_dispatch_ptr 0
		.amdhsa_user_sgpr_queue_ptr 0
		.amdhsa_user_sgpr_kernarg_segment_ptr 1
		.amdhsa_user_sgpr_dispatch_id 0
		.amdhsa_user_sgpr_private_segment_size 0
		.amdhsa_wavefront_size32 1
		.amdhsa_uses_dynamic_stack 0
		.amdhsa_enable_private_segment 0
		.amdhsa_system_sgpr_workgroup_id_x 1
		.amdhsa_system_sgpr_workgroup_id_y 0
		.amdhsa_system_sgpr_workgroup_id_z 0
		.amdhsa_system_sgpr_workgroup_info 0
		.amdhsa_system_vgpr_workitem_id 0
		.amdhsa_next_free_vgpr 61
		.amdhsa_next_free_sgpr 18
		.amdhsa_reserve_vcc 1
		.amdhsa_float_round_mode_32 0
		.amdhsa_float_round_mode_16_64 0
		.amdhsa_float_denorm_mode_32 3
		.amdhsa_float_denorm_mode_16_64 3
		.amdhsa_fp16_overflow 0
		.amdhsa_workgroup_processor_mode 1
		.amdhsa_memory_ordered 1
		.amdhsa_forward_progress 1
		.amdhsa_inst_pref_size 40
		.amdhsa_round_robin_scheduling 0
		.amdhsa_exception_fp_ieee_invalid_op 0
		.amdhsa_exception_fp_denorm_src 0
		.amdhsa_exception_fp_ieee_div_zero 0
		.amdhsa_exception_fp_ieee_overflow 0
		.amdhsa_exception_fp_ieee_underflow 0
		.amdhsa_exception_fp_ieee_inexact 0
		.amdhsa_exception_int_div_zero 0
	.end_amdhsa_kernel
	.section	.text._ZN9rocsparseL18bsrxmvn_4x4_kernelILj128ELj32EfliDF16_DF16_fEEvT3_20rocsparse_direction_NS_24const_host_device_scalarIT1_EES1_PKS1_PKT2_SA_S7_PKT4_PKT5_S5_PT6_21rocsparse_index_base_b,"axG",@progbits,_ZN9rocsparseL18bsrxmvn_4x4_kernelILj128ELj32EfliDF16_DF16_fEEvT3_20rocsparse_direction_NS_24const_host_device_scalarIT1_EES1_PKS1_PKT2_SA_S7_PKT4_PKT5_S5_PT6_21rocsparse_index_base_b,comdat
.Lfunc_end98:
	.size	_ZN9rocsparseL18bsrxmvn_4x4_kernelILj128ELj32EfliDF16_DF16_fEEvT3_20rocsparse_direction_NS_24const_host_device_scalarIT1_EES1_PKS1_PKT2_SA_S7_PKT4_PKT5_S5_PT6_21rocsparse_index_base_b, .Lfunc_end98-_ZN9rocsparseL18bsrxmvn_4x4_kernelILj128ELj32EfliDF16_DF16_fEEvT3_20rocsparse_direction_NS_24const_host_device_scalarIT1_EES1_PKS1_PKT2_SA_S7_PKT4_PKT5_S5_PT6_21rocsparse_index_base_b
                                        ; -- End function
	.set _ZN9rocsparseL18bsrxmvn_4x4_kernelILj128ELj32EfliDF16_DF16_fEEvT3_20rocsparse_direction_NS_24const_host_device_scalarIT1_EES1_PKS1_PKT2_SA_S7_PKT4_PKT5_S5_PT6_21rocsparse_index_base_b.num_vgpr, 61
	.set _ZN9rocsparseL18bsrxmvn_4x4_kernelILj128ELj32EfliDF16_DF16_fEEvT3_20rocsparse_direction_NS_24const_host_device_scalarIT1_EES1_PKS1_PKT2_SA_S7_PKT4_PKT5_S5_PT6_21rocsparse_index_base_b.num_agpr, 0
	.set _ZN9rocsparseL18bsrxmvn_4x4_kernelILj128ELj32EfliDF16_DF16_fEEvT3_20rocsparse_direction_NS_24const_host_device_scalarIT1_EES1_PKS1_PKT2_SA_S7_PKT4_PKT5_S5_PT6_21rocsparse_index_base_b.numbered_sgpr, 18
	.set _ZN9rocsparseL18bsrxmvn_4x4_kernelILj128ELj32EfliDF16_DF16_fEEvT3_20rocsparse_direction_NS_24const_host_device_scalarIT1_EES1_PKS1_PKT2_SA_S7_PKT4_PKT5_S5_PT6_21rocsparse_index_base_b.num_named_barrier, 0
	.set _ZN9rocsparseL18bsrxmvn_4x4_kernelILj128ELj32EfliDF16_DF16_fEEvT3_20rocsparse_direction_NS_24const_host_device_scalarIT1_EES1_PKS1_PKT2_SA_S7_PKT4_PKT5_S5_PT6_21rocsparse_index_base_b.private_seg_size, 0
	.set _ZN9rocsparseL18bsrxmvn_4x4_kernelILj128ELj32EfliDF16_DF16_fEEvT3_20rocsparse_direction_NS_24const_host_device_scalarIT1_EES1_PKS1_PKT2_SA_S7_PKT4_PKT5_S5_PT6_21rocsparse_index_base_b.uses_vcc, 1
	.set _ZN9rocsparseL18bsrxmvn_4x4_kernelILj128ELj32EfliDF16_DF16_fEEvT3_20rocsparse_direction_NS_24const_host_device_scalarIT1_EES1_PKS1_PKT2_SA_S7_PKT4_PKT5_S5_PT6_21rocsparse_index_base_b.uses_flat_scratch, 0
	.set _ZN9rocsparseL18bsrxmvn_4x4_kernelILj128ELj32EfliDF16_DF16_fEEvT3_20rocsparse_direction_NS_24const_host_device_scalarIT1_EES1_PKS1_PKT2_SA_S7_PKT4_PKT5_S5_PT6_21rocsparse_index_base_b.has_dyn_sized_stack, 0
	.set _ZN9rocsparseL18bsrxmvn_4x4_kernelILj128ELj32EfliDF16_DF16_fEEvT3_20rocsparse_direction_NS_24const_host_device_scalarIT1_EES1_PKS1_PKT2_SA_S7_PKT4_PKT5_S5_PT6_21rocsparse_index_base_b.has_recursion, 0
	.set _ZN9rocsparseL18bsrxmvn_4x4_kernelILj128ELj32EfliDF16_DF16_fEEvT3_20rocsparse_direction_NS_24const_host_device_scalarIT1_EES1_PKS1_PKT2_SA_S7_PKT4_PKT5_S5_PT6_21rocsparse_index_base_b.has_indirect_call, 0
	.section	.AMDGPU.csdata,"",@progbits
; Kernel info:
; codeLenInByte = 5060
; TotalNumSgprs: 20
; NumVgprs: 61
; ScratchSize: 0
; MemoryBound: 0
; FloatMode: 240
; IeeeMode: 1
; LDSByteSize: 0 bytes/workgroup (compile time only)
; SGPRBlocks: 0
; VGPRBlocks: 7
; NumSGPRsForWavesPerEU: 20
; NumVGPRsForWavesPerEU: 61
; Occupancy: 16
; WaveLimiterHint : 1
; COMPUTE_PGM_RSRC2:SCRATCH_EN: 0
; COMPUTE_PGM_RSRC2:USER_SGPR: 2
; COMPUTE_PGM_RSRC2:TRAP_HANDLER: 0
; COMPUTE_PGM_RSRC2:TGID_X_EN: 1
; COMPUTE_PGM_RSRC2:TGID_Y_EN: 0
; COMPUTE_PGM_RSRC2:TGID_Z_EN: 0
; COMPUTE_PGM_RSRC2:TIDIG_COMP_CNT: 0
	.section	.text._ZN9rocsparseL18bsrxmvn_4x4_kernelILj128ELj64EfliDF16_DF16_fEEvT3_20rocsparse_direction_NS_24const_host_device_scalarIT1_EES1_PKS1_PKT2_SA_S7_PKT4_PKT5_S5_PT6_21rocsparse_index_base_b,"axG",@progbits,_ZN9rocsparseL18bsrxmvn_4x4_kernelILj128ELj64EfliDF16_DF16_fEEvT3_20rocsparse_direction_NS_24const_host_device_scalarIT1_EES1_PKS1_PKT2_SA_S7_PKT4_PKT5_S5_PT6_21rocsparse_index_base_b,comdat
	.globl	_ZN9rocsparseL18bsrxmvn_4x4_kernelILj128ELj64EfliDF16_DF16_fEEvT3_20rocsparse_direction_NS_24const_host_device_scalarIT1_EES1_PKS1_PKT2_SA_S7_PKT4_PKT5_S5_PT6_21rocsparse_index_base_b ; -- Begin function _ZN9rocsparseL18bsrxmvn_4x4_kernelILj128ELj64EfliDF16_DF16_fEEvT3_20rocsparse_direction_NS_24const_host_device_scalarIT1_EES1_PKS1_PKT2_SA_S7_PKT4_PKT5_S5_PT6_21rocsparse_index_base_b
	.p2align	8
	.type	_ZN9rocsparseL18bsrxmvn_4x4_kernelILj128ELj64EfliDF16_DF16_fEEvT3_20rocsparse_direction_NS_24const_host_device_scalarIT1_EES1_PKS1_PKT2_SA_S7_PKT4_PKT5_S5_PT6_21rocsparse_index_base_b,@function
_ZN9rocsparseL18bsrxmvn_4x4_kernelILj128ELj64EfliDF16_DF16_fEEvT3_20rocsparse_direction_NS_24const_host_device_scalarIT1_EES1_PKS1_PKT2_SA_S7_PKT4_PKT5_S5_PT6_21rocsparse_index_base_b: ; @_ZN9rocsparseL18bsrxmvn_4x4_kernelILj128ELj64EfliDF16_DF16_fEEvT3_20rocsparse_direction_NS_24const_host_device_scalarIT1_EES1_PKS1_PKT2_SA_S7_PKT4_PKT5_S5_PT6_21rocsparse_index_base_b
; %bb.0:
	s_clause 0x2
	s_load_b64 s[16:17], s[0:1], 0x58
	s_load_b64 s[14:15], s[0:1], 0x8
	;; [unrolled: 1-line block ×3, first 2 shown]
	s_wait_kmcnt 0x0
	s_bitcmp1_b32 s17, 0
	s_cselect_b32 s2, -1, 0
	s_delay_alu instid0(SALU_CYCLE_1)
	s_and_b32 vcc_lo, exec_lo, s2
	s_xor_b32 s2, s2, -1
	s_cbranch_vccnz .LBB99_2
; %bb.1:
	s_load_b32 s14, s[14:15], 0x0
.LBB99_2:
	s_and_not1_b32 vcc_lo, exec_lo, s2
	s_cbranch_vccnz .LBB99_4
; %bb.3:
	s_load_b32 s12, s[12:13], 0x0
.LBB99_4:
	s_wait_kmcnt 0x0
	s_cmp_neq_f32 s14, 0
	s_mov_b32 s6, 0
	s_cselect_b32 s2, -1, 0
	s_cmp_neq_f32 s12, 1.0
	s_cselect_b32 s3, -1, 0
	s_delay_alu instid0(SALU_CYCLE_1) | instskip(NEXT) | instid1(SALU_CYCLE_1)
	s_or_b32 s2, s2, s3
	s_and_not1_b32 vcc_lo, exec_lo, s2
	s_cbranch_vccnz .LBB99_10
; %bb.5:
	s_clause 0x1
	s_load_b64 s[4:5], s[0:1], 0x18
	s_load_b64 s[2:3], s[0:1], 0x0
	v_lshrrev_b32_e32 v1, 6, v0
	s_delay_alu instid0(VALU_DEP_1)
	v_lshl_or_b32 v4, ttmp9, 1, v1
	s_wait_kmcnt 0x0
	s_cmp_lg_u64 s[4:5], 0
	s_cbranch_scc0 .LBB99_11
; %bb.6:
	s_load_b32 s6, s[0:1], 0x10
	s_mov_b32 s7, 0
                                        ; implicit-def: $vgpr1
	s_wait_kmcnt 0x0
	v_cmp_gt_i32_e32 vcc_lo, s6, v4
	s_mov_b32 s6, 0
	s_and_saveexec_b32 s8, vcc_lo
	s_delay_alu instid0(SALU_CYCLE_1)
	s_xor_b32 s8, exec_lo, s8
	s_cbranch_execz .LBB99_8
; %bb.7:
	v_ashrrev_i32_e32 v5, 31, v4
	s_mov_b32 s6, exec_lo
	s_delay_alu instid0(VALU_DEP_1) | instskip(NEXT) | instid1(VALU_DEP_1)
	v_lshlrev_b64_e32 v[1:2], 2, v[4:5]
	v_add_co_u32 v1, vcc_lo, s4, v1
	s_delay_alu instid0(VALU_DEP_1)
	v_add_co_ci_u32_e64 v2, null, s5, v2, vcc_lo
	global_load_b32 v1, v[1:2], off
	s_wait_loadcnt 0x0
	v_subrev_nc_u32_e32 v1, s16, v1
.LBB99_8:
	s_or_b32 exec_lo, exec_lo, s8
	s_delay_alu instid0(SALU_CYCLE_1)
	s_and_b32 vcc_lo, exec_lo, s7
	s_wait_alu 0xfffe
	s_cbranch_vccz .LBB99_12
.LBB99_9:
	v_cmp_gt_i32_e32 vcc_lo, s2, v4
	s_and_not1_b32 s2, s6, exec_lo
	s_and_b32 s4, vcc_lo, exec_lo
	s_wait_alu 0xfffe
	s_or_b32 s6, s2, s4
	s_wait_alu 0xfffe
	s_and_saveexec_b32 s2, s6
	s_cbranch_execnz .LBB99_13
.LBB99_10:
	s_endpgm
.LBB99_11:
                                        ; implicit-def: $vgpr1
	s_cbranch_execnz .LBB99_9
.LBB99_12:
	v_mov_b32_e32 v4, v1
	s_and_saveexec_b32 s2, s6
	s_cbranch_execz .LBB99_10
.LBB99_13:
	s_load_b256 s[4:11], s[0:1], 0x20
	s_delay_alu instid0(VALU_DEP_1) | instskip(SKIP_1) | instid1(VALU_DEP_2)
	v_ashrrev_i32_e32 v5, 31, v4
	v_dual_mov_b32 v22, 0 :: v_dual_and_b32 v21, 63, v0
	v_lshlrev_b64_e32 v[1:2], 3, v[4:5]
	s_wait_kmcnt 0x0
	s_delay_alu instid0(VALU_DEP_1) | instskip(SKIP_1) | instid1(VALU_DEP_2)
	v_add_co_u32 v5, vcc_lo, s4, v1
	s_wait_alu 0xfffd
	v_add_co_ci_u32_e64 v6, null, s5, v2, vcc_lo
	v_add_co_u32 v1, vcc_lo, s6, v1
	s_wait_alu 0xfffd
	v_add_co_ci_u32_e64 v2, null, s7, v2, vcc_lo
	v_add_co_u32 v3, vcc_lo, v5, 8
	global_load_b64 v[9:10], v[5:6], off
	s_wait_alu 0xfffd
	v_add_co_ci_u32_e64 v7, null, 0, v6, vcc_lo
	s_cmp_eq_u64 s[6:7], 0
	s_load_b64 s[4:5], s[0:1], 0x40
	s_cselect_b32 vcc_lo, -1, 0
	s_cmp_eq_u32 s3, 1
	s_wait_alu 0xfffe
	v_cndmask_b32_e32 v2, v2, v7, vcc_lo
	v_cndmask_b32_e32 v1, v1, v3, vcc_lo
	global_load_b64 v[2:3], v[1:2], off
	s_wait_loadcnt 0x1
	v_sub_co_u32 v0, vcc_lo, v9, s16
	s_wait_alu 0xfffd
	v_subrev_co_ci_u32_e64 v1, null, 0, v10, vcc_lo
	s_delay_alu instid0(VALU_DEP_2) | instskip(SKIP_1) | instid1(VALU_DEP_2)
	v_add_co_u32 v0, vcc_lo, v0, v21
	s_wait_alu 0xfffd
	v_add_co_ci_u32_e64 v1, null, 0, v1, vcc_lo
	s_delay_alu instid0(VALU_DEP_1) | instskip(SKIP_4) | instid1(VALU_DEP_3)
	v_lshlrev_b64_e32 v[5:6], 5, v[0:1]
	s_wait_loadcnt 0x0
	v_sub_co_u32 v2, vcc_lo, v2, s16
	s_wait_alu 0xfffd
	v_subrev_co_ci_u32_e64 v3, null, 0, v3, vcc_lo
	v_add_co_u32 v5, vcc_lo, s10, v5
	s_delay_alu instid0(VALU_DEP_2)
	v_cmp_lt_i64_e64 s2, v[0:1], v[2:3]
	s_wait_alu 0xfffd
	v_add_co_ci_u32_e64 v6, null, s11, v6, vcc_lo
	s_cbranch_scc1 .LBB99_25
; %bb.14:
	v_dual_mov_b32 v23, 0 :: v_dual_mov_b32 v24, 0
	v_mov_b32_e32 v8, 0
	s_and_saveexec_b32 s3, s2
	s_cbranch_execz .LBB99_24
; %bb.15:
	v_or_b32_e32 v7, 64, v21
	v_not_b32_e32 v12, v9
	v_not_b32_e32 v11, v10
	s_delay_alu instid0(VALU_DEP_3) | instskip(SKIP_3) | instid1(VALU_DEP_3)
	v_sub_co_u32 v7, s6, v7, s16
	s_wait_alu 0xf1ff
	v_sub_co_ci_u32_e64 v8, null, 0, 0, s6
	v_sub_co_u32 v13, s6, s16, v21
	v_add_co_u32 v7, vcc_lo, v7, v9
	s_wait_alu 0xfffd
	s_delay_alu instid0(VALU_DEP_3)
	v_add_co_ci_u32_e64 v8, null, v8, v10, vcc_lo
	s_wait_alu 0xf1ff
	v_sub_co_ci_u32_e64 v14, null, 0, 0, s6
	s_mov_b32 s6, exec_lo
	v_cmp_gt_i64_e32 vcc_lo, v[7:8], v[2:3]
	s_wait_alu 0xfffd
	v_dual_cndmask_b32 v16, v3, v8 :: v_dual_cndmask_b32 v7, v2, v7
	v_add_co_u32 v8, vcc_lo, v13, v12
	s_wait_alu 0xfffd
	v_add_co_ci_u32_e64 v11, null, v14, v11, vcc_lo
	v_mov_b32_e32 v14, v6
	s_delay_alu instid0(VALU_DEP_3) | instskip(SKIP_4) | instid1(VALU_DEP_3)
	v_add_co_u32 v15, vcc_lo, v8, v7
	v_mov_b32_e32 v8, 0
	s_wait_alu 0xfffd
	v_add_co_ci_u32_e64 v16, null, v11, v16, vcc_lo
	v_dual_mov_b32 v12, v1 :: v_dual_mov_b32 v13, v5
	v_dual_mov_b32 v24, v8 :: v_dual_and_b32 v7, 0xc0, v15
	v_dual_mov_b32 v23, v8 :: v_dual_mov_b32 v22, v8
	v_mov_b32_e32 v11, v0
	s_delay_alu instid0(VALU_DEP_3)
	v_cmpx_ne_u64_e32 0xc0, v[7:8]
	s_cbranch_execz .LBB99_19
; %bb.16:
	v_lshrrev_b32_e32 v7, 6, v15
	v_mov_b32_e32 v22, 0
	v_dual_mov_b32 v14, v6 :: v_dual_mov_b32 v13, v5
	v_dual_mov_b32 v12, v1 :: v_dual_mov_b32 v11, v0
	s_delay_alu instid0(VALU_DEP_4) | instskip(SKIP_2) | instid1(VALU_DEP_3)
	v_add_nc_u32_e32 v17, 1, v7
	v_lshlrev_b64_e32 v[7:8], 2, v[0:1]
	v_dual_mov_b32 v23, 0 :: v_dual_mov_b32 v24, 0
	v_and_b32_e32 v19, 3, v17
	s_delay_alu instid0(VALU_DEP_3) | instskip(SKIP_1) | instid1(VALU_DEP_4)
	v_add_co_u32 v17, vcc_lo, s8, v7
	s_wait_alu 0xfffd
	v_add_co_ci_u32_e64 v18, null, s9, v8, vcc_lo
	v_mov_b32_e32 v8, 0
	v_sub_co_u32 v19, s7, 0, v19
	s_wait_alu 0xf1ff
	v_sub_co_ci_u32_e64 v20, null, 0, 0, s7
	s_mov_b32 s7, 0
.LBB99_17:                              ; =>This Inner Loop Header: Depth=1
	global_load_b32 v7, v[17:18], off
	s_clause 0x1
	global_load_b128 v[25:28], v[13:14], off
	global_load_b128 v[29:32], v[13:14], off offset:16
	s_wait_loadcnt 0x2
	v_subrev_nc_u32_e32 v7, s16, v7
	s_delay_alu instid0(VALU_DEP_1) | instskip(NEXT) | instid1(VALU_DEP_1)
	v_lshlrev_b32_e32 v33, 2, v7
	v_ashrrev_i32_e32 v34, 31, v33
	s_delay_alu instid0(VALU_DEP_1) | instskip(SKIP_1) | instid1(VALU_DEP_1)
	v_lshlrev_b64_e32 v[33:34], 1, v[33:34]
	s_wait_kmcnt 0x0
	v_add_co_u32 v33, vcc_lo, s4, v33
	s_wait_alu 0xfffd
	s_delay_alu instid0(VALU_DEP_2)
	v_add_co_ci_u32_e64 v34, null, s5, v34, vcc_lo
	v_add_co_u32 v13, vcc_lo, 0x800, v13
	s_wait_alu 0xfffd
	v_add_co_ci_u32_e64 v14, null, 0, v14, vcc_lo
	global_load_b64 v[33:34], v[33:34], off
	v_add_co_u32 v11, vcc_lo, v11, 64
	s_wait_alu 0xfffd
	v_add_co_ci_u32_e64 v12, null, 0, v12, vcc_lo
	v_add_co_u32 v17, vcc_lo, 0x100, v17
	s_wait_alu 0xfffd
	v_add_co_ci_u32_e64 v18, null, 0, v18, vcc_lo
	;; [unrolled: 3-line block ×3, first 2 shown]
	s_delay_alu instid0(VALU_DEP_1)
	v_cmp_eq_u64_e32 vcc_lo, 0, v[19:20]
	s_wait_alu 0xfffe
	s_or_b32 s7, vcc_lo, s7
	s_wait_loadcnt 0x0
	v_fma_mix_f32 v7, v25, v33, v8 op_sel_hi:[1,1,0]
	v_fma_mix_f32 v8, v27, v33, v24 op_sel_hi:[1,1,0]
	;; [unrolled: 1-line block ×4, first 2 shown]
	s_delay_alu instid0(VALU_DEP_4) | instskip(NEXT) | instid1(VALU_DEP_4)
	v_fma_mix_f32 v7, v25, v33, v7 op_sel:[1,1,0] op_sel_hi:[1,1,0]
	v_fma_mix_f32 v8, v27, v33, v8 op_sel:[1,1,0] op_sel_hi:[1,1,0]
	s_delay_alu instid0(VALU_DEP_4) | instskip(NEXT) | instid1(VALU_DEP_4)
	v_fma_mix_f32 v23, v29, v33, v23 op_sel:[1,1,0] op_sel_hi:[1,1,0]
	v_fma_mix_f32 v22, v31, v33, v22 op_sel:[1,1,0] op_sel_hi:[1,1,0]
	s_delay_alu instid0(VALU_DEP_4) | instskip(NEXT) | instid1(VALU_DEP_4)
	v_fma_mix_f32 v7, v26, v34, v7 op_sel_hi:[1,1,0]
	v_fma_mix_f32 v24, v28, v34, v8 op_sel_hi:[1,1,0]
	s_delay_alu instid0(VALU_DEP_4) | instskip(NEXT) | instid1(VALU_DEP_4)
	v_fma_mix_f32 v23, v30, v34, v23 op_sel_hi:[1,1,0]
	v_fma_mix_f32 v22, v32, v34, v22 op_sel_hi:[1,1,0]
	s_delay_alu instid0(VALU_DEP_4) | instskip(NEXT) | instid1(VALU_DEP_4)
	v_fma_mix_f32 v8, v26, v34, v7 op_sel:[1,1,0] op_sel_hi:[1,1,0]
	v_fma_mix_f32 v24, v28, v34, v24 op_sel:[1,1,0] op_sel_hi:[1,1,0]
	s_delay_alu instid0(VALU_DEP_4) | instskip(NEXT) | instid1(VALU_DEP_4)
	v_fma_mix_f32 v23, v30, v34, v23 op_sel:[1,1,0] op_sel_hi:[1,1,0]
	v_fma_mix_f32 v22, v32, v34, v22 op_sel:[1,1,0] op_sel_hi:[1,1,0]
	s_wait_alu 0xfffe
	s_and_not1_b32 exec_lo, exec_lo, s7
	s_cbranch_execnz .LBB99_17
; %bb.18:
	s_or_b32 exec_lo, exec_lo, s7
.LBB99_19:
	s_wait_alu 0xfffe
	s_or_b32 exec_lo, exec_lo, s6
	s_delay_alu instid0(SALU_CYCLE_1)
	s_mov_b32 s6, exec_lo
	v_cmpx_lt_u64_e32 0xbf, v[15:16]
	s_cbranch_execz .LBB99_23
; %bb.20:
	v_lshlrev_b64_e32 v[15:16], 2, v[11:12]
	s_mov_b32 s7, 0
	s_delay_alu instid0(VALU_DEP_1) | instskip(SKIP_1) | instid1(VALU_DEP_2)
	v_add_co_u32 v7, vcc_lo, s8, v15
	s_wait_alu 0xfffd
	v_add_co_ci_u32_e64 v16, null, s9, v16, vcc_lo
	s_delay_alu instid0(VALU_DEP_2) | instskip(SKIP_1) | instid1(VALU_DEP_2)
	v_add_co_u32 v15, vcc_lo, 0x200, v7
	s_wait_alu 0xfffd
	v_add_co_ci_u32_e64 v16, null, 0, v16, vcc_lo
.LBB99_21:                              ; =>This Inner Loop Header: Depth=1
	s_clause 0x3
	global_load_b32 v7, v[15:16], off offset:-512
	global_load_b32 v53, v[15:16], off offset:-256
	global_load_b32 v54, v[15:16], off
	global_load_b32 v55, v[15:16], off offset:256
	s_clause 0x7
	global_load_b128 v[17:20], v[13:14], off
	global_load_b128 v[25:28], v[13:14], off offset:16
	global_load_b128 v[29:32], v[13:14], off offset:2048
	global_load_b128 v[33:36], v[13:14], off offset:2064
	global_load_b128 v[37:40], v[13:14], off offset:4096
	global_load_b128 v[41:44], v[13:14], off offset:4112
	global_load_b128 v[45:48], v[13:14], off offset:6144
	global_load_b128 v[49:52], v[13:14], off offset:6160
	s_wait_loadcnt 0xb
	v_subrev_nc_u32_e32 v7, s16, v7
	s_wait_loadcnt 0xa
	v_subrev_nc_u32_e32 v56, s16, v53
	;; [unrolled: 2-line block ×4, first 2 shown]
	v_lshlrev_b32_e32 v53, 2, v7
	v_lshlrev_b32_e32 v55, 2, v56
	;; [unrolled: 1-line block ×3, first 2 shown]
	s_delay_alu instid0(VALU_DEP_4) | instskip(NEXT) | instid1(VALU_DEP_4)
	v_lshlrev_b32_e32 v59, 2, v58
	v_ashrrev_i32_e32 v54, 31, v53
	s_delay_alu instid0(VALU_DEP_4) | instskip(NEXT) | instid1(VALU_DEP_4)
	v_ashrrev_i32_e32 v56, 31, v55
	v_ashrrev_i32_e32 v58, 31, v57
	s_delay_alu instid0(VALU_DEP_4) | instskip(NEXT) | instid1(VALU_DEP_4)
	v_ashrrev_i32_e32 v60, 31, v59
	v_lshlrev_b64_e32 v[53:54], 1, v[53:54]
	s_delay_alu instid0(VALU_DEP_4) | instskip(NEXT) | instid1(VALU_DEP_4)
	v_lshlrev_b64_e32 v[55:56], 1, v[55:56]
	v_lshlrev_b64_e32 v[57:58], 1, v[57:58]
	s_delay_alu instid0(VALU_DEP_4) | instskip(SKIP_1) | instid1(VALU_DEP_4)
	v_lshlrev_b64_e32 v[59:60], 1, v[59:60]
	s_wait_kmcnt 0x0
	v_add_co_u32 v53, vcc_lo, s4, v53
	s_wait_alu 0xfffd
	v_add_co_ci_u32_e64 v54, null, s5, v54, vcc_lo
	v_add_co_u32 v55, vcc_lo, s4, v55
	s_wait_alu 0xfffd
	v_add_co_ci_u32_e64 v56, null, s5, v56, vcc_lo
	global_load_b64 v[53:54], v[53:54], off
	v_add_co_u32 v57, vcc_lo, s4, v57
	global_load_b64 v[55:56], v[55:56], off
	s_wait_alu 0xfffd
	v_add_co_ci_u32_e64 v58, null, s5, v58, vcc_lo
	v_add_co_u32 v59, vcc_lo, s4, v59
	s_wait_alu 0xfffd
	v_add_co_ci_u32_e64 v60, null, s5, v60, vcc_lo
	global_load_b64 v[57:58], v[57:58], off
	v_add_co_u32 v13, vcc_lo, 0x2000, v13
	global_load_b64 v[59:60], v[59:60], off
	s_wait_alu 0xfffd
	v_add_co_ci_u32_e64 v14, null, 0, v14, vcc_lo
	v_add_co_u32 v11, vcc_lo, 0x100, v11
	s_wait_alu 0xfffd
	v_add_co_ci_u32_e64 v12, null, 0, v12, vcc_lo
	v_add_co_u32 v15, vcc_lo, 0x400, v15
	s_wait_alu 0xfffd
	v_add_co_ci_u32_e64 v16, null, 0, v16, vcc_lo
	s_delay_alu instid0(VALU_DEP_3)
	v_cmp_ge_i64_e32 vcc_lo, v[11:12], v[2:3]
	s_wait_alu 0xfffe
	s_or_b32 s7, vcc_lo, s7
	s_wait_loadcnt 0x3
	v_fma_mix_f32 v7, v17, v53, v8 op_sel_hi:[1,1,0]
	v_fma_mix_f32 v8, v19, v53, v24 op_sel_hi:[1,1,0]
	v_fma_mix_f32 v23, v25, v53, v23 op_sel_hi:[1,1,0]
	v_fma_mix_f32 v22, v27, v53, v22 op_sel_hi:[1,1,0]
	s_delay_alu instid0(VALU_DEP_4) | instskip(NEXT) | instid1(VALU_DEP_4)
	v_fma_mix_f32 v7, v17, v53, v7 op_sel:[1,1,0] op_sel_hi:[1,1,0]
	v_fma_mix_f32 v8, v19, v53, v8 op_sel:[1,1,0] op_sel_hi:[1,1,0]
	s_delay_alu instid0(VALU_DEP_4) | instskip(NEXT) | instid1(VALU_DEP_4)
	v_fma_mix_f32 v17, v25, v53, v23 op_sel:[1,1,0] op_sel_hi:[1,1,0]
	v_fma_mix_f32 v19, v27, v53, v22 op_sel:[1,1,0] op_sel_hi:[1,1,0]
	s_delay_alu instid0(VALU_DEP_4) | instskip(NEXT) | instid1(VALU_DEP_4)
	v_fma_mix_f32 v7, v18, v54, v7 op_sel_hi:[1,1,0]
	v_fma_mix_f32 v8, v20, v54, v8 op_sel_hi:[1,1,0]
	s_delay_alu instid0(VALU_DEP_4) | instskip(NEXT) | instid1(VALU_DEP_4)
	v_fma_mix_f32 v17, v26, v54, v17 op_sel_hi:[1,1,0]
	v_fma_mix_f32 v19, v28, v54, v19 op_sel_hi:[1,1,0]
	s_delay_alu instid0(VALU_DEP_4) | instskip(NEXT) | instid1(VALU_DEP_4)
	v_fma_mix_f32 v7, v18, v54, v7 op_sel:[1,1,0] op_sel_hi:[1,1,0]
	v_fma_mix_f32 v8, v20, v54, v8 op_sel:[1,1,0] op_sel_hi:[1,1,0]
	s_delay_alu instid0(VALU_DEP_4) | instskip(NEXT) | instid1(VALU_DEP_4)
	v_fma_mix_f32 v17, v26, v54, v17 op_sel:[1,1,0] op_sel_hi:[1,1,0]
	v_fma_mix_f32 v18, v28, v54, v19 op_sel:[1,1,0] op_sel_hi:[1,1,0]
	s_wait_loadcnt 0x2
	v_fma_mix_f32 v7, v29, v55, v7 op_sel_hi:[1,1,0]
	v_fma_mix_f32 v8, v31, v55, v8 op_sel_hi:[1,1,0]
	v_fma_mix_f32 v17, v33, v55, v17 op_sel_hi:[1,1,0]
	v_fma_mix_f32 v18, v35, v55, v18 op_sel_hi:[1,1,0]
	s_delay_alu instid0(VALU_DEP_4) | instskip(NEXT) | instid1(VALU_DEP_4)
	v_fma_mix_f32 v7, v29, v55, v7 op_sel:[1,1,0] op_sel_hi:[1,1,0]
	v_fma_mix_f32 v8, v31, v55, v8 op_sel:[1,1,0] op_sel_hi:[1,1,0]
	s_delay_alu instid0(VALU_DEP_4) | instskip(NEXT) | instid1(VALU_DEP_4)
	v_fma_mix_f32 v17, v33, v55, v17 op_sel:[1,1,0] op_sel_hi:[1,1,0]
	v_fma_mix_f32 v18, v35, v55, v18 op_sel:[1,1,0] op_sel_hi:[1,1,0]
	s_delay_alu instid0(VALU_DEP_4) | instskip(NEXT) | instid1(VALU_DEP_4)
	v_fma_mix_f32 v7, v30, v56, v7 op_sel_hi:[1,1,0]
	v_fma_mix_f32 v8, v32, v56, v8 op_sel_hi:[1,1,0]
	s_delay_alu instid0(VALU_DEP_4) | instskip(NEXT) | instid1(VALU_DEP_4)
	v_fma_mix_f32 v17, v34, v56, v17 op_sel_hi:[1,1,0]
	v_fma_mix_f32 v18, v36, v56, v18 op_sel_hi:[1,1,0]
	s_delay_alu instid0(VALU_DEP_4) | instskip(NEXT) | instid1(VALU_DEP_4)
	v_fma_mix_f32 v7, v30, v56, v7 op_sel:[1,1,0] op_sel_hi:[1,1,0]
	v_fma_mix_f32 v8, v32, v56, v8 op_sel:[1,1,0] op_sel_hi:[1,1,0]
	s_delay_alu instid0(VALU_DEP_4) | instskip(NEXT) | instid1(VALU_DEP_4)
	v_fma_mix_f32 v17, v34, v56, v17 op_sel:[1,1,0] op_sel_hi:[1,1,0]
	v_fma_mix_f32 v18, v36, v56, v18 op_sel:[1,1,0] op_sel_hi:[1,1,0]
	;; [unrolled: 23-line block ×4, first 2 shown]
	s_wait_alu 0xfffe
	s_and_not1_b32 exec_lo, exec_lo, s7
	s_cbranch_execnz .LBB99_21
; %bb.22:
	s_or_b32 exec_lo, exec_lo, s7
.LBB99_23:
	s_wait_alu 0xfffe
	s_or_b32 exec_lo, exec_lo, s6
.LBB99_24:
	s_wait_alu 0xfffe
	s_or_b32 exec_lo, exec_lo, s3
	s_cbranch_execz .LBB99_26
	s_branch .LBB99_37
.LBB99_25:
                                        ; implicit-def: $vgpr22
                                        ; implicit-def: $vgpr23
                                        ; implicit-def: $vgpr24
                                        ; implicit-def: $vgpr8
.LBB99_26:
	v_dual_mov_b32 v22, 0 :: v_dual_mov_b32 v23, 0
	v_mov_b32_e32 v24, 0
	v_mov_b32_e32 v8, 0
	s_and_saveexec_b32 s3, s2
	s_cbranch_execz .LBB99_36
; %bb.27:
	v_or_b32_e32 v7, 64, v21
	s_delay_alu instid0(VALU_DEP_1) | instskip(SKIP_3) | instid1(VALU_DEP_3)
	v_sub_co_u32 v7, s2, v7, s16
	s_wait_alu 0xf1ff
	v_sub_co_ci_u32_e64 v8, null, 0, 0, s2
	v_sub_co_u32 v11, s2, s16, v21
	v_add_co_u32 v7, vcc_lo, v7, v9
	s_wait_alu 0xfffd
	s_delay_alu instid0(VALU_DEP_3)
	v_add_co_ci_u32_e64 v8, null, v8, v10, vcc_lo
	v_not_b32_e32 v9, v9
	v_not_b32_e32 v10, v10
	s_wait_alu 0xf1ff
	v_sub_co_ci_u32_e64 v12, null, 0, 0, s2
	v_cmp_gt_i64_e32 vcc_lo, v[7:8], v[2:3]
	s_mov_b32 s2, exec_lo
	s_wait_alu 0xfffd
	v_cndmask_b32_e32 v13, v3, v8, vcc_lo
	v_cndmask_b32_e32 v7, v2, v7, vcc_lo
	v_add_co_u32 v8, vcc_lo, v11, v9
	s_wait_alu 0xfffd
	v_add_co_ci_u32_e64 v10, null, v12, v10, vcc_lo
	s_delay_alu instid0(VALU_DEP_2) | instskip(SKIP_2) | instid1(VALU_DEP_3)
	v_add_co_u32 v9, vcc_lo, v8, v7
	v_mov_b32_e32 v8, 0
	s_wait_alu 0xfffd
	v_add_co_ci_u32_e64 v10, null, v10, v13, vcc_lo
	s_delay_alu instid0(VALU_DEP_2) | instskip(SKIP_1) | instid1(VALU_DEP_2)
	v_dual_mov_b32 v22, v8 :: v_dual_and_b32 v7, 0xc0, v9
	v_dual_mov_b32 v24, v8 :: v_dual_mov_b32 v23, v8
	v_cmpx_ne_u64_e32 0xc0, v[7:8]
	s_cbranch_execz .LBB99_31
; %bb.28:
	v_lshrrev_b32_e32 v7, 6, v9
	v_dual_mov_b32 v23, 0 :: v_dual_mov_b32 v24, 0
	s_delay_alu instid0(VALU_DEP_2) | instskip(SKIP_1) | instid1(VALU_DEP_2)
	v_dual_mov_b32 v22, 0 :: v_dual_add_nc_u32 v11, 1, v7
	v_lshlrev_b64_e32 v[7:8], 2, v[0:1]
	v_and_b32_e32 v13, 3, v11
	s_delay_alu instid0(VALU_DEP_2) | instskip(SKIP_1) | instid1(VALU_DEP_3)
	v_add_co_u32 v11, vcc_lo, s8, v7
	s_wait_alu 0xfffd
	v_add_co_ci_u32_e64 v12, null, s9, v8, vcc_lo
	v_mov_b32_e32 v8, 0
	v_sub_co_u32 v13, s6, 0, v13
	s_wait_alu 0xf1ff
	v_sub_co_ci_u32_e64 v14, null, 0, 0, s6
	s_mov_b32 s6, 0
.LBB99_29:                              ; =>This Inner Loop Header: Depth=1
	global_load_b32 v7, v[11:12], off
	global_load_b128 v[15:18], v[5:6], off
	s_wait_loadcnt 0x1
	v_subrev_nc_u32_e32 v7, s16, v7
	s_delay_alu instid0(VALU_DEP_1) | instskip(NEXT) | instid1(VALU_DEP_1)
	v_lshlrev_b32_e32 v19, 2, v7
	v_ashrrev_i32_e32 v20, 31, v19
	s_delay_alu instid0(VALU_DEP_1) | instskip(SKIP_1) | instid1(VALU_DEP_1)
	v_lshlrev_b64_e32 v[19:20], 1, v[19:20]
	s_wait_kmcnt 0x0
	v_add_co_u32 v19, vcc_lo, s4, v19
	s_wait_alu 0xfffd
	s_delay_alu instid0(VALU_DEP_2)
	v_add_co_ci_u32_e64 v20, null, s5, v20, vcc_lo
	global_load_b64 v[19:20], v[19:20], off
	global_load_b128 v[25:28], v[5:6], off offset:16
	v_add_co_u32 v5, vcc_lo, 0x800, v5
	s_wait_alu 0xfffd
	v_add_co_ci_u32_e64 v6, null, 0, v6, vcc_lo
	v_add_co_u32 v0, vcc_lo, v0, 64
	s_wait_alu 0xfffd
	v_add_co_ci_u32_e64 v1, null, 0, v1, vcc_lo
	;; [unrolled: 3-line block ×4, first 2 shown]
	s_delay_alu instid0(VALU_DEP_1)
	v_cmp_eq_u64_e32 vcc_lo, 0, v[13:14]
	s_wait_alu 0xfffe
	s_or_b32 s6, vcc_lo, s6
	s_wait_loadcnt 0x1
	v_fma_mix_f32 v7, v15, v19, v8 op_sel_hi:[1,1,0]
	v_fma_mix_f32 v8, v15, v19, v24 op_sel:[1,0,0] op_sel_hi:[1,1,0]
	v_fma_mix_f32 v15, v16, v19, v23 op_sel_hi:[1,1,0]
	v_fma_mix_f32 v16, v16, v19, v22 op_sel:[1,0,0] op_sel_hi:[1,1,0]
	s_delay_alu instid0(VALU_DEP_4) | instskip(NEXT) | instid1(VALU_DEP_4)
	v_fma_mix_f32 v7, v17, v19, v7 op_sel:[0,1,0] op_sel_hi:[1,1,0]
	v_fma_mix_f32 v8, v17, v19, v8 op_sel:[1,1,0] op_sel_hi:[1,1,0]
	s_delay_alu instid0(VALU_DEP_4) | instskip(NEXT) | instid1(VALU_DEP_4)
	v_fma_mix_f32 v15, v18, v19, v15 op_sel:[0,1,0] op_sel_hi:[1,1,0]
	v_fma_mix_f32 v16, v18, v19, v16 op_sel:[1,1,0] op_sel_hi:[1,1,0]
	s_wait_loadcnt 0x0
	v_fma_mix_f32 v7, v25, v20, v7 op_sel_hi:[1,1,0]
	v_fma_mix_f32 v17, v25, v20, v8 op_sel:[1,0,0] op_sel_hi:[1,1,0]
	v_fma_mix_f32 v15, v26, v20, v15 op_sel_hi:[1,1,0]
	v_fma_mix_f32 v16, v26, v20, v16 op_sel:[1,0,0] op_sel_hi:[1,1,0]
	s_delay_alu instid0(VALU_DEP_4) | instskip(NEXT) | instid1(VALU_DEP_4)
	v_fma_mix_f32 v8, v27, v20, v7 op_sel:[0,1,0] op_sel_hi:[1,1,0]
	v_fma_mix_f32 v24, v27, v20, v17 op_sel:[1,1,0] op_sel_hi:[1,1,0]
	s_delay_alu instid0(VALU_DEP_4) | instskip(NEXT) | instid1(VALU_DEP_4)
	v_fma_mix_f32 v23, v28, v20, v15 op_sel:[0,1,0] op_sel_hi:[1,1,0]
	v_fma_mix_f32 v22, v28, v20, v16 op_sel:[1,1,0] op_sel_hi:[1,1,0]
	s_wait_alu 0xfffe
	s_and_not1_b32 exec_lo, exec_lo, s6
	s_cbranch_execnz .LBB99_29
; %bb.30:
	s_or_b32 exec_lo, exec_lo, s6
.LBB99_31:
	s_wait_alu 0xfffe
	s_or_b32 exec_lo, exec_lo, s2
	s_delay_alu instid0(SALU_CYCLE_1)
	s_mov_b32 s2, exec_lo
	v_cmpx_lt_u64_e32 0xbf, v[9:10]
	s_cbranch_execz .LBB99_35
; %bb.32:
	v_lshlrev_b64_e32 v[9:10], 2, v[0:1]
	s_mov_b32 s6, 0
	s_delay_alu instid0(VALU_DEP_1) | instskip(SKIP_1) | instid1(VALU_DEP_2)
	v_add_co_u32 v7, vcc_lo, s8, v9
	s_wait_alu 0xfffd
	v_add_co_ci_u32_e64 v10, null, s9, v10, vcc_lo
	s_delay_alu instid0(VALU_DEP_2) | instskip(SKIP_1) | instid1(VALU_DEP_2)
	v_add_co_u32 v9, vcc_lo, 0x200, v7
	s_wait_alu 0xfffd
	v_add_co_ci_u32_e64 v10, null, 0, v10, vcc_lo
.LBB99_33:                              ; =>This Inner Loop Header: Depth=1
	s_clause 0x3
	global_load_b32 v7, v[9:10], off offset:-512
	global_load_b32 v19, v[9:10], off offset:-256
	global_load_b32 v20, v[9:10], off
	global_load_b32 v45, v[9:10], off offset:256
	s_clause 0x6
	global_load_b128 v[11:14], v[5:6], off
	global_load_b128 v[15:18], v[5:6], off offset:16
	global_load_b128 v[25:28], v[5:6], off offset:2048
	;; [unrolled: 1-line block ×6, first 2 shown]
	s_wait_loadcnt 0xa
	v_subrev_nc_u32_e32 v7, s16, v7
	s_wait_loadcnt 0x9
	v_subrev_nc_u32_e32 v46, s16, v19
	;; [unrolled: 2-line block ×4, first 2 shown]
	v_lshlrev_b32_e32 v19, 2, v7
	v_lshlrev_b32_e32 v45, 2, v46
	;; [unrolled: 1-line block ×3, first 2 shown]
	s_delay_alu instid0(VALU_DEP_4) | instskip(NEXT) | instid1(VALU_DEP_4)
	v_lshlrev_b32_e32 v49, 2, v48
	v_ashrrev_i32_e32 v20, 31, v19
	s_delay_alu instid0(VALU_DEP_4) | instskip(NEXT) | instid1(VALU_DEP_4)
	v_ashrrev_i32_e32 v46, 31, v45
	v_ashrrev_i32_e32 v48, 31, v47
	s_delay_alu instid0(VALU_DEP_4) | instskip(NEXT) | instid1(VALU_DEP_4)
	v_ashrrev_i32_e32 v50, 31, v49
	v_lshlrev_b64_e32 v[19:20], 1, v[19:20]
	s_delay_alu instid0(VALU_DEP_4) | instskip(SKIP_1) | instid1(VALU_DEP_2)
	v_lshlrev_b64_e32 v[45:46], 1, v[45:46]
	s_wait_kmcnt 0x0
	v_add_co_u32 v19, vcc_lo, s4, v19
	s_wait_alu 0xfffd
	s_delay_alu instid0(VALU_DEP_3) | instskip(NEXT) | instid1(VALU_DEP_3)
	v_add_co_ci_u32_e64 v20, null, s5, v20, vcc_lo
	v_add_co_u32 v45, vcc_lo, s4, v45
	s_wait_alu 0xfffd
	v_add_co_ci_u32_e64 v46, null, s5, v46, vcc_lo
	s_clause 0x1
	global_load_b64 v[19:20], v[19:20], off
	global_load_b64 v[51:52], v[45:46], off
	v_lshlrev_b64_e32 v[45:46], 1, v[47:48]
	s_delay_alu instid0(VALU_DEP_1) | instskip(SKIP_1) | instid1(VALU_DEP_2)
	v_add_co_u32 v45, vcc_lo, s4, v45
	s_wait_alu 0xfffd
	v_add_co_ci_u32_e64 v46, null, s5, v46, vcc_lo
	global_load_b64 v[53:54], v[45:46], off
	v_lshlrev_b64_e32 v[45:46], 1, v[49:50]
	s_delay_alu instid0(VALU_DEP_1) | instskip(SKIP_1) | instid1(VALU_DEP_2)
	v_add_co_u32 v45, vcc_lo, s4, v45
	s_wait_alu 0xfffd
	v_add_co_ci_u32_e64 v46, null, s5, v46, vcc_lo
	global_load_b64 v[49:50], v[45:46], off
	global_load_b128 v[45:48], v[5:6], off offset:6160
	v_add_co_u32 v5, vcc_lo, 0x2000, v5
	s_wait_alu 0xfffd
	v_add_co_ci_u32_e64 v6, null, 0, v6, vcc_lo
	v_add_co_u32 v0, vcc_lo, 0x100, v0
	s_wait_alu 0xfffd
	v_add_co_ci_u32_e64 v1, null, 0, v1, vcc_lo
	v_add_co_u32 v9, vcc_lo, 0x400, v9
	s_wait_alu 0xfffd
	v_add_co_ci_u32_e64 v10, null, 0, v10, vcc_lo
	s_delay_alu instid0(VALU_DEP_3)
	v_cmp_ge_i64_e32 vcc_lo, v[0:1], v[2:3]
	s_wait_alu 0xfffe
	s_or_b32 s6, vcc_lo, s6
	s_wait_loadcnt 0x4
	v_fma_mix_f32 v7, v11, v19, v8 op_sel_hi:[1,1,0]
	v_fma_mix_f32 v8, v11, v19, v24 op_sel:[1,0,0] op_sel_hi:[1,1,0]
	v_fma_mix_f32 v11, v12, v19, v23 op_sel_hi:[1,1,0]
	v_fma_mix_f32 v12, v12, v19, v22 op_sel:[1,0,0] op_sel_hi:[1,1,0]
	s_delay_alu instid0(VALU_DEP_4) | instskip(NEXT) | instid1(VALU_DEP_4)
	v_fma_mix_f32 v7, v13, v19, v7 op_sel:[0,1,0] op_sel_hi:[1,1,0]
	v_fma_mix_f32 v8, v13, v19, v8 op_sel:[1,1,0] op_sel_hi:[1,1,0]
	s_delay_alu instid0(VALU_DEP_4) | instskip(NEXT) | instid1(VALU_DEP_4)
	v_fma_mix_f32 v11, v14, v19, v11 op_sel:[0,1,0] op_sel_hi:[1,1,0]
	v_fma_mix_f32 v12, v14, v19, v12 op_sel:[1,1,0] op_sel_hi:[1,1,0]
	s_delay_alu instid0(VALU_DEP_4) | instskip(NEXT) | instid1(VALU_DEP_4)
	v_fma_mix_f32 v7, v15, v20, v7 op_sel_hi:[1,1,0]
	v_fma_mix_f32 v8, v15, v20, v8 op_sel:[1,0,0] op_sel_hi:[1,1,0]
	s_delay_alu instid0(VALU_DEP_4) | instskip(NEXT) | instid1(VALU_DEP_4)
	v_fma_mix_f32 v11, v16, v20, v11 op_sel_hi:[1,1,0]
	v_fma_mix_f32 v12, v16, v20, v12 op_sel:[1,0,0] op_sel_hi:[1,1,0]
	s_delay_alu instid0(VALU_DEP_4) | instskip(NEXT) | instid1(VALU_DEP_4)
	v_fma_mix_f32 v7, v17, v20, v7 op_sel:[0,1,0] op_sel_hi:[1,1,0]
	v_fma_mix_f32 v8, v17, v20, v8 op_sel:[1,1,0] op_sel_hi:[1,1,0]
	s_delay_alu instid0(VALU_DEP_4) | instskip(NEXT) | instid1(VALU_DEP_4)
	v_fma_mix_f32 v11, v18, v20, v11 op_sel:[0,1,0] op_sel_hi:[1,1,0]
	v_fma_mix_f32 v12, v18, v20, v12 op_sel:[1,1,0] op_sel_hi:[1,1,0]
	s_wait_loadcnt 0x3
	v_fma_mix_f32 v7, v25, v51, v7 op_sel_hi:[1,1,0]
	v_fma_mix_f32 v8, v25, v51, v8 op_sel:[1,0,0] op_sel_hi:[1,1,0]
	v_fma_mix_f32 v11, v26, v51, v11 op_sel_hi:[1,1,0]
	v_fma_mix_f32 v12, v26, v51, v12 op_sel:[1,0,0] op_sel_hi:[1,1,0]
	s_delay_alu instid0(VALU_DEP_4) | instskip(NEXT) | instid1(VALU_DEP_4)
	v_fma_mix_f32 v7, v27, v51, v7 op_sel:[0,1,0] op_sel_hi:[1,1,0]
	v_fma_mix_f32 v8, v27, v51, v8 op_sel:[1,1,0] op_sel_hi:[1,1,0]
	s_delay_alu instid0(VALU_DEP_4) | instskip(NEXT) | instid1(VALU_DEP_4)
	v_fma_mix_f32 v11, v28, v51, v11 op_sel:[0,1,0] op_sel_hi:[1,1,0]
	v_fma_mix_f32 v12, v28, v51, v12 op_sel:[1,1,0] op_sel_hi:[1,1,0]
	s_delay_alu instid0(VALU_DEP_4) | instskip(NEXT) | instid1(VALU_DEP_4)
	v_fma_mix_f32 v7, v29, v52, v7 op_sel_hi:[1,1,0]
	v_fma_mix_f32 v8, v29, v52, v8 op_sel:[1,0,0] op_sel_hi:[1,1,0]
	s_delay_alu instid0(VALU_DEP_4) | instskip(NEXT) | instid1(VALU_DEP_4)
	v_fma_mix_f32 v11, v30, v52, v11 op_sel_hi:[1,1,0]
	v_fma_mix_f32 v12, v30, v52, v12 op_sel:[1,0,0] op_sel_hi:[1,1,0]
	s_delay_alu instid0(VALU_DEP_4) | instskip(NEXT) | instid1(VALU_DEP_4)
	v_fma_mix_f32 v7, v31, v52, v7 op_sel:[0,1,0] op_sel_hi:[1,1,0]
	v_fma_mix_f32 v8, v31, v52, v8 op_sel:[1,1,0] op_sel_hi:[1,1,0]
	s_delay_alu instid0(VALU_DEP_4) | instskip(NEXT) | instid1(VALU_DEP_4)
	v_fma_mix_f32 v11, v32, v52, v11 op_sel:[0,1,0] op_sel_hi:[1,1,0]
	v_fma_mix_f32 v12, v32, v52, v12 op_sel:[1,1,0] op_sel_hi:[1,1,0]
	;; [unrolled: 23-line block ×3, first 2 shown]
	s_wait_loadcnt 0x1
	v_fma_mix_f32 v7, v41, v49, v7 op_sel_hi:[1,1,0]
	v_fma_mix_f32 v8, v41, v49, v8 op_sel:[1,0,0] op_sel_hi:[1,1,0]
	v_fma_mix_f32 v11, v42, v49, v11 op_sel_hi:[1,1,0]
	v_fma_mix_f32 v12, v42, v49, v12 op_sel:[1,0,0] op_sel_hi:[1,1,0]
	s_delay_alu instid0(VALU_DEP_4) | instskip(NEXT) | instid1(VALU_DEP_4)
	v_fma_mix_f32 v7, v43, v49, v7 op_sel:[0,1,0] op_sel_hi:[1,1,0]
	v_fma_mix_f32 v8, v43, v49, v8 op_sel:[1,1,0] op_sel_hi:[1,1,0]
	s_delay_alu instid0(VALU_DEP_4) | instskip(NEXT) | instid1(VALU_DEP_4)
	v_fma_mix_f32 v11, v44, v49, v11 op_sel:[0,1,0] op_sel_hi:[1,1,0]
	v_fma_mix_f32 v12, v44, v49, v12 op_sel:[1,1,0] op_sel_hi:[1,1,0]
	s_wait_loadcnt 0x0
	v_fma_mix_f32 v7, v45, v50, v7 op_sel_hi:[1,1,0]
	v_fma_mix_f32 v13, v45, v50, v8 op_sel:[1,0,0] op_sel_hi:[1,1,0]
	v_fma_mix_f32 v11, v46, v50, v11 op_sel_hi:[1,1,0]
	v_fma_mix_f32 v12, v46, v50, v12 op_sel:[1,0,0] op_sel_hi:[1,1,0]
	s_delay_alu instid0(VALU_DEP_4) | instskip(NEXT) | instid1(VALU_DEP_4)
	v_fma_mix_f32 v8, v47, v50, v7 op_sel:[0,1,0] op_sel_hi:[1,1,0]
	v_fma_mix_f32 v24, v47, v50, v13 op_sel:[1,1,0] op_sel_hi:[1,1,0]
	s_delay_alu instid0(VALU_DEP_4) | instskip(NEXT) | instid1(VALU_DEP_4)
	v_fma_mix_f32 v23, v48, v50, v11 op_sel:[0,1,0] op_sel_hi:[1,1,0]
	v_fma_mix_f32 v22, v48, v50, v12 op_sel:[1,1,0] op_sel_hi:[1,1,0]
	s_wait_alu 0xfffe
	s_and_not1_b32 exec_lo, exec_lo, s6
	s_cbranch_execnz .LBB99_33
; %bb.34:
	s_or_b32 exec_lo, exec_lo, s6
.LBB99_35:
	s_wait_alu 0xfffe
	s_or_b32 exec_lo, exec_lo, s2
.LBB99_36:
	s_wait_alu 0xfffe
	s_or_b32 exec_lo, exec_lo, s3
.LBB99_37:
	v_mbcnt_lo_u32_b32 v0, -1, 0
	s_mov_b32 s2, -1
	s_delay_alu instid0(VALU_DEP_1) | instskip(SKIP_2) | instid1(VALU_DEP_3)
	v_or_b32_e32 v1, 32, v0
	v_xor_b32_e32 v6, 16, v0
	v_xor_b32_e32 v10, 8, v0
	v_cmp_gt_i32_e32 vcc_lo, 32, v1
	s_wait_alu 0xfffd
	v_cndmask_b32_e32 v1, v0, v1, vcc_lo
	v_cmp_gt_i32_e32 vcc_lo, 32, v6
	s_wait_alu 0xfffd
	v_cndmask_b32_e32 v6, v0, v6, vcc_lo
	v_cmp_gt_i32_e32 vcc_lo, 32, v10
	s_delay_alu instid0(VALU_DEP_2)
	v_lshlrev_b32_e32 v6, 2, v6
	s_wait_alu 0xfffd
	v_dual_cndmask_b32 v10, v0, v10 :: v_dual_lshlrev_b32 v1, 2, v1
	ds_bpermute_b32 v2, v1, v8
	v_lshlrev_b32_e32 v10, 2, v10
	s_wait_dscnt 0x0
	v_add_f32_e32 v2, v8, v2
	ds_bpermute_b32 v3, v1, v24
	ds_bpermute_b32 v5, v1, v23
	;; [unrolled: 1-line block ×4, first 2 shown]
	s_wait_dscnt 0x3
	v_add_f32_e32 v3, v24, v3
	s_wait_dscnt 0x2
	v_add_f32_e32 v5, v23, v5
	;; [unrolled: 2-line block ×3, first 2 shown]
	ds_bpermute_b32 v8, v6, v3
	ds_bpermute_b32 v9, v6, v5
	;; [unrolled: 1-line block ×3, first 2 shown]
	s_wait_dscnt 0x2
	v_dual_add_f32 v2, v2, v7 :: v_dual_add_f32 v3, v3, v8
	s_wait_dscnt 0x1
	v_add_f32_e32 v5, v5, v9
	s_wait_dscnt 0x0
	v_add_f32_e32 v1, v1, v6
	ds_bpermute_b32 v6, v10, v2
	ds_bpermute_b32 v7, v10, v3
	;; [unrolled: 1-line block ×4, first 2 shown]
	v_xor_b32_e32 v10, 4, v0
	s_delay_alu instid0(VALU_DEP_1) | instskip(SKIP_2) | instid1(VALU_DEP_1)
	v_cmp_gt_i32_e32 vcc_lo, 32, v10
	s_wait_alu 0xfffd
	v_cndmask_b32_e32 v10, v0, v10, vcc_lo
	v_lshlrev_b32_e32 v10, 2, v10
	s_wait_dscnt 0x2
	v_dual_add_f32 v2, v2, v6 :: v_dual_add_f32 v3, v3, v7
	s_wait_dscnt 0x1
	v_add_f32_e32 v5, v5, v8
	s_wait_dscnt 0x0
	v_add_f32_e32 v1, v1, v9
	ds_bpermute_b32 v6, v10, v2
	ds_bpermute_b32 v7, v10, v3
	;; [unrolled: 1-line block ×4, first 2 shown]
	v_xor_b32_e32 v10, 2, v0
	s_delay_alu instid0(VALU_DEP_1) | instskip(SKIP_2) | instid1(VALU_DEP_1)
	v_cmp_gt_i32_e32 vcc_lo, 32, v10
	s_wait_alu 0xfffd
	v_cndmask_b32_e32 v10, v0, v10, vcc_lo
	v_lshlrev_b32_e32 v10, 2, v10
	s_wait_dscnt 0x2
	v_dual_add_f32 v2, v2, v6 :: v_dual_add_f32 v3, v3, v7
	s_wait_dscnt 0x1
	v_add_f32_e32 v5, v5, v8
	ds_bpermute_b32 v7, v10, v3
	s_wait_dscnt 0x1
	v_add_f32_e32 v6, v1, v9
	ds_bpermute_b32 v1, v10, v2
	ds_bpermute_b32 v8, v10, v5
	;; [unrolled: 1-line block ×3, first 2 shown]
	v_xor_b32_e32 v10, 1, v0
	s_delay_alu instid0(VALU_DEP_1) | instskip(SKIP_3) | instid1(VALU_DEP_2)
	v_cmp_gt_i32_e32 vcc_lo, 32, v10
	s_wait_alu 0xfffd
	v_cndmask_b32_e32 v0, v0, v10, vcc_lo
	v_cmp_eq_u32_e32 vcc_lo, 63, v21
	v_lshlrev_b32_e32 v10, 2, v0
	s_wait_dscnt 0x2
	v_dual_add_f32 v0, v2, v1 :: v_dual_add_f32 v1, v3, v7
	s_wait_dscnt 0x0
	v_dual_add_f32 v2, v5, v8 :: v_dual_add_f32 v3, v6, v9
	ds_bpermute_b32 v5, v10, v0
	ds_bpermute_b32 v6, v10, v1
	;; [unrolled: 1-line block ×4, first 2 shown]
	s_and_b32 exec_lo, exec_lo, vcc_lo
	s_cbranch_execz .LBB99_10
; %bb.38:
	s_load_b64 s[0:1], s[0:1], 0x50
	s_wait_dscnt 0x2
	v_dual_add_f32 v0, v0, v5 :: v_dual_add_f32 v1, v1, v6
	s_wait_dscnt 0x0
	v_dual_add_f32 v2, v2, v7 :: v_dual_add_f32 v3, v3, v8
	v_lshlrev_b32_e32 v4, 2, v4
	s_delay_alu instid0(VALU_DEP_3) | instskip(NEXT) | instid1(VALU_DEP_3)
	v_dual_mul_f32 v0, s14, v0 :: v_dual_mul_f32 v1, s14, v1
	v_dual_mul_f32 v2, s14, v2 :: v_dual_mul_f32 v3, s14, v3
	s_cmp_eq_f32 s12, 0
	s_cbranch_scc0 .LBB99_40
; %bb.39:
	v_ashrrev_i32_e32 v5, 31, v4
	s_mov_b32 s2, 0
	s_delay_alu instid0(VALU_DEP_1) | instskip(SKIP_1) | instid1(VALU_DEP_1)
	v_lshlrev_b64_e32 v[5:6], 2, v[4:5]
	s_wait_kmcnt 0x0
	v_add_co_u32 v5, vcc_lo, s0, v5
	s_wait_alu 0xfffd
	s_delay_alu instid0(VALU_DEP_2)
	v_add_co_ci_u32_e64 v6, null, s1, v6, vcc_lo
	global_store_b128 v[5:6], v[0:3], off
.LBB99_40:
	s_wait_alu 0xfffe
	s_and_not1_b32 vcc_lo, exec_lo, s2
	s_wait_alu 0xfffe
	s_cbranch_vccnz .LBB99_10
; %bb.41:
	v_ashrrev_i32_e32 v5, 31, v4
	s_delay_alu instid0(VALU_DEP_1) | instskip(SKIP_1) | instid1(VALU_DEP_1)
	v_lshlrev_b64_e32 v[4:5], 2, v[4:5]
	s_wait_kmcnt 0x0
	v_add_co_u32 v8, vcc_lo, s0, v4
	s_wait_alu 0xfffd
	s_delay_alu instid0(VALU_DEP_2)
	v_add_co_ci_u32_e64 v9, null, s1, v5, vcc_lo
	global_load_b128 v[4:7], v[8:9], off
	s_wait_loadcnt 0x0
	v_dual_fmac_f32 v0, s12, v4 :: v_dual_fmac_f32 v1, s12, v5
	v_dual_fmac_f32 v2, s12, v6 :: v_dual_fmac_f32 v3, s12, v7
	global_store_b128 v[8:9], v[0:3], off
	s_endpgm
	.section	.rodata,"a",@progbits
	.p2align	6, 0x0
	.amdhsa_kernel _ZN9rocsparseL18bsrxmvn_4x4_kernelILj128ELj64EfliDF16_DF16_fEEvT3_20rocsparse_direction_NS_24const_host_device_scalarIT1_EES1_PKS1_PKT2_SA_S7_PKT4_PKT5_S5_PT6_21rocsparse_index_base_b
		.amdhsa_group_segment_fixed_size 0
		.amdhsa_private_segment_fixed_size 0
		.amdhsa_kernarg_size 96
		.amdhsa_user_sgpr_count 2
		.amdhsa_user_sgpr_dispatch_ptr 0
		.amdhsa_user_sgpr_queue_ptr 0
		.amdhsa_user_sgpr_kernarg_segment_ptr 1
		.amdhsa_user_sgpr_dispatch_id 0
		.amdhsa_user_sgpr_private_segment_size 0
		.amdhsa_wavefront_size32 1
		.amdhsa_uses_dynamic_stack 0
		.amdhsa_enable_private_segment 0
		.amdhsa_system_sgpr_workgroup_id_x 1
		.amdhsa_system_sgpr_workgroup_id_y 0
		.amdhsa_system_sgpr_workgroup_id_z 0
		.amdhsa_system_sgpr_workgroup_info 0
		.amdhsa_system_vgpr_workitem_id 0
		.amdhsa_next_free_vgpr 61
		.amdhsa_next_free_sgpr 18
		.amdhsa_reserve_vcc 1
		.amdhsa_float_round_mode_32 0
		.amdhsa_float_round_mode_16_64 0
		.amdhsa_float_denorm_mode_32 3
		.amdhsa_float_denorm_mode_16_64 3
		.amdhsa_fp16_overflow 0
		.amdhsa_workgroup_processor_mode 1
		.amdhsa_memory_ordered 1
		.amdhsa_forward_progress 1
		.amdhsa_inst_pref_size 41
		.amdhsa_round_robin_scheduling 0
		.amdhsa_exception_fp_ieee_invalid_op 0
		.amdhsa_exception_fp_denorm_src 0
		.amdhsa_exception_fp_ieee_div_zero 0
		.amdhsa_exception_fp_ieee_overflow 0
		.amdhsa_exception_fp_ieee_underflow 0
		.amdhsa_exception_fp_ieee_inexact 0
		.amdhsa_exception_int_div_zero 0
	.end_amdhsa_kernel
	.section	.text._ZN9rocsparseL18bsrxmvn_4x4_kernelILj128ELj64EfliDF16_DF16_fEEvT3_20rocsparse_direction_NS_24const_host_device_scalarIT1_EES1_PKS1_PKT2_SA_S7_PKT4_PKT5_S5_PT6_21rocsparse_index_base_b,"axG",@progbits,_ZN9rocsparseL18bsrxmvn_4x4_kernelILj128ELj64EfliDF16_DF16_fEEvT3_20rocsparse_direction_NS_24const_host_device_scalarIT1_EES1_PKS1_PKT2_SA_S7_PKT4_PKT5_S5_PT6_21rocsparse_index_base_b,comdat
.Lfunc_end99:
	.size	_ZN9rocsparseL18bsrxmvn_4x4_kernelILj128ELj64EfliDF16_DF16_fEEvT3_20rocsparse_direction_NS_24const_host_device_scalarIT1_EES1_PKS1_PKT2_SA_S7_PKT4_PKT5_S5_PT6_21rocsparse_index_base_b, .Lfunc_end99-_ZN9rocsparseL18bsrxmvn_4x4_kernelILj128ELj64EfliDF16_DF16_fEEvT3_20rocsparse_direction_NS_24const_host_device_scalarIT1_EES1_PKS1_PKT2_SA_S7_PKT4_PKT5_S5_PT6_21rocsparse_index_base_b
                                        ; -- End function
	.set _ZN9rocsparseL18bsrxmvn_4x4_kernelILj128ELj64EfliDF16_DF16_fEEvT3_20rocsparse_direction_NS_24const_host_device_scalarIT1_EES1_PKS1_PKT2_SA_S7_PKT4_PKT5_S5_PT6_21rocsparse_index_base_b.num_vgpr, 61
	.set _ZN9rocsparseL18bsrxmvn_4x4_kernelILj128ELj64EfliDF16_DF16_fEEvT3_20rocsparse_direction_NS_24const_host_device_scalarIT1_EES1_PKS1_PKT2_SA_S7_PKT4_PKT5_S5_PT6_21rocsparse_index_base_b.num_agpr, 0
	.set _ZN9rocsparseL18bsrxmvn_4x4_kernelILj128ELj64EfliDF16_DF16_fEEvT3_20rocsparse_direction_NS_24const_host_device_scalarIT1_EES1_PKS1_PKT2_SA_S7_PKT4_PKT5_S5_PT6_21rocsparse_index_base_b.numbered_sgpr, 18
	.set _ZN9rocsparseL18bsrxmvn_4x4_kernelILj128ELj64EfliDF16_DF16_fEEvT3_20rocsparse_direction_NS_24const_host_device_scalarIT1_EES1_PKS1_PKT2_SA_S7_PKT4_PKT5_S5_PT6_21rocsparse_index_base_b.num_named_barrier, 0
	.set _ZN9rocsparseL18bsrxmvn_4x4_kernelILj128ELj64EfliDF16_DF16_fEEvT3_20rocsparse_direction_NS_24const_host_device_scalarIT1_EES1_PKS1_PKT2_SA_S7_PKT4_PKT5_S5_PT6_21rocsparse_index_base_b.private_seg_size, 0
	.set _ZN9rocsparseL18bsrxmvn_4x4_kernelILj128ELj64EfliDF16_DF16_fEEvT3_20rocsparse_direction_NS_24const_host_device_scalarIT1_EES1_PKS1_PKT2_SA_S7_PKT4_PKT5_S5_PT6_21rocsparse_index_base_b.uses_vcc, 1
	.set _ZN9rocsparseL18bsrxmvn_4x4_kernelILj128ELj64EfliDF16_DF16_fEEvT3_20rocsparse_direction_NS_24const_host_device_scalarIT1_EES1_PKS1_PKT2_SA_S7_PKT4_PKT5_S5_PT6_21rocsparse_index_base_b.uses_flat_scratch, 0
	.set _ZN9rocsparseL18bsrxmvn_4x4_kernelILj128ELj64EfliDF16_DF16_fEEvT3_20rocsparse_direction_NS_24const_host_device_scalarIT1_EES1_PKS1_PKT2_SA_S7_PKT4_PKT5_S5_PT6_21rocsparse_index_base_b.has_dyn_sized_stack, 0
	.set _ZN9rocsparseL18bsrxmvn_4x4_kernelILj128ELj64EfliDF16_DF16_fEEvT3_20rocsparse_direction_NS_24const_host_device_scalarIT1_EES1_PKS1_PKT2_SA_S7_PKT4_PKT5_S5_PT6_21rocsparse_index_base_b.has_recursion, 0
	.set _ZN9rocsparseL18bsrxmvn_4x4_kernelILj128ELj64EfliDF16_DF16_fEEvT3_20rocsparse_direction_NS_24const_host_device_scalarIT1_EES1_PKS1_PKT2_SA_S7_PKT4_PKT5_S5_PT6_21rocsparse_index_base_b.has_indirect_call, 0
	.section	.AMDGPU.csdata,"",@progbits
; Kernel info:
; codeLenInByte = 5144
; TotalNumSgprs: 20
; NumVgprs: 61
; ScratchSize: 0
; MemoryBound: 0
; FloatMode: 240
; IeeeMode: 1
; LDSByteSize: 0 bytes/workgroup (compile time only)
; SGPRBlocks: 0
; VGPRBlocks: 7
; NumSGPRsForWavesPerEU: 20
; NumVGPRsForWavesPerEU: 61
; Occupancy: 16
; WaveLimiterHint : 1
; COMPUTE_PGM_RSRC2:SCRATCH_EN: 0
; COMPUTE_PGM_RSRC2:USER_SGPR: 2
; COMPUTE_PGM_RSRC2:TRAP_HANDLER: 0
; COMPUTE_PGM_RSRC2:TGID_X_EN: 1
; COMPUTE_PGM_RSRC2:TGID_Y_EN: 0
; COMPUTE_PGM_RSRC2:TGID_Z_EN: 0
; COMPUTE_PGM_RSRC2:TIDIG_COMP_CNT: 0
	.section	.text._ZN9rocsparseL18bsrxmvn_4x4_kernelILj128ELj4EfllDF16_DF16_fEEvT3_20rocsparse_direction_NS_24const_host_device_scalarIT1_EES1_PKS1_PKT2_SA_S7_PKT4_PKT5_S5_PT6_21rocsparse_index_base_b,"axG",@progbits,_ZN9rocsparseL18bsrxmvn_4x4_kernelILj128ELj4EfllDF16_DF16_fEEvT3_20rocsparse_direction_NS_24const_host_device_scalarIT1_EES1_PKS1_PKT2_SA_S7_PKT4_PKT5_S5_PT6_21rocsparse_index_base_b,comdat
	.globl	_ZN9rocsparseL18bsrxmvn_4x4_kernelILj128ELj4EfllDF16_DF16_fEEvT3_20rocsparse_direction_NS_24const_host_device_scalarIT1_EES1_PKS1_PKT2_SA_S7_PKT4_PKT5_S5_PT6_21rocsparse_index_base_b ; -- Begin function _ZN9rocsparseL18bsrxmvn_4x4_kernelILj128ELj4EfllDF16_DF16_fEEvT3_20rocsparse_direction_NS_24const_host_device_scalarIT1_EES1_PKS1_PKT2_SA_S7_PKT4_PKT5_S5_PT6_21rocsparse_index_base_b
	.p2align	8
	.type	_ZN9rocsparseL18bsrxmvn_4x4_kernelILj128ELj4EfllDF16_DF16_fEEvT3_20rocsparse_direction_NS_24const_host_device_scalarIT1_EES1_PKS1_PKT2_SA_S7_PKT4_PKT5_S5_PT6_21rocsparse_index_base_b,@function
_ZN9rocsparseL18bsrxmvn_4x4_kernelILj128ELj4EfllDF16_DF16_fEEvT3_20rocsparse_direction_NS_24const_host_device_scalarIT1_EES1_PKS1_PKT2_SA_S7_PKT4_PKT5_S5_PT6_21rocsparse_index_base_b: ; @_ZN9rocsparseL18bsrxmvn_4x4_kernelILj128ELj4EfllDF16_DF16_fEEvT3_20rocsparse_direction_NS_24const_host_device_scalarIT1_EES1_PKS1_PKT2_SA_S7_PKT4_PKT5_S5_PT6_21rocsparse_index_base_b
; %bb.0:
	s_clause 0x2
	s_load_b64 s[2:3], s[0:1], 0x60
	s_load_b128 s[12:15], s[0:1], 0x10
	s_load_b64 s[16:17], s[0:1], 0x50
	s_wait_kmcnt 0x0
	s_bitcmp1_b32 s3, 0
	s_cselect_b32 s3, -1, 0
	s_delay_alu instid0(SALU_CYCLE_1)
	s_and_b32 vcc_lo, exec_lo, s3
	s_xor_b32 s3, s3, -1
	s_cbranch_vccnz .LBB100_2
; %bb.1:
	s_load_b32 s12, s[12:13], 0x0
.LBB100_2:
	s_and_not1_b32 vcc_lo, exec_lo, s3
	s_cbranch_vccnz .LBB100_4
; %bb.3:
	s_load_b32 s16, s[16:17], 0x0
.LBB100_4:
	s_wait_kmcnt 0x0
	s_cmp_neq_f32 s12, 0
	s_mov_b32 s6, 0
	s_cselect_b32 s3, -1, 0
	s_cmp_neq_f32 s16, 1.0
	s_cselect_b32 s4, -1, 0
	s_delay_alu instid0(SALU_CYCLE_1) | instskip(NEXT) | instid1(SALU_CYCLE_1)
	s_or_b32 s3, s3, s4
	s_and_not1_b32 vcc_lo, exec_lo, s3
	s_cbranch_vccnz .LBB100_10
; %bb.5:
	s_load_b64 s[4:5], s[0:1], 0x20
	v_lshrrev_b32_e32 v1, 2, v0
	v_mov_b32_e32 v6, 0
	s_delay_alu instid0(VALU_DEP_2)
	v_lshl_or_b32 v5, ttmp9, 5, v1
	s_wait_kmcnt 0x0
	s_cmp_lg_u64 s[4:5], 0
	s_cbranch_scc0 .LBB100_11
; %bb.6:
	s_mov_b32 s7, 0
                                        ; implicit-def: $vgpr3_vgpr4
                                        ; implicit-def: $vgpr1_vgpr2
	s_mov_b32 s3, exec_lo
	v_cmpx_gt_i64_e64 s[14:15], v[5:6]
	s_xor_b32 s8, exec_lo, s3
	s_cbranch_execz .LBB100_8
; %bb.7:
	v_lshlrev_b64_e32 v[1:2], 3, v[5:6]
	s_mov_b32 s3, 0
	s_mov_b32 s6, exec_lo
	s_delay_alu instid0(VALU_DEP_1) | instskip(NEXT) | instid1(VALU_DEP_1)
	v_add_co_u32 v1, vcc_lo, s4, v1
	v_add_co_ci_u32_e64 v2, null, s5, v2, vcc_lo
	global_load_b64 v[1:2], v[1:2], off
	s_wait_loadcnt 0x0
	v_sub_co_u32 v3, vcc_lo, v1, s2
	s_wait_alu 0xfffd
	v_subrev_co_ci_u32_e64 v4, null, 0, v2, vcc_lo
	v_dual_mov_b32 v1, s2 :: v_dual_mov_b32 v2, s3
.LBB100_8:
	s_or_b32 exec_lo, exec_lo, s8
	s_delay_alu instid0(SALU_CYCLE_1)
	s_and_b32 vcc_lo, exec_lo, s7
	s_wait_alu 0xfffe
	s_cbranch_vccnz .LBB100_12
.LBB100_9:
	s_and_saveexec_b32 s2, s6
	s_cbranch_execnz .LBB100_15
.LBB100_10:
	s_endpgm
.LBB100_11:
                                        ; implicit-def: $vgpr3_vgpr4
                                        ; implicit-def: $vgpr1_vgpr2
	s_cbranch_execz .LBB100_9
.LBB100_12:
	s_load_b64 s[4:5], s[0:1], 0x0
	s_wait_kmcnt 0x0
	v_cmp_gt_i64_e32 vcc_lo, s[4:5], v[5:6]
	s_and_saveexec_b32 s4, vcc_lo
; %bb.13:
	s_mov_b32 s3, 0
	s_or_b32 s6, s6, exec_lo
; %bb.14:
	s_wait_alu 0xfffe
	s_or_b32 exec_lo, exec_lo, s4
	v_dual_mov_b32 v1, s2 :: v_dual_mov_b32 v2, s3
	v_dual_mov_b32 v3, v5 :: v_dual_mov_b32 v4, v6
	s_and_saveexec_b32 s2, s6
	s_cbranch_execz .LBB100_10
.LBB100_15:
	s_load_b256 s[4:11], s[0:1], 0x28
	s_delay_alu instid0(VALU_DEP_1) | instskip(SKIP_3) | instid1(VALU_DEP_2)
	v_lshlrev_b64_e32 v[5:6], 3, v[3:4]
	v_dual_mov_b32 v25, 0 :: v_dual_and_b32 v0, 3, v0
	s_load_b32 s3, s[0:1], 0x8
	s_wait_kmcnt 0x0
	v_add_co_u32 v7, vcc_lo, s4, v5
	s_wait_alu 0xfffd
	v_add_co_ci_u32_e64 v8, null, s5, v6, vcc_lo
	v_add_co_u32 v5, vcc_lo, s6, v5
	s_wait_alu 0xfffd
	v_add_co_ci_u32_e64 v6, null, s7, v6, vcc_lo
	v_add_co_u32 v9, vcc_lo, v7, 8
	global_load_b64 v[13:14], v[7:8], off
	s_wait_alu 0xfffd
	v_add_co_ci_u32_e64 v10, null, 0, v8, vcc_lo
	s_cmp_eq_u64 s[6:7], 0
	s_load_b64 s[4:5], s[0:1], 0x48
	s_cselect_b32 vcc_lo, -1, 0
	s_cmp_eq_u32 s3, 1
	s_wait_alu 0xfffe
	v_dual_cndmask_b32 v6, v6, v10 :: v_dual_cndmask_b32 v5, v5, v9
	global_load_b64 v[7:8], v[5:6], off
	s_wait_loadcnt 0x1
	v_sub_co_u32 v5, vcc_lo, v13, v1
	s_wait_alu 0xfffd
	v_sub_co_ci_u32_e64 v6, null, v14, v2, vcc_lo
	s_delay_alu instid0(VALU_DEP_2) | instskip(SKIP_1) | instid1(VALU_DEP_2)
	v_add_co_u32 v5, vcc_lo, v5, v0
	s_wait_alu 0xfffd
	v_add_co_ci_u32_e64 v6, null, 0, v6, vcc_lo
	s_delay_alu instid0(VALU_DEP_1) | instskip(SKIP_4) | instid1(VALU_DEP_3)
	v_lshlrev_b64_e32 v[9:10], 5, v[5:6]
	s_wait_loadcnt 0x0
	v_sub_co_u32 v7, vcc_lo, v7, v1
	s_wait_alu 0xfffd
	v_sub_co_ci_u32_e64 v8, null, v8, v2, vcc_lo
	v_add_co_u32 v9, vcc_lo, s10, v9
	s_delay_alu instid0(VALU_DEP_2)
	v_cmp_lt_i64_e64 s2, v[5:6], v[7:8]
	s_wait_alu 0xfffd
	v_add_co_ci_u32_e64 v10, null, s11, v10, vcc_lo
	s_cbranch_scc1 .LBB100_27
; %bb.16:
	v_dual_mov_b32 v26, 0 :: v_dual_mov_b32 v27, 0
	v_mov_b32_e32 v12, 0
	s_and_saveexec_b32 s6, s2
	s_cbranch_execz .LBB100_26
; %bb.17:
	v_or_b32_e32 v11, 4, v0
	v_not_b32_e32 v16, v13
	v_sub_co_u32 v17, s3, v1, v0
	v_not_b32_e32 v15, v14
	s_delay_alu instid0(VALU_DEP_4)
	v_sub_co_u32 v11, vcc_lo, v11, v1
	s_wait_alu 0xfffd
	v_sub_co_ci_u32_e64 v12, null, 0, v2, vcc_lo
	s_wait_alu 0xf1ff
	v_subrev_co_ci_u32_e64 v18, null, 0, v2, s3
	v_add_co_u32 v11, vcc_lo, v11, v13
	s_wait_alu 0xfffd
	v_add_co_ci_u32_e64 v12, null, v12, v14, vcc_lo
	s_mov_b32 s3, exec_lo
	v_cmp_gt_i64_e32 vcc_lo, v[11:12], v[7:8]
	s_wait_alu 0xfffd
	v_dual_cndmask_b32 v20, v8, v12 :: v_dual_cndmask_b32 v11, v7, v11
	v_add_co_u32 v12, vcc_lo, v17, v16
	s_wait_alu 0xfffd
	v_add_co_ci_u32_e64 v15, null, v18, v15, vcc_lo
	v_mov_b32_e32 v18, v10
	s_delay_alu instid0(VALU_DEP_3) | instskip(SKIP_3) | instid1(VALU_DEP_3)
	v_add_co_u32 v19, vcc_lo, v12, v11
	v_mov_b32_e32 v12, 0
	s_wait_alu 0xfffd
	v_add_co_ci_u32_e64 v20, null, v15, v20, vcc_lo
	v_dual_mov_b32 v16, v6 :: v_dual_and_b32 v11, 12, v19
	s_delay_alu instid0(VALU_DEP_3)
	v_mov_b32_e32 v25, v12
	v_mov_b32_e32 v15, v5
	v_dual_mov_b32 v27, v12 :: v_dual_mov_b32 v26, v12
	v_mov_b32_e32 v17, v9
	v_cmpx_ne_u64_e32 12, v[11:12]
	s_cbranch_execz .LBB100_21
; %bb.18:
	v_lshrrev_b32_e32 v11, 2, v19
	v_dual_mov_b32 v25, 0 :: v_dual_mov_b32 v18, v10
	v_dual_mov_b32 v17, v9 :: v_dual_mov_b32 v26, 0
	s_delay_alu instid0(VALU_DEP_3) | instskip(SKIP_3) | instid1(VALU_DEP_4)
	v_dual_mov_b32 v16, v6 :: v_dual_add_nc_u32 v21, 1, v11
	v_lshlrev_b64_e32 v[11:12], 3, v[5:6]
	v_mov_b32_e32 v15, v5
	v_mov_b32_e32 v27, 0
	v_and_b32_e32 v23, 3, v21
	s_delay_alu instid0(VALU_DEP_4) | instskip(NEXT) | instid1(VALU_DEP_2)
	v_add_co_u32 v21, vcc_lo, s8, v11
	v_sub_co_u32 v23, s7, 0, v23
	s_wait_alu 0xfffd
	v_add_co_ci_u32_e64 v22, null, s9, v12, vcc_lo
	s_wait_alu 0xf1ff
	v_sub_co_ci_u32_e64 v24, null, 0, 0, s7
	v_mov_b32_e32 v12, 0
	s_mov_b32 s7, 0
.LBB100_19:                             ; =>This Inner Loop Header: Depth=1
	global_load_b64 v[36:37], v[21:22], off
	s_clause 0x1
	global_load_b128 v[28:31], v[17:18], off
	global_load_b128 v[32:35], v[17:18], off offset:16
	s_wait_loadcnt 0x2
	v_sub_co_u32 v36, vcc_lo, v36, v1
	s_wait_alu 0xfffd
	v_sub_co_ci_u32_e64 v37, null, v37, v2, vcc_lo
	s_delay_alu instid0(VALU_DEP_1) | instskip(SKIP_1) | instid1(VALU_DEP_1)
	v_lshlrev_b64_e32 v[36:37], 3, v[36:37]
	s_wait_kmcnt 0x0
	v_add_co_u32 v36, vcc_lo, s4, v36
	s_wait_alu 0xfffd
	s_delay_alu instid0(VALU_DEP_2)
	v_add_co_ci_u32_e64 v37, null, s5, v37, vcc_lo
	v_add_co_u32 v17, vcc_lo, 0x80, v17
	s_wait_alu 0xfffd
	v_add_co_ci_u32_e64 v18, null, 0, v18, vcc_lo
	global_load_b64 v[36:37], v[36:37], off
	v_add_co_u32 v15, vcc_lo, v15, 4
	s_wait_alu 0xfffd
	v_add_co_ci_u32_e64 v16, null, 0, v16, vcc_lo
	v_add_co_u32 v21, vcc_lo, v21, 32
	s_wait_alu 0xfffd
	v_add_co_ci_u32_e64 v22, null, 0, v22, vcc_lo
	;; [unrolled: 3-line block ×3, first 2 shown]
	s_delay_alu instid0(VALU_DEP_1)
	v_cmp_eq_u64_e32 vcc_lo, 0, v[23:24]
	s_wait_alu 0xfffe
	s_or_b32 s7, vcc_lo, s7
	s_wait_loadcnt 0x0
	v_fma_mix_f32 v11, v28, v36, v12 op_sel_hi:[1,1,0]
	v_fma_mix_f32 v12, v30, v36, v27 op_sel_hi:[1,1,0]
	;; [unrolled: 1-line block ×4, first 2 shown]
	s_delay_alu instid0(VALU_DEP_4) | instskip(NEXT) | instid1(VALU_DEP_4)
	v_fma_mix_f32 v11, v28, v36, v11 op_sel:[1,1,0] op_sel_hi:[1,1,0]
	v_fma_mix_f32 v12, v30, v36, v12 op_sel:[1,1,0] op_sel_hi:[1,1,0]
	s_delay_alu instid0(VALU_DEP_4) | instskip(NEXT) | instid1(VALU_DEP_4)
	v_fma_mix_f32 v26, v32, v36, v26 op_sel:[1,1,0] op_sel_hi:[1,1,0]
	v_fma_mix_f32 v25, v34, v36, v25 op_sel:[1,1,0] op_sel_hi:[1,1,0]
	s_delay_alu instid0(VALU_DEP_4) | instskip(NEXT) | instid1(VALU_DEP_4)
	v_fma_mix_f32 v11, v29, v37, v11 op_sel_hi:[1,1,0]
	v_fma_mix_f32 v27, v31, v37, v12 op_sel_hi:[1,1,0]
	s_delay_alu instid0(VALU_DEP_4) | instskip(NEXT) | instid1(VALU_DEP_4)
	v_fma_mix_f32 v26, v33, v37, v26 op_sel_hi:[1,1,0]
	v_fma_mix_f32 v25, v35, v37, v25 op_sel_hi:[1,1,0]
	s_delay_alu instid0(VALU_DEP_4) | instskip(NEXT) | instid1(VALU_DEP_4)
	v_fma_mix_f32 v12, v29, v37, v11 op_sel:[1,1,0] op_sel_hi:[1,1,0]
	v_fma_mix_f32 v27, v31, v37, v27 op_sel:[1,1,0] op_sel_hi:[1,1,0]
	s_delay_alu instid0(VALU_DEP_4) | instskip(NEXT) | instid1(VALU_DEP_4)
	v_fma_mix_f32 v26, v33, v37, v26 op_sel:[1,1,0] op_sel_hi:[1,1,0]
	v_fma_mix_f32 v25, v35, v37, v25 op_sel:[1,1,0] op_sel_hi:[1,1,0]
	s_wait_alu 0xfffe
	s_and_not1_b32 exec_lo, exec_lo, s7
	s_cbranch_execnz .LBB100_19
; %bb.20:
	s_or_b32 exec_lo, exec_lo, s7
.LBB100_21:
	s_wait_alu 0xfffe
	s_or_b32 exec_lo, exec_lo, s3
	s_delay_alu instid0(SALU_CYCLE_1)
	s_mov_b32 s7, exec_lo
	v_cmpx_lt_u64_e32 11, v[19:20]
	s_cbranch_execz .LBB100_25
; %bb.22:
	v_lshlrev_b64_e32 v[19:20], 3, v[15:16]
	s_mov_b32 s10, 0
	s_delay_alu instid0(VALU_DEP_1) | instskip(SKIP_1) | instid1(VALU_DEP_2)
	v_add_co_u32 v11, vcc_lo, s8, v19
	s_wait_alu 0xfffd
	v_add_co_ci_u32_e64 v20, null, s9, v20, vcc_lo
	s_delay_alu instid0(VALU_DEP_2) | instskip(SKIP_1) | instid1(VALU_DEP_2)
	v_add_co_u32 v19, vcc_lo, v11, 64
	s_wait_alu 0xfffd
	v_add_co_ci_u32_e64 v20, null, 0, v20, vcc_lo
.LBB100_23:                             ; =>This Inner Loop Header: Depth=1
	s_clause 0x3
	global_load_b64 v[56:57], v[19:20], off offset:-64
	global_load_b64 v[58:59], v[19:20], off offset:-32
	global_load_b64 v[60:61], v[19:20], off
	global_load_b64 v[62:63], v[19:20], off offset:32
	s_clause 0x7
	global_load_b128 v[21:24], v[17:18], off
	global_load_b128 v[28:31], v[17:18], off offset:16
	global_load_b128 v[32:35], v[17:18], off offset:128
	;; [unrolled: 1-line block ×7, first 2 shown]
	s_wait_loadcnt 0xb
	v_sub_co_u32 v56, vcc_lo, v56, v1
	s_wait_alu 0xfffd
	v_sub_co_ci_u32_e64 v57, null, v57, v2, vcc_lo
	s_wait_loadcnt 0xa
	v_sub_co_u32 v58, vcc_lo, v58, v1
	s_wait_alu 0xfffd
	v_sub_co_ci_u32_e64 v59, null, v59, v2, vcc_lo
	v_lshlrev_b64_e32 v[56:57], 3, v[56:57]
	s_wait_loadcnt 0x9
	v_sub_co_u32 v60, vcc_lo, v60, v1
	s_delay_alu instid0(VALU_DEP_3)
	v_lshlrev_b64_e32 v[58:59], 3, v[58:59]
	s_wait_alu 0xfffd
	v_sub_co_ci_u32_e64 v61, null, v61, v2, vcc_lo
	s_wait_kmcnt 0x0
	v_add_co_u32 v56, s3, s4, v56
	s_wait_alu 0xf1ff
	v_add_co_ci_u32_e64 v57, null, s5, v57, s3
	v_add_co_u32 v58, vcc_lo, s4, v58
	s_wait_alu 0xfffd
	v_add_co_ci_u32_e64 v59, null, s5, v59, vcc_lo
	global_load_b64 v[56:57], v[56:57], off
	v_lshlrev_b64_e32 v[60:61], 3, v[60:61]
	s_wait_loadcnt 0x9
	v_sub_co_u32 v62, vcc_lo, v62, v1
	global_load_b64 v[58:59], v[58:59], off
	s_wait_alu 0xfffd
	v_sub_co_ci_u32_e64 v63, null, v63, v2, vcc_lo
	v_add_co_u32 v60, s3, s4, v60
	s_wait_alu 0xf1ff
	v_add_co_ci_u32_e64 v61, null, s5, v61, s3
	s_delay_alu instid0(VALU_DEP_3)
	v_lshlrev_b64_e32 v[62:63], 3, v[62:63]
	global_load_b64 v[60:61], v[60:61], off
	v_add_co_u32 v62, vcc_lo, s4, v62
	s_wait_alu 0xfffd
	v_add_co_ci_u32_e64 v63, null, s5, v63, vcc_lo
	v_add_co_u32 v17, vcc_lo, 0x200, v17
	s_wait_alu 0xfffd
	v_add_co_ci_u32_e64 v18, null, 0, v18, vcc_lo
	global_load_b64 v[62:63], v[62:63], off
	v_add_co_u32 v15, vcc_lo, v15, 16
	s_wait_alu 0xfffd
	v_add_co_ci_u32_e64 v16, null, 0, v16, vcc_lo
	v_add_co_u32 v19, vcc_lo, 0x80, v19
	s_wait_alu 0xfffd
	v_add_co_ci_u32_e64 v20, null, 0, v20, vcc_lo
	s_delay_alu instid0(VALU_DEP_3)
	v_cmp_ge_i64_e32 vcc_lo, v[15:16], v[7:8]
	s_wait_alu 0xfffe
	s_or_b32 s10, vcc_lo, s10
	s_wait_loadcnt 0x3
	v_fma_mix_f32 v11, v21, v56, v12 op_sel_hi:[1,1,0]
	v_fma_mix_f32 v12, v23, v56, v27 op_sel_hi:[1,1,0]
	v_fma_mix_f32 v26, v28, v56, v26 op_sel_hi:[1,1,0]
	v_fma_mix_f32 v25, v30, v56, v25 op_sel_hi:[1,1,0]
	s_delay_alu instid0(VALU_DEP_4) | instskip(NEXT) | instid1(VALU_DEP_4)
	v_fma_mix_f32 v11, v21, v56, v11 op_sel:[1,1,0] op_sel_hi:[1,1,0]
	v_fma_mix_f32 v12, v23, v56, v12 op_sel:[1,1,0] op_sel_hi:[1,1,0]
	s_delay_alu instid0(VALU_DEP_4) | instskip(NEXT) | instid1(VALU_DEP_4)
	v_fma_mix_f32 v21, v28, v56, v26 op_sel:[1,1,0] op_sel_hi:[1,1,0]
	v_fma_mix_f32 v23, v30, v56, v25 op_sel:[1,1,0] op_sel_hi:[1,1,0]
	s_delay_alu instid0(VALU_DEP_4) | instskip(NEXT) | instid1(VALU_DEP_4)
	v_fma_mix_f32 v11, v22, v57, v11 op_sel_hi:[1,1,0]
	v_fma_mix_f32 v12, v24, v57, v12 op_sel_hi:[1,1,0]
	s_delay_alu instid0(VALU_DEP_4) | instskip(NEXT) | instid1(VALU_DEP_4)
	v_fma_mix_f32 v21, v29, v57, v21 op_sel_hi:[1,1,0]
	v_fma_mix_f32 v23, v31, v57, v23 op_sel_hi:[1,1,0]
	s_delay_alu instid0(VALU_DEP_4) | instskip(NEXT) | instid1(VALU_DEP_4)
	v_fma_mix_f32 v11, v22, v57, v11 op_sel:[1,1,0] op_sel_hi:[1,1,0]
	v_fma_mix_f32 v12, v24, v57, v12 op_sel:[1,1,0] op_sel_hi:[1,1,0]
	s_delay_alu instid0(VALU_DEP_4) | instskip(NEXT) | instid1(VALU_DEP_4)
	v_fma_mix_f32 v21, v29, v57, v21 op_sel:[1,1,0] op_sel_hi:[1,1,0]
	v_fma_mix_f32 v22, v31, v57, v23 op_sel:[1,1,0] op_sel_hi:[1,1,0]
	s_wait_loadcnt 0x2
	v_fma_mix_f32 v11, v32, v58, v11 op_sel_hi:[1,1,0]
	v_fma_mix_f32 v12, v34, v58, v12 op_sel_hi:[1,1,0]
	v_fma_mix_f32 v21, v36, v58, v21 op_sel_hi:[1,1,0]
	v_fma_mix_f32 v22, v38, v58, v22 op_sel_hi:[1,1,0]
	s_delay_alu instid0(VALU_DEP_4) | instskip(NEXT) | instid1(VALU_DEP_4)
	v_fma_mix_f32 v11, v32, v58, v11 op_sel:[1,1,0] op_sel_hi:[1,1,0]
	v_fma_mix_f32 v12, v34, v58, v12 op_sel:[1,1,0] op_sel_hi:[1,1,0]
	s_delay_alu instid0(VALU_DEP_4) | instskip(NEXT) | instid1(VALU_DEP_4)
	v_fma_mix_f32 v21, v36, v58, v21 op_sel:[1,1,0] op_sel_hi:[1,1,0]
	v_fma_mix_f32 v22, v38, v58, v22 op_sel:[1,1,0] op_sel_hi:[1,1,0]
	s_delay_alu instid0(VALU_DEP_4) | instskip(NEXT) | instid1(VALU_DEP_4)
	v_fma_mix_f32 v11, v33, v59, v11 op_sel_hi:[1,1,0]
	v_fma_mix_f32 v12, v35, v59, v12 op_sel_hi:[1,1,0]
	s_delay_alu instid0(VALU_DEP_4) | instskip(NEXT) | instid1(VALU_DEP_4)
	v_fma_mix_f32 v21, v37, v59, v21 op_sel_hi:[1,1,0]
	v_fma_mix_f32 v22, v39, v59, v22 op_sel_hi:[1,1,0]
	s_delay_alu instid0(VALU_DEP_4) | instskip(NEXT) | instid1(VALU_DEP_4)
	v_fma_mix_f32 v11, v33, v59, v11 op_sel:[1,1,0] op_sel_hi:[1,1,0]
	v_fma_mix_f32 v12, v35, v59, v12 op_sel:[1,1,0] op_sel_hi:[1,1,0]
	s_delay_alu instid0(VALU_DEP_4) | instskip(NEXT) | instid1(VALU_DEP_4)
	v_fma_mix_f32 v21, v37, v59, v21 op_sel:[1,1,0] op_sel_hi:[1,1,0]
	v_fma_mix_f32 v22, v39, v59, v22 op_sel:[1,1,0] op_sel_hi:[1,1,0]
	;; [unrolled: 23-line block ×4, first 2 shown]
	s_wait_alu 0xfffe
	s_and_not1_b32 exec_lo, exec_lo, s10
	s_cbranch_execnz .LBB100_23
; %bb.24:
	s_or_b32 exec_lo, exec_lo, s10
.LBB100_25:
	s_wait_alu 0xfffe
	s_or_b32 exec_lo, exec_lo, s7
.LBB100_26:
	s_wait_alu 0xfffe
	s_or_b32 exec_lo, exec_lo, s6
	s_cbranch_execz .LBB100_28
	s_branch .LBB100_39
.LBB100_27:
                                        ; implicit-def: $vgpr25
                                        ; implicit-def: $vgpr26
                                        ; implicit-def: $vgpr27
                                        ; implicit-def: $vgpr12
.LBB100_28:
	v_dual_mov_b32 v25, 0 :: v_dual_mov_b32 v26, 0
	v_dual_mov_b32 v27, 0 :: v_dual_mov_b32 v12, 0
	s_and_saveexec_b32 s3, s2
	s_cbranch_execz .LBB100_38
; %bb.29:
	v_or_b32_e32 v11, 4, v0
	v_sub_co_u32 v15, s2, v1, v0
	s_wait_alu 0xf1ff
	v_subrev_co_ci_u32_e64 v16, null, 0, v2, s2
	s_delay_alu instid0(VALU_DEP_3)
	v_sub_co_u32 v11, vcc_lo, v11, v1
	s_wait_alu 0xfffd
	v_sub_co_ci_u32_e64 v12, null, 0, v2, vcc_lo
	s_mov_b32 s2, exec_lo
	v_add_co_u32 v11, vcc_lo, v11, v13
	s_wait_alu 0xfffd
	v_add_co_ci_u32_e64 v12, null, v12, v14, vcc_lo
	v_not_b32_e32 v13, v13
	v_not_b32_e32 v14, v14
	s_delay_alu instid0(VALU_DEP_3)
	v_cmp_gt_i64_e32 vcc_lo, v[11:12], v[7:8]
	s_wait_alu 0xfffd
	v_cndmask_b32_e32 v17, v8, v12, vcc_lo
	v_cndmask_b32_e32 v11, v7, v11, vcc_lo
	v_add_co_u32 v12, vcc_lo, v15, v13
	s_wait_alu 0xfffd
	v_add_co_ci_u32_e64 v14, null, v16, v14, vcc_lo
	s_delay_alu instid0(VALU_DEP_2) | instskip(SKIP_2) | instid1(VALU_DEP_3)
	v_add_co_u32 v13, vcc_lo, v12, v11
	v_mov_b32_e32 v12, 0
	s_wait_alu 0xfffd
	v_add_co_ci_u32_e64 v14, null, v14, v17, vcc_lo
	s_delay_alu instid0(VALU_DEP_3) | instskip(NEXT) | instid1(VALU_DEP_3)
	v_and_b32_e32 v11, 12, v13
	v_dual_mov_b32 v27, v12 :: v_dual_mov_b32 v26, v12
	v_mov_b32_e32 v25, v12
	s_delay_alu instid0(VALU_DEP_3)
	v_cmpx_ne_u64_e32 12, v[11:12]
	s_cbranch_execz .LBB100_33
; %bb.30:
	v_lshrrev_b32_e32 v11, 2, v13
	v_mov_b32_e32 v25, 0
	v_dual_mov_b32 v27, 0 :: v_dual_mov_b32 v26, 0
	s_delay_alu instid0(VALU_DEP_3) | instskip(SKIP_1) | instid1(VALU_DEP_2)
	v_add_nc_u32_e32 v15, 1, v11
	v_lshlrev_b64_e32 v[11:12], 3, v[5:6]
	v_and_b32_e32 v17, 3, v15
	s_delay_alu instid0(VALU_DEP_2) | instskip(SKIP_1) | instid1(VALU_DEP_3)
	v_add_co_u32 v15, vcc_lo, s8, v11
	s_wait_alu 0xfffd
	v_add_co_ci_u32_e64 v16, null, s9, v12, vcc_lo
	s_delay_alu instid0(VALU_DEP_3)
	v_sub_co_u32 v17, s6, 0, v17
	s_wait_alu 0xf1ff
	v_sub_co_ci_u32_e64 v18, null, 0, 0, s6
	v_mov_b32_e32 v12, 0
	s_mov_b32 s6, 0
.LBB100_31:                             ; =>This Inner Loop Header: Depth=1
	global_load_b64 v[23:24], v[15:16], off
	global_load_b128 v[19:22], v[9:10], off
	s_wait_loadcnt 0x1
	v_sub_co_u32 v23, vcc_lo, v23, v1
	s_wait_alu 0xfffd
	v_sub_co_ci_u32_e64 v24, null, v24, v2, vcc_lo
	s_delay_alu instid0(VALU_DEP_1) | instskip(SKIP_1) | instid1(VALU_DEP_1)
	v_lshlrev_b64_e32 v[23:24], 3, v[23:24]
	s_wait_kmcnt 0x0
	v_add_co_u32 v23, vcc_lo, s4, v23
	s_wait_alu 0xfffd
	s_delay_alu instid0(VALU_DEP_2)
	v_add_co_ci_u32_e64 v24, null, s5, v24, vcc_lo
	global_load_b64 v[23:24], v[23:24], off
	global_load_b128 v[28:31], v[9:10], off offset:16
	v_add_co_u32 v9, vcc_lo, 0x80, v9
	s_wait_alu 0xfffd
	v_add_co_ci_u32_e64 v10, null, 0, v10, vcc_lo
	v_add_co_u32 v5, vcc_lo, v5, 4
	s_wait_alu 0xfffd
	v_add_co_ci_u32_e64 v6, null, 0, v6, vcc_lo
	;; [unrolled: 3-line block ×4, first 2 shown]
	s_delay_alu instid0(VALU_DEP_1)
	v_cmp_eq_u64_e32 vcc_lo, 0, v[17:18]
	s_wait_alu 0xfffe
	s_or_b32 s6, vcc_lo, s6
	s_wait_loadcnt 0x1
	v_fma_mix_f32 v11, v19, v23, v12 op_sel_hi:[1,1,0]
	v_fma_mix_f32 v12, v19, v23, v27 op_sel:[1,0,0] op_sel_hi:[1,1,0]
	v_fma_mix_f32 v19, v20, v23, v26 op_sel_hi:[1,1,0]
	v_fma_mix_f32 v20, v20, v23, v25 op_sel:[1,0,0] op_sel_hi:[1,1,0]
	s_delay_alu instid0(VALU_DEP_4) | instskip(NEXT) | instid1(VALU_DEP_4)
	v_fma_mix_f32 v11, v21, v23, v11 op_sel:[0,1,0] op_sel_hi:[1,1,0]
	v_fma_mix_f32 v12, v21, v23, v12 op_sel:[1,1,0] op_sel_hi:[1,1,0]
	s_delay_alu instid0(VALU_DEP_4) | instskip(NEXT) | instid1(VALU_DEP_4)
	v_fma_mix_f32 v19, v22, v23, v19 op_sel:[0,1,0] op_sel_hi:[1,1,0]
	v_fma_mix_f32 v20, v22, v23, v20 op_sel:[1,1,0] op_sel_hi:[1,1,0]
	s_wait_loadcnt 0x0
	v_fma_mix_f32 v11, v28, v24, v11 op_sel_hi:[1,1,0]
	v_fma_mix_f32 v21, v28, v24, v12 op_sel:[1,0,0] op_sel_hi:[1,1,0]
	v_fma_mix_f32 v19, v29, v24, v19 op_sel_hi:[1,1,0]
	v_fma_mix_f32 v20, v29, v24, v20 op_sel:[1,0,0] op_sel_hi:[1,1,0]
	s_delay_alu instid0(VALU_DEP_4) | instskip(NEXT) | instid1(VALU_DEP_4)
	v_fma_mix_f32 v12, v30, v24, v11 op_sel:[0,1,0] op_sel_hi:[1,1,0]
	v_fma_mix_f32 v27, v30, v24, v21 op_sel:[1,1,0] op_sel_hi:[1,1,0]
	s_delay_alu instid0(VALU_DEP_4) | instskip(NEXT) | instid1(VALU_DEP_4)
	v_fma_mix_f32 v26, v31, v24, v19 op_sel:[0,1,0] op_sel_hi:[1,1,0]
	v_fma_mix_f32 v25, v31, v24, v20 op_sel:[1,1,0] op_sel_hi:[1,1,0]
	s_wait_alu 0xfffe
	s_and_not1_b32 exec_lo, exec_lo, s6
	s_cbranch_execnz .LBB100_31
; %bb.32:
	s_or_b32 exec_lo, exec_lo, s6
.LBB100_33:
	s_wait_alu 0xfffe
	s_or_b32 exec_lo, exec_lo, s2
	s_delay_alu instid0(SALU_CYCLE_1)
	s_mov_b32 s6, exec_lo
	v_cmpx_lt_u64_e32 11, v[13:14]
	s_cbranch_execz .LBB100_37
; %bb.34:
	v_lshlrev_b64_e32 v[13:14], 3, v[5:6]
	s_mov_b32 s7, 0
	s_delay_alu instid0(VALU_DEP_1) | instskip(SKIP_1) | instid1(VALU_DEP_2)
	v_add_co_u32 v11, vcc_lo, s8, v13
	s_wait_alu 0xfffd
	v_add_co_ci_u32_e64 v14, null, s9, v14, vcc_lo
	s_delay_alu instid0(VALU_DEP_2) | instskip(SKIP_1) | instid1(VALU_DEP_2)
	v_add_co_u32 v13, vcc_lo, v11, 64
	s_wait_alu 0xfffd
	v_add_co_ci_u32_e64 v14, null, 0, v14, vcc_lo
.LBB100_35:                             ; =>This Inner Loop Header: Depth=1
	s_clause 0x3
	global_load_b64 v[23:24], v[13:14], off offset:-64
	global_load_b64 v[48:49], v[13:14], off offset:-32
	global_load_b64 v[50:51], v[13:14], off
	global_load_b64 v[52:53], v[13:14], off offset:32
	s_clause 0x6
	global_load_b128 v[15:18], v[9:10], off
	global_load_b128 v[19:22], v[9:10], off offset:16
	global_load_b128 v[28:31], v[9:10], off offset:128
	;; [unrolled: 1-line block ×6, first 2 shown]
	s_wait_loadcnt 0xa
	v_sub_co_u32 v23, vcc_lo, v23, v1
	s_wait_alu 0xfffd
	v_sub_co_ci_u32_e64 v24, null, v24, v2, vcc_lo
	s_wait_loadcnt 0x9
	v_sub_co_u32 v48, vcc_lo, v48, v1
	s_wait_alu 0xfffd
	v_sub_co_ci_u32_e64 v49, null, v49, v2, vcc_lo
	v_lshlrev_b64_e32 v[23:24], 3, v[23:24]
	s_wait_loadcnt 0x8
	v_sub_co_u32 v50, vcc_lo, v50, v1
	s_delay_alu instid0(VALU_DEP_3)
	v_lshlrev_b64_e32 v[48:49], 3, v[48:49]
	s_wait_alu 0xfffd
	v_sub_co_ci_u32_e64 v51, null, v51, v2, vcc_lo
	s_wait_kmcnt 0x0
	v_add_co_u32 v23, s2, s4, v23
	s_wait_alu 0xf1ff
	v_add_co_ci_u32_e64 v24, null, s5, v24, s2
	v_add_co_u32 v48, vcc_lo, s4, v48
	s_wait_alu 0xfffd
	v_add_co_ci_u32_e64 v49, null, s5, v49, vcc_lo
	s_clause 0x1
	global_load_b64 v[23:24], v[23:24], off
	global_load_b64 v[54:55], v[48:49], off
	v_lshlrev_b64_e32 v[49:50], 3, v[50:51]
	s_wait_loadcnt 0x9
	v_sub_co_u32 v48, vcc_lo, v52, v1
	s_delay_alu instid0(VALU_DEP_2) | instskip(SKIP_1) | instid1(VALU_DEP_3)
	v_add_co_u32 v49, s2, s4, v49
	s_wait_alu 0xf1ff
	v_add_co_ci_u32_e64 v50, null, s5, v50, s2
	global_load_b64 v[56:57], v[49:50], off
	s_wait_alu 0xfffd
	v_sub_co_ci_u32_e64 v49, null, v53, v2, vcc_lo
	s_delay_alu instid0(VALU_DEP_1) | instskip(NEXT) | instid1(VALU_DEP_1)
	v_lshlrev_b64_e32 v[48:49], 3, v[48:49]
	v_add_co_u32 v48, vcc_lo, s4, v48
	s_wait_alu 0xfffd
	s_delay_alu instid0(VALU_DEP_2)
	v_add_co_ci_u32_e64 v49, null, s5, v49, vcc_lo
	global_load_b64 v[52:53], v[48:49], off
	global_load_b128 v[48:51], v[9:10], off offset:400
	v_add_co_u32 v9, vcc_lo, 0x200, v9
	s_wait_alu 0xfffd
	v_add_co_ci_u32_e64 v10, null, 0, v10, vcc_lo
	v_add_co_u32 v5, vcc_lo, v5, 16
	s_wait_alu 0xfffd
	v_add_co_ci_u32_e64 v6, null, 0, v6, vcc_lo
	;; [unrolled: 3-line block ×3, first 2 shown]
	s_delay_alu instid0(VALU_DEP_3)
	v_cmp_ge_i64_e32 vcc_lo, v[5:6], v[7:8]
	s_wait_alu 0xfffe
	s_or_b32 s7, vcc_lo, s7
	s_wait_loadcnt 0x4
	v_fma_mix_f32 v11, v15, v23, v12 op_sel_hi:[1,1,0]
	v_fma_mix_f32 v12, v15, v23, v27 op_sel:[1,0,0] op_sel_hi:[1,1,0]
	v_fma_mix_f32 v15, v16, v23, v26 op_sel_hi:[1,1,0]
	v_fma_mix_f32 v16, v16, v23, v25 op_sel:[1,0,0] op_sel_hi:[1,1,0]
	s_delay_alu instid0(VALU_DEP_4) | instskip(NEXT) | instid1(VALU_DEP_4)
	v_fma_mix_f32 v11, v17, v23, v11 op_sel:[0,1,0] op_sel_hi:[1,1,0]
	v_fma_mix_f32 v12, v17, v23, v12 op_sel:[1,1,0] op_sel_hi:[1,1,0]
	s_delay_alu instid0(VALU_DEP_4) | instskip(NEXT) | instid1(VALU_DEP_4)
	v_fma_mix_f32 v15, v18, v23, v15 op_sel:[0,1,0] op_sel_hi:[1,1,0]
	v_fma_mix_f32 v16, v18, v23, v16 op_sel:[1,1,0] op_sel_hi:[1,1,0]
	s_delay_alu instid0(VALU_DEP_4) | instskip(NEXT) | instid1(VALU_DEP_4)
	v_fma_mix_f32 v11, v19, v24, v11 op_sel_hi:[1,1,0]
	v_fma_mix_f32 v12, v19, v24, v12 op_sel:[1,0,0] op_sel_hi:[1,1,0]
	s_delay_alu instid0(VALU_DEP_4) | instskip(NEXT) | instid1(VALU_DEP_4)
	v_fma_mix_f32 v15, v20, v24, v15 op_sel_hi:[1,1,0]
	v_fma_mix_f32 v16, v20, v24, v16 op_sel:[1,0,0] op_sel_hi:[1,1,0]
	s_delay_alu instid0(VALU_DEP_4) | instskip(NEXT) | instid1(VALU_DEP_4)
	v_fma_mix_f32 v11, v21, v24, v11 op_sel:[0,1,0] op_sel_hi:[1,1,0]
	v_fma_mix_f32 v12, v21, v24, v12 op_sel:[1,1,0] op_sel_hi:[1,1,0]
	s_delay_alu instid0(VALU_DEP_4) | instskip(NEXT) | instid1(VALU_DEP_4)
	v_fma_mix_f32 v15, v22, v24, v15 op_sel:[0,1,0] op_sel_hi:[1,1,0]
	v_fma_mix_f32 v16, v22, v24, v16 op_sel:[1,1,0] op_sel_hi:[1,1,0]
	s_wait_loadcnt 0x3
	v_fma_mix_f32 v11, v28, v54, v11 op_sel_hi:[1,1,0]
	v_fma_mix_f32 v12, v28, v54, v12 op_sel:[1,0,0] op_sel_hi:[1,1,0]
	v_fma_mix_f32 v15, v29, v54, v15 op_sel_hi:[1,1,0]
	v_fma_mix_f32 v16, v29, v54, v16 op_sel:[1,0,0] op_sel_hi:[1,1,0]
	s_delay_alu instid0(VALU_DEP_4) | instskip(NEXT) | instid1(VALU_DEP_4)
	v_fma_mix_f32 v11, v30, v54, v11 op_sel:[0,1,0] op_sel_hi:[1,1,0]
	v_fma_mix_f32 v12, v30, v54, v12 op_sel:[1,1,0] op_sel_hi:[1,1,0]
	s_delay_alu instid0(VALU_DEP_4) | instskip(NEXT) | instid1(VALU_DEP_4)
	v_fma_mix_f32 v15, v31, v54, v15 op_sel:[0,1,0] op_sel_hi:[1,1,0]
	v_fma_mix_f32 v16, v31, v54, v16 op_sel:[1,1,0] op_sel_hi:[1,1,0]
	s_delay_alu instid0(VALU_DEP_4) | instskip(NEXT) | instid1(VALU_DEP_4)
	v_fma_mix_f32 v11, v32, v55, v11 op_sel_hi:[1,1,0]
	v_fma_mix_f32 v12, v32, v55, v12 op_sel:[1,0,0] op_sel_hi:[1,1,0]
	s_delay_alu instid0(VALU_DEP_4) | instskip(NEXT) | instid1(VALU_DEP_4)
	v_fma_mix_f32 v15, v33, v55, v15 op_sel_hi:[1,1,0]
	v_fma_mix_f32 v16, v33, v55, v16 op_sel:[1,0,0] op_sel_hi:[1,1,0]
	s_delay_alu instid0(VALU_DEP_4) | instskip(NEXT) | instid1(VALU_DEP_4)
	v_fma_mix_f32 v11, v34, v55, v11 op_sel:[0,1,0] op_sel_hi:[1,1,0]
	v_fma_mix_f32 v12, v34, v55, v12 op_sel:[1,1,0] op_sel_hi:[1,1,0]
	s_delay_alu instid0(VALU_DEP_4) | instskip(NEXT) | instid1(VALU_DEP_4)
	v_fma_mix_f32 v15, v35, v55, v15 op_sel:[0,1,0] op_sel_hi:[1,1,0]
	v_fma_mix_f32 v16, v35, v55, v16 op_sel:[1,1,0] op_sel_hi:[1,1,0]
	;; [unrolled: 23-line block ×3, first 2 shown]
	s_wait_loadcnt 0x1
	v_fma_mix_f32 v11, v44, v52, v11 op_sel_hi:[1,1,0]
	v_fma_mix_f32 v12, v44, v52, v12 op_sel:[1,0,0] op_sel_hi:[1,1,0]
	v_fma_mix_f32 v15, v45, v52, v15 op_sel_hi:[1,1,0]
	v_fma_mix_f32 v16, v45, v52, v16 op_sel:[1,0,0] op_sel_hi:[1,1,0]
	s_delay_alu instid0(VALU_DEP_4) | instskip(NEXT) | instid1(VALU_DEP_4)
	v_fma_mix_f32 v11, v46, v52, v11 op_sel:[0,1,0] op_sel_hi:[1,1,0]
	v_fma_mix_f32 v12, v46, v52, v12 op_sel:[1,1,0] op_sel_hi:[1,1,0]
	s_delay_alu instid0(VALU_DEP_4) | instskip(NEXT) | instid1(VALU_DEP_4)
	v_fma_mix_f32 v15, v47, v52, v15 op_sel:[0,1,0] op_sel_hi:[1,1,0]
	v_fma_mix_f32 v16, v47, v52, v16 op_sel:[1,1,0] op_sel_hi:[1,1,0]
	s_wait_loadcnt 0x0
	v_fma_mix_f32 v11, v48, v53, v11 op_sel_hi:[1,1,0]
	v_fma_mix_f32 v17, v48, v53, v12 op_sel:[1,0,0] op_sel_hi:[1,1,0]
	v_fma_mix_f32 v15, v49, v53, v15 op_sel_hi:[1,1,0]
	v_fma_mix_f32 v16, v49, v53, v16 op_sel:[1,0,0] op_sel_hi:[1,1,0]
	s_delay_alu instid0(VALU_DEP_4) | instskip(NEXT) | instid1(VALU_DEP_4)
	v_fma_mix_f32 v12, v50, v53, v11 op_sel:[0,1,0] op_sel_hi:[1,1,0]
	v_fma_mix_f32 v27, v50, v53, v17 op_sel:[1,1,0] op_sel_hi:[1,1,0]
	s_delay_alu instid0(VALU_DEP_4) | instskip(NEXT) | instid1(VALU_DEP_4)
	v_fma_mix_f32 v26, v51, v53, v15 op_sel:[0,1,0] op_sel_hi:[1,1,0]
	v_fma_mix_f32 v25, v51, v53, v16 op_sel:[1,1,0] op_sel_hi:[1,1,0]
	s_wait_alu 0xfffe
	s_and_not1_b32 exec_lo, exec_lo, s7
	s_cbranch_execnz .LBB100_35
; %bb.36:
	s_or_b32 exec_lo, exec_lo, s7
.LBB100_37:
	s_wait_alu 0xfffe
	s_or_b32 exec_lo, exec_lo, s6
.LBB100_38:
	s_wait_alu 0xfffe
	s_or_b32 exec_lo, exec_lo, s3
.LBB100_39:
	v_mbcnt_lo_u32_b32 v1, -1, 0
	s_mov_b32 s2, -1
	s_delay_alu instid0(VALU_DEP_1) | instskip(NEXT) | instid1(VALU_DEP_1)
	v_xor_b32_e32 v2, 2, v1
	v_cmp_gt_i32_e32 vcc_lo, 32, v2
	s_wait_alu 0xfffd
	v_cndmask_b32_e32 v2, v1, v2, vcc_lo
	s_delay_alu instid0(VALU_DEP_1)
	v_lshlrev_b32_e32 v2, 2, v2
	ds_bpermute_b32 v5, v2, v12
	ds_bpermute_b32 v6, v2, v27
	;; [unrolled: 1-line block ×4, first 2 shown]
	v_xor_b32_e32 v2, 1, v1
	s_delay_alu instid0(VALU_DEP_1) | instskip(SKIP_3) | instid1(VALU_DEP_2)
	v_cmp_gt_i32_e32 vcc_lo, 32, v2
	s_wait_alu 0xfffd
	v_cndmask_b32_e32 v1, v1, v2, vcc_lo
	v_cmp_eq_u32_e32 vcc_lo, 3, v0
	v_lshlrev_b32_e32 v10, 2, v1
	s_wait_dscnt 0x2
	v_dual_add_f32 v1, v12, v5 :: v_dual_add_f32 v2, v27, v6
	s_wait_dscnt 0x0
	v_dual_add_f32 v5, v26, v7 :: v_dual_add_f32 v6, v25, v8
	ds_bpermute_b32 v7, v10, v1
	ds_bpermute_b32 v8, v10, v2
	;; [unrolled: 1-line block ×4, first 2 shown]
	s_and_b32 exec_lo, exec_lo, vcc_lo
	s_cbranch_execz .LBB100_10
; %bb.40:
	s_load_b64 s[0:1], s[0:1], 0x58
	s_wait_dscnt 0x2
	v_dual_add_f32 v0, v1, v7 :: v_dual_add_f32 v1, v2, v8
	s_wait_dscnt 0x0
	v_add_f32_e32 v6, v6, v10
	s_cmp_eq_f32 s16, 0
	s_delay_alu instid0(VALU_DEP_2) | instskip(SKIP_3) | instid1(VALU_DEP_3)
	v_dual_mul_f32 v0, s12, v0 :: v_dual_mul_f32 v1, s12, v1
	v_add_f32_e32 v2, v5, v9
	v_lshlrev_b64_e32 v[4:5], 4, v[3:4]
	v_mul_f32_e32 v3, s12, v6
	v_mul_f32_e32 v2, s12, v2
	s_cbranch_scc0 .LBB100_42
; %bb.41:
	s_wait_kmcnt 0x0
	s_delay_alu instid0(VALU_DEP_3)
	v_add_co_u32 v6, vcc_lo, s0, v4
	s_wait_alu 0xfffd
	v_add_co_ci_u32_e64 v7, null, s1, v5, vcc_lo
	s_mov_b32 s2, 0
	global_store_b128 v[6:7], v[0:3], off
.LBB100_42:
	s_wait_alu 0xfffe
	s_and_not1_b32 vcc_lo, exec_lo, s2
	s_wait_alu 0xfffe
	s_cbranch_vccnz .LBB100_10
; %bb.43:
	s_wait_kmcnt 0x0
	v_add_co_u32 v8, vcc_lo, s0, v4
	s_wait_alu 0xfffd
	v_add_co_ci_u32_e64 v9, null, s1, v5, vcc_lo
	global_load_b128 v[4:7], v[8:9], off
	s_wait_loadcnt 0x0
	v_dual_fmac_f32 v0, s16, v4 :: v_dual_fmac_f32 v1, s16, v5
	v_dual_fmac_f32 v2, s16, v6 :: v_dual_fmac_f32 v3, s16, v7
	global_store_b128 v[8:9], v[0:3], off
	s_endpgm
	.section	.rodata,"a",@progbits
	.p2align	6, 0x0
	.amdhsa_kernel _ZN9rocsparseL18bsrxmvn_4x4_kernelILj128ELj4EfllDF16_DF16_fEEvT3_20rocsparse_direction_NS_24const_host_device_scalarIT1_EES1_PKS1_PKT2_SA_S7_PKT4_PKT5_S5_PT6_21rocsparse_index_base_b
		.amdhsa_group_segment_fixed_size 0
		.amdhsa_private_segment_fixed_size 0
		.amdhsa_kernarg_size 104
		.amdhsa_user_sgpr_count 2
		.amdhsa_user_sgpr_dispatch_ptr 0
		.amdhsa_user_sgpr_queue_ptr 0
		.amdhsa_user_sgpr_kernarg_segment_ptr 1
		.amdhsa_user_sgpr_dispatch_id 0
		.amdhsa_user_sgpr_private_segment_size 0
		.amdhsa_wavefront_size32 1
		.amdhsa_uses_dynamic_stack 0
		.amdhsa_enable_private_segment 0
		.amdhsa_system_sgpr_workgroup_id_x 1
		.amdhsa_system_sgpr_workgroup_id_y 0
		.amdhsa_system_sgpr_workgroup_id_z 0
		.amdhsa_system_sgpr_workgroup_info 0
		.amdhsa_system_vgpr_workitem_id 0
		.amdhsa_next_free_vgpr 64
		.amdhsa_next_free_sgpr 18
		.amdhsa_reserve_vcc 1
		.amdhsa_float_round_mode_32 0
		.amdhsa_float_round_mode_16_64 0
		.amdhsa_float_denorm_mode_32 3
		.amdhsa_float_denorm_mode_16_64 3
		.amdhsa_fp16_overflow 0
		.amdhsa_workgroup_processor_mode 1
		.amdhsa_memory_ordered 1
		.amdhsa_forward_progress 1
		.amdhsa_inst_pref_size 38
		.amdhsa_round_robin_scheduling 0
		.amdhsa_exception_fp_ieee_invalid_op 0
		.amdhsa_exception_fp_denorm_src 0
		.amdhsa_exception_fp_ieee_div_zero 0
		.amdhsa_exception_fp_ieee_overflow 0
		.amdhsa_exception_fp_ieee_underflow 0
		.amdhsa_exception_fp_ieee_inexact 0
		.amdhsa_exception_int_div_zero 0
	.end_amdhsa_kernel
	.section	.text._ZN9rocsparseL18bsrxmvn_4x4_kernelILj128ELj4EfllDF16_DF16_fEEvT3_20rocsparse_direction_NS_24const_host_device_scalarIT1_EES1_PKS1_PKT2_SA_S7_PKT4_PKT5_S5_PT6_21rocsparse_index_base_b,"axG",@progbits,_ZN9rocsparseL18bsrxmvn_4x4_kernelILj128ELj4EfllDF16_DF16_fEEvT3_20rocsparse_direction_NS_24const_host_device_scalarIT1_EES1_PKS1_PKT2_SA_S7_PKT4_PKT5_S5_PT6_21rocsparse_index_base_b,comdat
.Lfunc_end100:
	.size	_ZN9rocsparseL18bsrxmvn_4x4_kernelILj128ELj4EfllDF16_DF16_fEEvT3_20rocsparse_direction_NS_24const_host_device_scalarIT1_EES1_PKS1_PKT2_SA_S7_PKT4_PKT5_S5_PT6_21rocsparse_index_base_b, .Lfunc_end100-_ZN9rocsparseL18bsrxmvn_4x4_kernelILj128ELj4EfllDF16_DF16_fEEvT3_20rocsparse_direction_NS_24const_host_device_scalarIT1_EES1_PKS1_PKT2_SA_S7_PKT4_PKT5_S5_PT6_21rocsparse_index_base_b
                                        ; -- End function
	.set _ZN9rocsparseL18bsrxmvn_4x4_kernelILj128ELj4EfllDF16_DF16_fEEvT3_20rocsparse_direction_NS_24const_host_device_scalarIT1_EES1_PKS1_PKT2_SA_S7_PKT4_PKT5_S5_PT6_21rocsparse_index_base_b.num_vgpr, 64
	.set _ZN9rocsparseL18bsrxmvn_4x4_kernelILj128ELj4EfllDF16_DF16_fEEvT3_20rocsparse_direction_NS_24const_host_device_scalarIT1_EES1_PKS1_PKT2_SA_S7_PKT4_PKT5_S5_PT6_21rocsparse_index_base_b.num_agpr, 0
	.set _ZN9rocsparseL18bsrxmvn_4x4_kernelILj128ELj4EfllDF16_DF16_fEEvT3_20rocsparse_direction_NS_24const_host_device_scalarIT1_EES1_PKS1_PKT2_SA_S7_PKT4_PKT5_S5_PT6_21rocsparse_index_base_b.numbered_sgpr, 18
	.set _ZN9rocsparseL18bsrxmvn_4x4_kernelILj128ELj4EfllDF16_DF16_fEEvT3_20rocsparse_direction_NS_24const_host_device_scalarIT1_EES1_PKS1_PKT2_SA_S7_PKT4_PKT5_S5_PT6_21rocsparse_index_base_b.num_named_barrier, 0
	.set _ZN9rocsparseL18bsrxmvn_4x4_kernelILj128ELj4EfllDF16_DF16_fEEvT3_20rocsparse_direction_NS_24const_host_device_scalarIT1_EES1_PKS1_PKT2_SA_S7_PKT4_PKT5_S5_PT6_21rocsparse_index_base_b.private_seg_size, 0
	.set _ZN9rocsparseL18bsrxmvn_4x4_kernelILj128ELj4EfllDF16_DF16_fEEvT3_20rocsparse_direction_NS_24const_host_device_scalarIT1_EES1_PKS1_PKT2_SA_S7_PKT4_PKT5_S5_PT6_21rocsparse_index_base_b.uses_vcc, 1
	.set _ZN9rocsparseL18bsrxmvn_4x4_kernelILj128ELj4EfllDF16_DF16_fEEvT3_20rocsparse_direction_NS_24const_host_device_scalarIT1_EES1_PKS1_PKT2_SA_S7_PKT4_PKT5_S5_PT6_21rocsparse_index_base_b.uses_flat_scratch, 0
	.set _ZN9rocsparseL18bsrxmvn_4x4_kernelILj128ELj4EfllDF16_DF16_fEEvT3_20rocsparse_direction_NS_24const_host_device_scalarIT1_EES1_PKS1_PKT2_SA_S7_PKT4_PKT5_S5_PT6_21rocsparse_index_base_b.has_dyn_sized_stack, 0
	.set _ZN9rocsparseL18bsrxmvn_4x4_kernelILj128ELj4EfllDF16_DF16_fEEvT3_20rocsparse_direction_NS_24const_host_device_scalarIT1_EES1_PKS1_PKT2_SA_S7_PKT4_PKT5_S5_PT6_21rocsparse_index_base_b.has_recursion, 0
	.set _ZN9rocsparseL18bsrxmvn_4x4_kernelILj128ELj4EfllDF16_DF16_fEEvT3_20rocsparse_direction_NS_24const_host_device_scalarIT1_EES1_PKS1_PKT2_SA_S7_PKT4_PKT5_S5_PT6_21rocsparse_index_base_b.has_indirect_call, 0
	.section	.AMDGPU.csdata,"",@progbits
; Kernel info:
; codeLenInByte = 4808
; TotalNumSgprs: 20
; NumVgprs: 64
; ScratchSize: 0
; MemoryBound: 0
; FloatMode: 240
; IeeeMode: 1
; LDSByteSize: 0 bytes/workgroup (compile time only)
; SGPRBlocks: 0
; VGPRBlocks: 7
; NumSGPRsForWavesPerEU: 20
; NumVGPRsForWavesPerEU: 64
; Occupancy: 16
; WaveLimiterHint : 1
; COMPUTE_PGM_RSRC2:SCRATCH_EN: 0
; COMPUTE_PGM_RSRC2:USER_SGPR: 2
; COMPUTE_PGM_RSRC2:TRAP_HANDLER: 0
; COMPUTE_PGM_RSRC2:TGID_X_EN: 1
; COMPUTE_PGM_RSRC2:TGID_Y_EN: 0
; COMPUTE_PGM_RSRC2:TGID_Z_EN: 0
; COMPUTE_PGM_RSRC2:TIDIG_COMP_CNT: 0
	.section	.text._ZN9rocsparseL18bsrxmvn_4x4_kernelILj128ELj8EfllDF16_DF16_fEEvT3_20rocsparse_direction_NS_24const_host_device_scalarIT1_EES1_PKS1_PKT2_SA_S7_PKT4_PKT5_S5_PT6_21rocsparse_index_base_b,"axG",@progbits,_ZN9rocsparseL18bsrxmvn_4x4_kernelILj128ELj8EfllDF16_DF16_fEEvT3_20rocsparse_direction_NS_24const_host_device_scalarIT1_EES1_PKS1_PKT2_SA_S7_PKT4_PKT5_S5_PT6_21rocsparse_index_base_b,comdat
	.globl	_ZN9rocsparseL18bsrxmvn_4x4_kernelILj128ELj8EfllDF16_DF16_fEEvT3_20rocsparse_direction_NS_24const_host_device_scalarIT1_EES1_PKS1_PKT2_SA_S7_PKT4_PKT5_S5_PT6_21rocsparse_index_base_b ; -- Begin function _ZN9rocsparseL18bsrxmvn_4x4_kernelILj128ELj8EfllDF16_DF16_fEEvT3_20rocsparse_direction_NS_24const_host_device_scalarIT1_EES1_PKS1_PKT2_SA_S7_PKT4_PKT5_S5_PT6_21rocsparse_index_base_b
	.p2align	8
	.type	_ZN9rocsparseL18bsrxmvn_4x4_kernelILj128ELj8EfllDF16_DF16_fEEvT3_20rocsparse_direction_NS_24const_host_device_scalarIT1_EES1_PKS1_PKT2_SA_S7_PKT4_PKT5_S5_PT6_21rocsparse_index_base_b,@function
_ZN9rocsparseL18bsrxmvn_4x4_kernelILj128ELj8EfllDF16_DF16_fEEvT3_20rocsparse_direction_NS_24const_host_device_scalarIT1_EES1_PKS1_PKT2_SA_S7_PKT4_PKT5_S5_PT6_21rocsparse_index_base_b: ; @_ZN9rocsparseL18bsrxmvn_4x4_kernelILj128ELj8EfllDF16_DF16_fEEvT3_20rocsparse_direction_NS_24const_host_device_scalarIT1_EES1_PKS1_PKT2_SA_S7_PKT4_PKT5_S5_PT6_21rocsparse_index_base_b
; %bb.0:
	s_clause 0x2
	s_load_b64 s[2:3], s[0:1], 0x60
	s_load_b128 s[12:15], s[0:1], 0x10
	s_load_b64 s[16:17], s[0:1], 0x50
	s_wait_kmcnt 0x0
	s_bitcmp1_b32 s3, 0
	s_cselect_b32 s3, -1, 0
	s_delay_alu instid0(SALU_CYCLE_1)
	s_and_b32 vcc_lo, exec_lo, s3
	s_xor_b32 s3, s3, -1
	s_cbranch_vccnz .LBB101_2
; %bb.1:
	s_load_b32 s12, s[12:13], 0x0
.LBB101_2:
	s_and_not1_b32 vcc_lo, exec_lo, s3
	s_cbranch_vccnz .LBB101_4
; %bb.3:
	s_load_b32 s16, s[16:17], 0x0
.LBB101_4:
	s_wait_kmcnt 0x0
	s_cmp_neq_f32 s12, 0
	s_mov_b32 s6, 0
	s_cselect_b32 s3, -1, 0
	s_cmp_neq_f32 s16, 1.0
	s_cselect_b32 s4, -1, 0
	s_delay_alu instid0(SALU_CYCLE_1) | instskip(NEXT) | instid1(SALU_CYCLE_1)
	s_or_b32 s3, s3, s4
	s_and_not1_b32 vcc_lo, exec_lo, s3
	s_cbranch_vccnz .LBB101_10
; %bb.5:
	s_load_b64 s[4:5], s[0:1], 0x20
	v_lshrrev_b32_e32 v1, 3, v0
	v_mov_b32_e32 v6, 0
	s_delay_alu instid0(VALU_DEP_2)
	v_lshl_or_b32 v5, ttmp9, 4, v1
	s_wait_kmcnt 0x0
	s_cmp_lg_u64 s[4:5], 0
	s_cbranch_scc0 .LBB101_11
; %bb.6:
	s_mov_b32 s7, 0
                                        ; implicit-def: $vgpr3_vgpr4
                                        ; implicit-def: $vgpr1_vgpr2
	s_mov_b32 s3, exec_lo
	v_cmpx_gt_i64_e64 s[14:15], v[5:6]
	s_xor_b32 s8, exec_lo, s3
	s_cbranch_execz .LBB101_8
; %bb.7:
	v_lshlrev_b64_e32 v[1:2], 3, v[5:6]
	s_mov_b32 s3, 0
	s_mov_b32 s6, exec_lo
	s_delay_alu instid0(VALU_DEP_1) | instskip(NEXT) | instid1(VALU_DEP_1)
	v_add_co_u32 v1, vcc_lo, s4, v1
	v_add_co_ci_u32_e64 v2, null, s5, v2, vcc_lo
	global_load_b64 v[1:2], v[1:2], off
	s_wait_loadcnt 0x0
	v_sub_co_u32 v3, vcc_lo, v1, s2
	s_wait_alu 0xfffd
	v_subrev_co_ci_u32_e64 v4, null, 0, v2, vcc_lo
	v_dual_mov_b32 v1, s2 :: v_dual_mov_b32 v2, s3
.LBB101_8:
	s_or_b32 exec_lo, exec_lo, s8
	s_delay_alu instid0(SALU_CYCLE_1)
	s_and_b32 vcc_lo, exec_lo, s7
	s_wait_alu 0xfffe
	s_cbranch_vccnz .LBB101_12
.LBB101_9:
	s_and_saveexec_b32 s2, s6
	s_cbranch_execnz .LBB101_15
.LBB101_10:
	s_endpgm
.LBB101_11:
                                        ; implicit-def: $vgpr3_vgpr4
                                        ; implicit-def: $vgpr1_vgpr2
	s_cbranch_execz .LBB101_9
.LBB101_12:
	s_load_b64 s[4:5], s[0:1], 0x0
	s_wait_kmcnt 0x0
	v_cmp_gt_i64_e32 vcc_lo, s[4:5], v[5:6]
	s_and_saveexec_b32 s4, vcc_lo
; %bb.13:
	s_mov_b32 s3, 0
	s_or_b32 s6, s6, exec_lo
; %bb.14:
	s_wait_alu 0xfffe
	s_or_b32 exec_lo, exec_lo, s4
	v_dual_mov_b32 v1, s2 :: v_dual_mov_b32 v2, s3
	v_dual_mov_b32 v3, v5 :: v_dual_mov_b32 v4, v6
	s_and_saveexec_b32 s2, s6
	s_cbranch_execz .LBB101_10
.LBB101_15:
	s_load_b256 s[4:11], s[0:1], 0x28
	s_delay_alu instid0(VALU_DEP_1) | instskip(SKIP_3) | instid1(VALU_DEP_2)
	v_lshlrev_b64_e32 v[5:6], 3, v[3:4]
	v_dual_mov_b32 v25, 0 :: v_dual_and_b32 v0, 7, v0
	s_load_b32 s3, s[0:1], 0x8
	s_wait_kmcnt 0x0
	v_add_co_u32 v7, vcc_lo, s4, v5
	s_wait_alu 0xfffd
	v_add_co_ci_u32_e64 v8, null, s5, v6, vcc_lo
	v_add_co_u32 v5, vcc_lo, s6, v5
	s_wait_alu 0xfffd
	v_add_co_ci_u32_e64 v6, null, s7, v6, vcc_lo
	v_add_co_u32 v9, vcc_lo, v7, 8
	global_load_b64 v[13:14], v[7:8], off
	s_wait_alu 0xfffd
	v_add_co_ci_u32_e64 v10, null, 0, v8, vcc_lo
	s_cmp_eq_u64 s[6:7], 0
	s_load_b64 s[4:5], s[0:1], 0x48
	s_cselect_b32 vcc_lo, -1, 0
	s_cmp_eq_u32 s3, 1
	s_wait_alu 0xfffe
	v_dual_cndmask_b32 v6, v6, v10 :: v_dual_cndmask_b32 v5, v5, v9
	global_load_b64 v[7:8], v[5:6], off
	s_wait_loadcnt 0x1
	v_sub_co_u32 v5, vcc_lo, v13, v1
	s_wait_alu 0xfffd
	v_sub_co_ci_u32_e64 v6, null, v14, v2, vcc_lo
	s_delay_alu instid0(VALU_DEP_2) | instskip(SKIP_1) | instid1(VALU_DEP_2)
	v_add_co_u32 v5, vcc_lo, v5, v0
	s_wait_alu 0xfffd
	v_add_co_ci_u32_e64 v6, null, 0, v6, vcc_lo
	s_delay_alu instid0(VALU_DEP_1) | instskip(SKIP_4) | instid1(VALU_DEP_3)
	v_lshlrev_b64_e32 v[9:10], 5, v[5:6]
	s_wait_loadcnt 0x0
	v_sub_co_u32 v7, vcc_lo, v7, v1
	s_wait_alu 0xfffd
	v_sub_co_ci_u32_e64 v8, null, v8, v2, vcc_lo
	v_add_co_u32 v9, vcc_lo, s10, v9
	s_delay_alu instid0(VALU_DEP_2)
	v_cmp_lt_i64_e64 s2, v[5:6], v[7:8]
	s_wait_alu 0xfffd
	v_add_co_ci_u32_e64 v10, null, s11, v10, vcc_lo
	s_cbranch_scc1 .LBB101_27
; %bb.16:
	v_dual_mov_b32 v26, 0 :: v_dual_mov_b32 v27, 0
	v_mov_b32_e32 v12, 0
	s_and_saveexec_b32 s6, s2
	s_cbranch_execz .LBB101_26
; %bb.17:
	v_or_b32_e32 v11, 8, v0
	v_not_b32_e32 v16, v13
	v_sub_co_u32 v17, s3, v1, v0
	v_not_b32_e32 v15, v14
	s_delay_alu instid0(VALU_DEP_4)
	v_sub_co_u32 v11, vcc_lo, v11, v1
	s_wait_alu 0xfffd
	v_sub_co_ci_u32_e64 v12, null, 0, v2, vcc_lo
	s_wait_alu 0xf1ff
	v_subrev_co_ci_u32_e64 v18, null, 0, v2, s3
	v_add_co_u32 v11, vcc_lo, v11, v13
	s_wait_alu 0xfffd
	v_add_co_ci_u32_e64 v12, null, v12, v14, vcc_lo
	s_mov_b32 s3, exec_lo
	v_cmp_gt_i64_e32 vcc_lo, v[11:12], v[7:8]
	s_wait_alu 0xfffd
	v_dual_cndmask_b32 v20, v8, v12 :: v_dual_cndmask_b32 v11, v7, v11
	v_add_co_u32 v12, vcc_lo, v17, v16
	s_wait_alu 0xfffd
	v_add_co_ci_u32_e64 v15, null, v18, v15, vcc_lo
	v_mov_b32_e32 v18, v10
	s_delay_alu instid0(VALU_DEP_3) | instskip(SKIP_3) | instid1(VALU_DEP_3)
	v_add_co_u32 v19, vcc_lo, v12, v11
	v_mov_b32_e32 v12, 0
	s_wait_alu 0xfffd
	v_add_co_ci_u32_e64 v20, null, v15, v20, vcc_lo
	v_dual_mov_b32 v16, v6 :: v_dual_and_b32 v11, 24, v19
	s_delay_alu instid0(VALU_DEP_3)
	v_mov_b32_e32 v25, v12
	v_mov_b32_e32 v15, v5
	v_dual_mov_b32 v27, v12 :: v_dual_mov_b32 v26, v12
	v_mov_b32_e32 v17, v9
	v_cmpx_ne_u64_e32 24, v[11:12]
	s_cbranch_execz .LBB101_21
; %bb.18:
	v_lshrrev_b32_e32 v11, 3, v19
	v_dual_mov_b32 v25, 0 :: v_dual_mov_b32 v18, v10
	v_dual_mov_b32 v17, v9 :: v_dual_mov_b32 v26, 0
	s_delay_alu instid0(VALU_DEP_3) | instskip(SKIP_3) | instid1(VALU_DEP_4)
	v_dual_mov_b32 v16, v6 :: v_dual_add_nc_u32 v21, 1, v11
	v_lshlrev_b64_e32 v[11:12], 3, v[5:6]
	v_mov_b32_e32 v15, v5
	v_mov_b32_e32 v27, 0
	v_and_b32_e32 v23, 3, v21
	s_delay_alu instid0(VALU_DEP_4) | instskip(NEXT) | instid1(VALU_DEP_2)
	v_add_co_u32 v21, vcc_lo, s8, v11
	v_sub_co_u32 v23, s7, 0, v23
	s_wait_alu 0xfffd
	v_add_co_ci_u32_e64 v22, null, s9, v12, vcc_lo
	s_wait_alu 0xf1ff
	v_sub_co_ci_u32_e64 v24, null, 0, 0, s7
	v_mov_b32_e32 v12, 0
	s_mov_b32 s7, 0
.LBB101_19:                             ; =>This Inner Loop Header: Depth=1
	global_load_b64 v[36:37], v[21:22], off
	s_clause 0x1
	global_load_b128 v[28:31], v[17:18], off
	global_load_b128 v[32:35], v[17:18], off offset:16
	s_wait_loadcnt 0x2
	v_sub_co_u32 v36, vcc_lo, v36, v1
	s_wait_alu 0xfffd
	v_sub_co_ci_u32_e64 v37, null, v37, v2, vcc_lo
	s_delay_alu instid0(VALU_DEP_1) | instskip(SKIP_1) | instid1(VALU_DEP_1)
	v_lshlrev_b64_e32 v[36:37], 3, v[36:37]
	s_wait_kmcnt 0x0
	v_add_co_u32 v36, vcc_lo, s4, v36
	s_wait_alu 0xfffd
	s_delay_alu instid0(VALU_DEP_2)
	v_add_co_ci_u32_e64 v37, null, s5, v37, vcc_lo
	v_add_co_u32 v17, vcc_lo, 0x100, v17
	s_wait_alu 0xfffd
	v_add_co_ci_u32_e64 v18, null, 0, v18, vcc_lo
	global_load_b64 v[36:37], v[36:37], off
	v_add_co_u32 v15, vcc_lo, v15, 8
	s_wait_alu 0xfffd
	v_add_co_ci_u32_e64 v16, null, 0, v16, vcc_lo
	v_add_co_u32 v21, vcc_lo, v21, 64
	s_wait_alu 0xfffd
	v_add_co_ci_u32_e64 v22, null, 0, v22, vcc_lo
	;; [unrolled: 3-line block ×3, first 2 shown]
	s_delay_alu instid0(VALU_DEP_1)
	v_cmp_eq_u64_e32 vcc_lo, 0, v[23:24]
	s_wait_alu 0xfffe
	s_or_b32 s7, vcc_lo, s7
	s_wait_loadcnt 0x0
	v_fma_mix_f32 v11, v28, v36, v12 op_sel_hi:[1,1,0]
	v_fma_mix_f32 v12, v30, v36, v27 op_sel_hi:[1,1,0]
	;; [unrolled: 1-line block ×4, first 2 shown]
	s_delay_alu instid0(VALU_DEP_4) | instskip(NEXT) | instid1(VALU_DEP_4)
	v_fma_mix_f32 v11, v28, v36, v11 op_sel:[1,1,0] op_sel_hi:[1,1,0]
	v_fma_mix_f32 v12, v30, v36, v12 op_sel:[1,1,0] op_sel_hi:[1,1,0]
	s_delay_alu instid0(VALU_DEP_4) | instskip(NEXT) | instid1(VALU_DEP_4)
	v_fma_mix_f32 v26, v32, v36, v26 op_sel:[1,1,0] op_sel_hi:[1,1,0]
	v_fma_mix_f32 v25, v34, v36, v25 op_sel:[1,1,0] op_sel_hi:[1,1,0]
	s_delay_alu instid0(VALU_DEP_4) | instskip(NEXT) | instid1(VALU_DEP_4)
	v_fma_mix_f32 v11, v29, v37, v11 op_sel_hi:[1,1,0]
	v_fma_mix_f32 v27, v31, v37, v12 op_sel_hi:[1,1,0]
	s_delay_alu instid0(VALU_DEP_4) | instskip(NEXT) | instid1(VALU_DEP_4)
	v_fma_mix_f32 v26, v33, v37, v26 op_sel_hi:[1,1,0]
	v_fma_mix_f32 v25, v35, v37, v25 op_sel_hi:[1,1,0]
	s_delay_alu instid0(VALU_DEP_4) | instskip(NEXT) | instid1(VALU_DEP_4)
	v_fma_mix_f32 v12, v29, v37, v11 op_sel:[1,1,0] op_sel_hi:[1,1,0]
	v_fma_mix_f32 v27, v31, v37, v27 op_sel:[1,1,0] op_sel_hi:[1,1,0]
	s_delay_alu instid0(VALU_DEP_4) | instskip(NEXT) | instid1(VALU_DEP_4)
	v_fma_mix_f32 v26, v33, v37, v26 op_sel:[1,1,0] op_sel_hi:[1,1,0]
	v_fma_mix_f32 v25, v35, v37, v25 op_sel:[1,1,0] op_sel_hi:[1,1,0]
	s_wait_alu 0xfffe
	s_and_not1_b32 exec_lo, exec_lo, s7
	s_cbranch_execnz .LBB101_19
; %bb.20:
	s_or_b32 exec_lo, exec_lo, s7
.LBB101_21:
	s_wait_alu 0xfffe
	s_or_b32 exec_lo, exec_lo, s3
	s_delay_alu instid0(SALU_CYCLE_1)
	s_mov_b32 s7, exec_lo
	v_cmpx_lt_u64_e32 23, v[19:20]
	s_cbranch_execz .LBB101_25
; %bb.22:
	v_lshlrev_b64_e32 v[19:20], 3, v[15:16]
	s_mov_b32 s10, 0
	s_delay_alu instid0(VALU_DEP_1) | instskip(SKIP_1) | instid1(VALU_DEP_2)
	v_add_co_u32 v11, vcc_lo, s8, v19
	s_wait_alu 0xfffd
	v_add_co_ci_u32_e64 v20, null, s9, v20, vcc_lo
	s_delay_alu instid0(VALU_DEP_2) | instskip(SKIP_1) | instid1(VALU_DEP_2)
	v_add_co_u32 v19, vcc_lo, 0x80, v11
	s_wait_alu 0xfffd
	v_add_co_ci_u32_e64 v20, null, 0, v20, vcc_lo
.LBB101_23:                             ; =>This Inner Loop Header: Depth=1
	s_clause 0x3
	global_load_b64 v[56:57], v[19:20], off offset:-128
	global_load_b64 v[58:59], v[19:20], off offset:-64
	global_load_b64 v[60:61], v[19:20], off
	global_load_b64 v[62:63], v[19:20], off offset:64
	s_clause 0x7
	global_load_b128 v[21:24], v[17:18], off
	global_load_b128 v[28:31], v[17:18], off offset:16
	global_load_b128 v[32:35], v[17:18], off offset:256
	;; [unrolled: 1-line block ×7, first 2 shown]
	s_wait_loadcnt 0xb
	v_sub_co_u32 v56, vcc_lo, v56, v1
	s_wait_alu 0xfffd
	v_sub_co_ci_u32_e64 v57, null, v57, v2, vcc_lo
	s_wait_loadcnt 0xa
	v_sub_co_u32 v58, vcc_lo, v58, v1
	s_wait_alu 0xfffd
	v_sub_co_ci_u32_e64 v59, null, v59, v2, vcc_lo
	v_lshlrev_b64_e32 v[56:57], 3, v[56:57]
	s_wait_loadcnt 0x9
	v_sub_co_u32 v60, vcc_lo, v60, v1
	s_delay_alu instid0(VALU_DEP_3)
	v_lshlrev_b64_e32 v[58:59], 3, v[58:59]
	s_wait_alu 0xfffd
	v_sub_co_ci_u32_e64 v61, null, v61, v2, vcc_lo
	s_wait_kmcnt 0x0
	v_add_co_u32 v56, s3, s4, v56
	s_wait_alu 0xf1ff
	v_add_co_ci_u32_e64 v57, null, s5, v57, s3
	v_add_co_u32 v58, vcc_lo, s4, v58
	s_wait_alu 0xfffd
	v_add_co_ci_u32_e64 v59, null, s5, v59, vcc_lo
	global_load_b64 v[56:57], v[56:57], off
	v_lshlrev_b64_e32 v[60:61], 3, v[60:61]
	s_wait_loadcnt 0x9
	v_sub_co_u32 v62, vcc_lo, v62, v1
	global_load_b64 v[58:59], v[58:59], off
	s_wait_alu 0xfffd
	v_sub_co_ci_u32_e64 v63, null, v63, v2, vcc_lo
	v_add_co_u32 v60, s3, s4, v60
	s_wait_alu 0xf1ff
	v_add_co_ci_u32_e64 v61, null, s5, v61, s3
	s_delay_alu instid0(VALU_DEP_3)
	v_lshlrev_b64_e32 v[62:63], 3, v[62:63]
	global_load_b64 v[60:61], v[60:61], off
	v_add_co_u32 v62, vcc_lo, s4, v62
	s_wait_alu 0xfffd
	v_add_co_ci_u32_e64 v63, null, s5, v63, vcc_lo
	v_add_co_u32 v17, vcc_lo, 0x400, v17
	s_wait_alu 0xfffd
	v_add_co_ci_u32_e64 v18, null, 0, v18, vcc_lo
	global_load_b64 v[62:63], v[62:63], off
	v_add_co_u32 v15, vcc_lo, v15, 32
	s_wait_alu 0xfffd
	v_add_co_ci_u32_e64 v16, null, 0, v16, vcc_lo
	v_add_co_u32 v19, vcc_lo, 0x100, v19
	s_wait_alu 0xfffd
	v_add_co_ci_u32_e64 v20, null, 0, v20, vcc_lo
	s_delay_alu instid0(VALU_DEP_3)
	v_cmp_ge_i64_e32 vcc_lo, v[15:16], v[7:8]
	s_wait_alu 0xfffe
	s_or_b32 s10, vcc_lo, s10
	s_wait_loadcnt 0x3
	v_fma_mix_f32 v11, v21, v56, v12 op_sel_hi:[1,1,0]
	v_fma_mix_f32 v12, v23, v56, v27 op_sel_hi:[1,1,0]
	v_fma_mix_f32 v26, v28, v56, v26 op_sel_hi:[1,1,0]
	v_fma_mix_f32 v25, v30, v56, v25 op_sel_hi:[1,1,0]
	s_delay_alu instid0(VALU_DEP_4) | instskip(NEXT) | instid1(VALU_DEP_4)
	v_fma_mix_f32 v11, v21, v56, v11 op_sel:[1,1,0] op_sel_hi:[1,1,0]
	v_fma_mix_f32 v12, v23, v56, v12 op_sel:[1,1,0] op_sel_hi:[1,1,0]
	s_delay_alu instid0(VALU_DEP_4) | instskip(NEXT) | instid1(VALU_DEP_4)
	v_fma_mix_f32 v21, v28, v56, v26 op_sel:[1,1,0] op_sel_hi:[1,1,0]
	v_fma_mix_f32 v23, v30, v56, v25 op_sel:[1,1,0] op_sel_hi:[1,1,0]
	s_delay_alu instid0(VALU_DEP_4) | instskip(NEXT) | instid1(VALU_DEP_4)
	v_fma_mix_f32 v11, v22, v57, v11 op_sel_hi:[1,1,0]
	v_fma_mix_f32 v12, v24, v57, v12 op_sel_hi:[1,1,0]
	s_delay_alu instid0(VALU_DEP_4) | instskip(NEXT) | instid1(VALU_DEP_4)
	v_fma_mix_f32 v21, v29, v57, v21 op_sel_hi:[1,1,0]
	v_fma_mix_f32 v23, v31, v57, v23 op_sel_hi:[1,1,0]
	s_delay_alu instid0(VALU_DEP_4) | instskip(NEXT) | instid1(VALU_DEP_4)
	v_fma_mix_f32 v11, v22, v57, v11 op_sel:[1,1,0] op_sel_hi:[1,1,0]
	v_fma_mix_f32 v12, v24, v57, v12 op_sel:[1,1,0] op_sel_hi:[1,1,0]
	s_delay_alu instid0(VALU_DEP_4) | instskip(NEXT) | instid1(VALU_DEP_4)
	v_fma_mix_f32 v21, v29, v57, v21 op_sel:[1,1,0] op_sel_hi:[1,1,0]
	v_fma_mix_f32 v22, v31, v57, v23 op_sel:[1,1,0] op_sel_hi:[1,1,0]
	s_wait_loadcnt 0x2
	v_fma_mix_f32 v11, v32, v58, v11 op_sel_hi:[1,1,0]
	v_fma_mix_f32 v12, v34, v58, v12 op_sel_hi:[1,1,0]
	v_fma_mix_f32 v21, v36, v58, v21 op_sel_hi:[1,1,0]
	v_fma_mix_f32 v22, v38, v58, v22 op_sel_hi:[1,1,0]
	s_delay_alu instid0(VALU_DEP_4) | instskip(NEXT) | instid1(VALU_DEP_4)
	v_fma_mix_f32 v11, v32, v58, v11 op_sel:[1,1,0] op_sel_hi:[1,1,0]
	v_fma_mix_f32 v12, v34, v58, v12 op_sel:[1,1,0] op_sel_hi:[1,1,0]
	s_delay_alu instid0(VALU_DEP_4) | instskip(NEXT) | instid1(VALU_DEP_4)
	v_fma_mix_f32 v21, v36, v58, v21 op_sel:[1,1,0] op_sel_hi:[1,1,0]
	v_fma_mix_f32 v22, v38, v58, v22 op_sel:[1,1,0] op_sel_hi:[1,1,0]
	s_delay_alu instid0(VALU_DEP_4) | instskip(NEXT) | instid1(VALU_DEP_4)
	v_fma_mix_f32 v11, v33, v59, v11 op_sel_hi:[1,1,0]
	v_fma_mix_f32 v12, v35, v59, v12 op_sel_hi:[1,1,0]
	s_delay_alu instid0(VALU_DEP_4) | instskip(NEXT) | instid1(VALU_DEP_4)
	v_fma_mix_f32 v21, v37, v59, v21 op_sel_hi:[1,1,0]
	v_fma_mix_f32 v22, v39, v59, v22 op_sel_hi:[1,1,0]
	s_delay_alu instid0(VALU_DEP_4) | instskip(NEXT) | instid1(VALU_DEP_4)
	v_fma_mix_f32 v11, v33, v59, v11 op_sel:[1,1,0] op_sel_hi:[1,1,0]
	v_fma_mix_f32 v12, v35, v59, v12 op_sel:[1,1,0] op_sel_hi:[1,1,0]
	s_delay_alu instid0(VALU_DEP_4) | instskip(NEXT) | instid1(VALU_DEP_4)
	v_fma_mix_f32 v21, v37, v59, v21 op_sel:[1,1,0] op_sel_hi:[1,1,0]
	v_fma_mix_f32 v22, v39, v59, v22 op_sel:[1,1,0] op_sel_hi:[1,1,0]
	;; [unrolled: 23-line block ×4, first 2 shown]
	s_wait_alu 0xfffe
	s_and_not1_b32 exec_lo, exec_lo, s10
	s_cbranch_execnz .LBB101_23
; %bb.24:
	s_or_b32 exec_lo, exec_lo, s10
.LBB101_25:
	s_wait_alu 0xfffe
	s_or_b32 exec_lo, exec_lo, s7
.LBB101_26:
	s_wait_alu 0xfffe
	s_or_b32 exec_lo, exec_lo, s6
	s_cbranch_execz .LBB101_28
	s_branch .LBB101_39
.LBB101_27:
                                        ; implicit-def: $vgpr25
                                        ; implicit-def: $vgpr26
                                        ; implicit-def: $vgpr27
                                        ; implicit-def: $vgpr12
.LBB101_28:
	v_dual_mov_b32 v25, 0 :: v_dual_mov_b32 v26, 0
	v_dual_mov_b32 v27, 0 :: v_dual_mov_b32 v12, 0
	s_and_saveexec_b32 s3, s2
	s_cbranch_execz .LBB101_38
; %bb.29:
	v_or_b32_e32 v11, 8, v0
	v_sub_co_u32 v15, s2, v1, v0
	s_wait_alu 0xf1ff
	v_subrev_co_ci_u32_e64 v16, null, 0, v2, s2
	s_delay_alu instid0(VALU_DEP_3)
	v_sub_co_u32 v11, vcc_lo, v11, v1
	s_wait_alu 0xfffd
	v_sub_co_ci_u32_e64 v12, null, 0, v2, vcc_lo
	s_mov_b32 s2, exec_lo
	v_add_co_u32 v11, vcc_lo, v11, v13
	s_wait_alu 0xfffd
	v_add_co_ci_u32_e64 v12, null, v12, v14, vcc_lo
	v_not_b32_e32 v13, v13
	v_not_b32_e32 v14, v14
	s_delay_alu instid0(VALU_DEP_3)
	v_cmp_gt_i64_e32 vcc_lo, v[11:12], v[7:8]
	s_wait_alu 0xfffd
	v_cndmask_b32_e32 v17, v8, v12, vcc_lo
	v_cndmask_b32_e32 v11, v7, v11, vcc_lo
	v_add_co_u32 v12, vcc_lo, v15, v13
	s_wait_alu 0xfffd
	v_add_co_ci_u32_e64 v14, null, v16, v14, vcc_lo
	s_delay_alu instid0(VALU_DEP_2) | instskip(SKIP_2) | instid1(VALU_DEP_3)
	v_add_co_u32 v13, vcc_lo, v12, v11
	v_mov_b32_e32 v12, 0
	s_wait_alu 0xfffd
	v_add_co_ci_u32_e64 v14, null, v14, v17, vcc_lo
	s_delay_alu instid0(VALU_DEP_3) | instskip(NEXT) | instid1(VALU_DEP_3)
	v_and_b32_e32 v11, 24, v13
	v_dual_mov_b32 v27, v12 :: v_dual_mov_b32 v26, v12
	v_mov_b32_e32 v25, v12
	s_delay_alu instid0(VALU_DEP_3)
	v_cmpx_ne_u64_e32 24, v[11:12]
	s_cbranch_execz .LBB101_33
; %bb.30:
	v_lshrrev_b32_e32 v11, 3, v13
	v_mov_b32_e32 v25, 0
	v_dual_mov_b32 v27, 0 :: v_dual_mov_b32 v26, 0
	s_delay_alu instid0(VALU_DEP_3) | instskip(SKIP_1) | instid1(VALU_DEP_2)
	v_add_nc_u32_e32 v15, 1, v11
	v_lshlrev_b64_e32 v[11:12], 3, v[5:6]
	v_and_b32_e32 v17, 3, v15
	s_delay_alu instid0(VALU_DEP_2) | instskip(SKIP_1) | instid1(VALU_DEP_3)
	v_add_co_u32 v15, vcc_lo, s8, v11
	s_wait_alu 0xfffd
	v_add_co_ci_u32_e64 v16, null, s9, v12, vcc_lo
	s_delay_alu instid0(VALU_DEP_3)
	v_sub_co_u32 v17, s6, 0, v17
	s_wait_alu 0xf1ff
	v_sub_co_ci_u32_e64 v18, null, 0, 0, s6
	v_mov_b32_e32 v12, 0
	s_mov_b32 s6, 0
.LBB101_31:                             ; =>This Inner Loop Header: Depth=1
	global_load_b64 v[23:24], v[15:16], off
	global_load_b128 v[19:22], v[9:10], off
	s_wait_loadcnt 0x1
	v_sub_co_u32 v23, vcc_lo, v23, v1
	s_wait_alu 0xfffd
	v_sub_co_ci_u32_e64 v24, null, v24, v2, vcc_lo
	s_delay_alu instid0(VALU_DEP_1) | instskip(SKIP_1) | instid1(VALU_DEP_1)
	v_lshlrev_b64_e32 v[23:24], 3, v[23:24]
	s_wait_kmcnt 0x0
	v_add_co_u32 v23, vcc_lo, s4, v23
	s_wait_alu 0xfffd
	s_delay_alu instid0(VALU_DEP_2)
	v_add_co_ci_u32_e64 v24, null, s5, v24, vcc_lo
	global_load_b64 v[23:24], v[23:24], off
	global_load_b128 v[28:31], v[9:10], off offset:16
	v_add_co_u32 v9, vcc_lo, 0x100, v9
	s_wait_alu 0xfffd
	v_add_co_ci_u32_e64 v10, null, 0, v10, vcc_lo
	v_add_co_u32 v5, vcc_lo, v5, 8
	s_wait_alu 0xfffd
	v_add_co_ci_u32_e64 v6, null, 0, v6, vcc_lo
	v_add_co_u32 v15, vcc_lo, v15, 64
	s_wait_alu 0xfffd
	v_add_co_ci_u32_e64 v16, null, 0, v16, vcc_lo
	v_add_co_u32 v17, vcc_lo, v17, 1
	s_wait_alu 0xfffd
	v_add_co_ci_u32_e64 v18, null, 0, v18, vcc_lo
	s_delay_alu instid0(VALU_DEP_1)
	v_cmp_eq_u64_e32 vcc_lo, 0, v[17:18]
	s_wait_alu 0xfffe
	s_or_b32 s6, vcc_lo, s6
	s_wait_loadcnt 0x1
	v_fma_mix_f32 v11, v19, v23, v12 op_sel_hi:[1,1,0]
	v_fma_mix_f32 v12, v19, v23, v27 op_sel:[1,0,0] op_sel_hi:[1,1,0]
	v_fma_mix_f32 v19, v20, v23, v26 op_sel_hi:[1,1,0]
	v_fma_mix_f32 v20, v20, v23, v25 op_sel:[1,0,0] op_sel_hi:[1,1,0]
	s_delay_alu instid0(VALU_DEP_4) | instskip(NEXT) | instid1(VALU_DEP_4)
	v_fma_mix_f32 v11, v21, v23, v11 op_sel:[0,1,0] op_sel_hi:[1,1,0]
	v_fma_mix_f32 v12, v21, v23, v12 op_sel:[1,1,0] op_sel_hi:[1,1,0]
	s_delay_alu instid0(VALU_DEP_4) | instskip(NEXT) | instid1(VALU_DEP_4)
	v_fma_mix_f32 v19, v22, v23, v19 op_sel:[0,1,0] op_sel_hi:[1,1,0]
	v_fma_mix_f32 v20, v22, v23, v20 op_sel:[1,1,0] op_sel_hi:[1,1,0]
	s_wait_loadcnt 0x0
	v_fma_mix_f32 v11, v28, v24, v11 op_sel_hi:[1,1,0]
	v_fma_mix_f32 v21, v28, v24, v12 op_sel:[1,0,0] op_sel_hi:[1,1,0]
	v_fma_mix_f32 v19, v29, v24, v19 op_sel_hi:[1,1,0]
	v_fma_mix_f32 v20, v29, v24, v20 op_sel:[1,0,0] op_sel_hi:[1,1,0]
	s_delay_alu instid0(VALU_DEP_4) | instskip(NEXT) | instid1(VALU_DEP_4)
	v_fma_mix_f32 v12, v30, v24, v11 op_sel:[0,1,0] op_sel_hi:[1,1,0]
	v_fma_mix_f32 v27, v30, v24, v21 op_sel:[1,1,0] op_sel_hi:[1,1,0]
	s_delay_alu instid0(VALU_DEP_4) | instskip(NEXT) | instid1(VALU_DEP_4)
	v_fma_mix_f32 v26, v31, v24, v19 op_sel:[0,1,0] op_sel_hi:[1,1,0]
	v_fma_mix_f32 v25, v31, v24, v20 op_sel:[1,1,0] op_sel_hi:[1,1,0]
	s_wait_alu 0xfffe
	s_and_not1_b32 exec_lo, exec_lo, s6
	s_cbranch_execnz .LBB101_31
; %bb.32:
	s_or_b32 exec_lo, exec_lo, s6
.LBB101_33:
	s_wait_alu 0xfffe
	s_or_b32 exec_lo, exec_lo, s2
	s_delay_alu instid0(SALU_CYCLE_1)
	s_mov_b32 s6, exec_lo
	v_cmpx_lt_u64_e32 23, v[13:14]
	s_cbranch_execz .LBB101_37
; %bb.34:
	v_lshlrev_b64_e32 v[13:14], 3, v[5:6]
	s_mov_b32 s7, 0
	s_delay_alu instid0(VALU_DEP_1) | instskip(SKIP_1) | instid1(VALU_DEP_2)
	v_add_co_u32 v11, vcc_lo, s8, v13
	s_wait_alu 0xfffd
	v_add_co_ci_u32_e64 v14, null, s9, v14, vcc_lo
	s_delay_alu instid0(VALU_DEP_2) | instskip(SKIP_1) | instid1(VALU_DEP_2)
	v_add_co_u32 v13, vcc_lo, 0x80, v11
	s_wait_alu 0xfffd
	v_add_co_ci_u32_e64 v14, null, 0, v14, vcc_lo
.LBB101_35:                             ; =>This Inner Loop Header: Depth=1
	s_clause 0x3
	global_load_b64 v[23:24], v[13:14], off offset:-128
	global_load_b64 v[48:49], v[13:14], off offset:-64
	global_load_b64 v[50:51], v[13:14], off
	global_load_b64 v[52:53], v[13:14], off offset:64
	s_clause 0x6
	global_load_b128 v[15:18], v[9:10], off
	global_load_b128 v[19:22], v[9:10], off offset:16
	global_load_b128 v[28:31], v[9:10], off offset:256
	;; [unrolled: 1-line block ×6, first 2 shown]
	s_wait_loadcnt 0xa
	v_sub_co_u32 v23, vcc_lo, v23, v1
	s_wait_alu 0xfffd
	v_sub_co_ci_u32_e64 v24, null, v24, v2, vcc_lo
	s_wait_loadcnt 0x9
	v_sub_co_u32 v48, vcc_lo, v48, v1
	s_wait_alu 0xfffd
	v_sub_co_ci_u32_e64 v49, null, v49, v2, vcc_lo
	v_lshlrev_b64_e32 v[23:24], 3, v[23:24]
	s_wait_loadcnt 0x8
	v_sub_co_u32 v50, vcc_lo, v50, v1
	s_delay_alu instid0(VALU_DEP_3)
	v_lshlrev_b64_e32 v[48:49], 3, v[48:49]
	s_wait_alu 0xfffd
	v_sub_co_ci_u32_e64 v51, null, v51, v2, vcc_lo
	s_wait_kmcnt 0x0
	v_add_co_u32 v23, s2, s4, v23
	s_wait_alu 0xf1ff
	v_add_co_ci_u32_e64 v24, null, s5, v24, s2
	v_add_co_u32 v48, vcc_lo, s4, v48
	s_wait_alu 0xfffd
	v_add_co_ci_u32_e64 v49, null, s5, v49, vcc_lo
	s_clause 0x1
	global_load_b64 v[23:24], v[23:24], off
	global_load_b64 v[54:55], v[48:49], off
	v_lshlrev_b64_e32 v[49:50], 3, v[50:51]
	s_wait_loadcnt 0x9
	v_sub_co_u32 v48, vcc_lo, v52, v1
	s_delay_alu instid0(VALU_DEP_2) | instskip(SKIP_1) | instid1(VALU_DEP_3)
	v_add_co_u32 v49, s2, s4, v49
	s_wait_alu 0xf1ff
	v_add_co_ci_u32_e64 v50, null, s5, v50, s2
	global_load_b64 v[56:57], v[49:50], off
	s_wait_alu 0xfffd
	v_sub_co_ci_u32_e64 v49, null, v53, v2, vcc_lo
	s_delay_alu instid0(VALU_DEP_1) | instskip(NEXT) | instid1(VALU_DEP_1)
	v_lshlrev_b64_e32 v[48:49], 3, v[48:49]
	v_add_co_u32 v48, vcc_lo, s4, v48
	s_wait_alu 0xfffd
	s_delay_alu instid0(VALU_DEP_2)
	v_add_co_ci_u32_e64 v49, null, s5, v49, vcc_lo
	global_load_b64 v[52:53], v[48:49], off
	global_load_b128 v[48:51], v[9:10], off offset:784
	v_add_co_u32 v9, vcc_lo, 0x400, v9
	s_wait_alu 0xfffd
	v_add_co_ci_u32_e64 v10, null, 0, v10, vcc_lo
	v_add_co_u32 v5, vcc_lo, v5, 32
	s_wait_alu 0xfffd
	v_add_co_ci_u32_e64 v6, null, 0, v6, vcc_lo
	;; [unrolled: 3-line block ×3, first 2 shown]
	s_delay_alu instid0(VALU_DEP_3)
	v_cmp_ge_i64_e32 vcc_lo, v[5:6], v[7:8]
	s_wait_alu 0xfffe
	s_or_b32 s7, vcc_lo, s7
	s_wait_loadcnt 0x4
	v_fma_mix_f32 v11, v15, v23, v12 op_sel_hi:[1,1,0]
	v_fma_mix_f32 v12, v15, v23, v27 op_sel:[1,0,0] op_sel_hi:[1,1,0]
	v_fma_mix_f32 v15, v16, v23, v26 op_sel_hi:[1,1,0]
	v_fma_mix_f32 v16, v16, v23, v25 op_sel:[1,0,0] op_sel_hi:[1,1,0]
	s_delay_alu instid0(VALU_DEP_4) | instskip(NEXT) | instid1(VALU_DEP_4)
	v_fma_mix_f32 v11, v17, v23, v11 op_sel:[0,1,0] op_sel_hi:[1,1,0]
	v_fma_mix_f32 v12, v17, v23, v12 op_sel:[1,1,0] op_sel_hi:[1,1,0]
	s_delay_alu instid0(VALU_DEP_4) | instskip(NEXT) | instid1(VALU_DEP_4)
	v_fma_mix_f32 v15, v18, v23, v15 op_sel:[0,1,0] op_sel_hi:[1,1,0]
	v_fma_mix_f32 v16, v18, v23, v16 op_sel:[1,1,0] op_sel_hi:[1,1,0]
	s_delay_alu instid0(VALU_DEP_4) | instskip(NEXT) | instid1(VALU_DEP_4)
	v_fma_mix_f32 v11, v19, v24, v11 op_sel_hi:[1,1,0]
	v_fma_mix_f32 v12, v19, v24, v12 op_sel:[1,0,0] op_sel_hi:[1,1,0]
	s_delay_alu instid0(VALU_DEP_4) | instskip(NEXT) | instid1(VALU_DEP_4)
	v_fma_mix_f32 v15, v20, v24, v15 op_sel_hi:[1,1,0]
	v_fma_mix_f32 v16, v20, v24, v16 op_sel:[1,0,0] op_sel_hi:[1,1,0]
	s_delay_alu instid0(VALU_DEP_4) | instskip(NEXT) | instid1(VALU_DEP_4)
	v_fma_mix_f32 v11, v21, v24, v11 op_sel:[0,1,0] op_sel_hi:[1,1,0]
	v_fma_mix_f32 v12, v21, v24, v12 op_sel:[1,1,0] op_sel_hi:[1,1,0]
	s_delay_alu instid0(VALU_DEP_4) | instskip(NEXT) | instid1(VALU_DEP_4)
	v_fma_mix_f32 v15, v22, v24, v15 op_sel:[0,1,0] op_sel_hi:[1,1,0]
	v_fma_mix_f32 v16, v22, v24, v16 op_sel:[1,1,0] op_sel_hi:[1,1,0]
	s_wait_loadcnt 0x3
	v_fma_mix_f32 v11, v28, v54, v11 op_sel_hi:[1,1,0]
	v_fma_mix_f32 v12, v28, v54, v12 op_sel:[1,0,0] op_sel_hi:[1,1,0]
	v_fma_mix_f32 v15, v29, v54, v15 op_sel_hi:[1,1,0]
	v_fma_mix_f32 v16, v29, v54, v16 op_sel:[1,0,0] op_sel_hi:[1,1,0]
	s_delay_alu instid0(VALU_DEP_4) | instskip(NEXT) | instid1(VALU_DEP_4)
	v_fma_mix_f32 v11, v30, v54, v11 op_sel:[0,1,0] op_sel_hi:[1,1,0]
	v_fma_mix_f32 v12, v30, v54, v12 op_sel:[1,1,0] op_sel_hi:[1,1,0]
	s_delay_alu instid0(VALU_DEP_4) | instskip(NEXT) | instid1(VALU_DEP_4)
	v_fma_mix_f32 v15, v31, v54, v15 op_sel:[0,1,0] op_sel_hi:[1,1,0]
	v_fma_mix_f32 v16, v31, v54, v16 op_sel:[1,1,0] op_sel_hi:[1,1,0]
	s_delay_alu instid0(VALU_DEP_4) | instskip(NEXT) | instid1(VALU_DEP_4)
	v_fma_mix_f32 v11, v32, v55, v11 op_sel_hi:[1,1,0]
	v_fma_mix_f32 v12, v32, v55, v12 op_sel:[1,0,0] op_sel_hi:[1,1,0]
	s_delay_alu instid0(VALU_DEP_4) | instskip(NEXT) | instid1(VALU_DEP_4)
	v_fma_mix_f32 v15, v33, v55, v15 op_sel_hi:[1,1,0]
	v_fma_mix_f32 v16, v33, v55, v16 op_sel:[1,0,0] op_sel_hi:[1,1,0]
	s_delay_alu instid0(VALU_DEP_4) | instskip(NEXT) | instid1(VALU_DEP_4)
	v_fma_mix_f32 v11, v34, v55, v11 op_sel:[0,1,0] op_sel_hi:[1,1,0]
	v_fma_mix_f32 v12, v34, v55, v12 op_sel:[1,1,0] op_sel_hi:[1,1,0]
	s_delay_alu instid0(VALU_DEP_4) | instskip(NEXT) | instid1(VALU_DEP_4)
	v_fma_mix_f32 v15, v35, v55, v15 op_sel:[0,1,0] op_sel_hi:[1,1,0]
	v_fma_mix_f32 v16, v35, v55, v16 op_sel:[1,1,0] op_sel_hi:[1,1,0]
	;; [unrolled: 23-line block ×3, first 2 shown]
	s_wait_loadcnt 0x1
	v_fma_mix_f32 v11, v44, v52, v11 op_sel_hi:[1,1,0]
	v_fma_mix_f32 v12, v44, v52, v12 op_sel:[1,0,0] op_sel_hi:[1,1,0]
	v_fma_mix_f32 v15, v45, v52, v15 op_sel_hi:[1,1,0]
	v_fma_mix_f32 v16, v45, v52, v16 op_sel:[1,0,0] op_sel_hi:[1,1,0]
	s_delay_alu instid0(VALU_DEP_4) | instskip(NEXT) | instid1(VALU_DEP_4)
	v_fma_mix_f32 v11, v46, v52, v11 op_sel:[0,1,0] op_sel_hi:[1,1,0]
	v_fma_mix_f32 v12, v46, v52, v12 op_sel:[1,1,0] op_sel_hi:[1,1,0]
	s_delay_alu instid0(VALU_DEP_4) | instskip(NEXT) | instid1(VALU_DEP_4)
	v_fma_mix_f32 v15, v47, v52, v15 op_sel:[0,1,0] op_sel_hi:[1,1,0]
	v_fma_mix_f32 v16, v47, v52, v16 op_sel:[1,1,0] op_sel_hi:[1,1,0]
	s_wait_loadcnt 0x0
	v_fma_mix_f32 v11, v48, v53, v11 op_sel_hi:[1,1,0]
	v_fma_mix_f32 v17, v48, v53, v12 op_sel:[1,0,0] op_sel_hi:[1,1,0]
	v_fma_mix_f32 v15, v49, v53, v15 op_sel_hi:[1,1,0]
	v_fma_mix_f32 v16, v49, v53, v16 op_sel:[1,0,0] op_sel_hi:[1,1,0]
	s_delay_alu instid0(VALU_DEP_4) | instskip(NEXT) | instid1(VALU_DEP_4)
	v_fma_mix_f32 v12, v50, v53, v11 op_sel:[0,1,0] op_sel_hi:[1,1,0]
	v_fma_mix_f32 v27, v50, v53, v17 op_sel:[1,1,0] op_sel_hi:[1,1,0]
	s_delay_alu instid0(VALU_DEP_4) | instskip(NEXT) | instid1(VALU_DEP_4)
	v_fma_mix_f32 v26, v51, v53, v15 op_sel:[0,1,0] op_sel_hi:[1,1,0]
	v_fma_mix_f32 v25, v51, v53, v16 op_sel:[1,1,0] op_sel_hi:[1,1,0]
	s_wait_alu 0xfffe
	s_and_not1_b32 exec_lo, exec_lo, s7
	s_cbranch_execnz .LBB101_35
; %bb.36:
	s_or_b32 exec_lo, exec_lo, s7
.LBB101_37:
	s_wait_alu 0xfffe
	s_or_b32 exec_lo, exec_lo, s6
.LBB101_38:
	s_wait_alu 0xfffe
	s_or_b32 exec_lo, exec_lo, s3
.LBB101_39:
	v_mbcnt_lo_u32_b32 v1, -1, 0
	s_mov_b32 s2, -1
	s_delay_alu instid0(VALU_DEP_1) | instskip(SKIP_1) | instid1(VALU_DEP_2)
	v_xor_b32_e32 v2, 4, v1
	v_xor_b32_e32 v8, 2, v1
	v_cmp_gt_i32_e32 vcc_lo, 32, v2
	s_wait_alu 0xfffd
	v_cndmask_b32_e32 v2, v1, v2, vcc_lo
	s_delay_alu instid0(VALU_DEP_3) | instskip(NEXT) | instid1(VALU_DEP_2)
	v_cmp_gt_i32_e32 vcc_lo, 32, v8
	v_lshlrev_b32_e32 v2, 2, v2
	ds_bpermute_b32 v7, v2, v26
	s_wait_dscnt 0x0
	v_add_f32_e32 v7, v26, v7
	ds_bpermute_b32 v5, v2, v12
	ds_bpermute_b32 v6, v2, v27
	;; [unrolled: 1-line block ×3, first 2 shown]
	s_wait_alu 0xfffd
	v_cndmask_b32_e32 v8, v1, v8, vcc_lo
	s_wait_dscnt 0x2
	s_delay_alu instid0(VALU_DEP_1)
	v_dual_add_f32 v5, v12, v5 :: v_dual_lshlrev_b32 v8, 2, v8
	v_xor_b32_e32 v12, 1, v1
	s_wait_dscnt 0x0
	v_add_f32_e32 v9, v25, v2
	ds_bpermute_b32 v11, v8, v7
	ds_bpermute_b32 v2, v8, v5
	v_cmp_gt_i32_e32 vcc_lo, 32, v12
	s_wait_alu 0xfffd
	v_dual_add_f32 v6, v27, v6 :: v_dual_cndmask_b32 v1, v1, v12
	ds_bpermute_b32 v10, v8, v6
	ds_bpermute_b32 v8, v8, v9
	v_cmp_eq_u32_e32 vcc_lo, 7, v0
	s_wait_dscnt 0x2
	v_dual_add_f32 v1, v5, v2 :: v_dual_lshlrev_b32 v12, 2, v1
	v_add_f32_e32 v5, v7, v11
	ds_bpermute_b32 v7, v12, v1
	s_wait_dscnt 0x2
	v_add_f32_e32 v2, v6, v10
	s_wait_dscnt 0x1
	v_add_f32_e32 v6, v9, v8
	ds_bpermute_b32 v9, v12, v5
	ds_bpermute_b32 v8, v12, v2
	;; [unrolled: 1-line block ×3, first 2 shown]
	s_and_b32 exec_lo, exec_lo, vcc_lo
	s_cbranch_execz .LBB101_10
; %bb.40:
	s_load_b64 s[0:1], s[0:1], 0x58
	s_wait_dscnt 0x1
	v_dual_add_f32 v0, v1, v7 :: v_dual_add_f32 v1, v2, v8
	s_wait_dscnt 0x0
	v_add_f32_e32 v6, v6, v10
	s_cmp_eq_f32 s16, 0
	s_delay_alu instid0(VALU_DEP_2) | instskip(SKIP_3) | instid1(VALU_DEP_3)
	v_dual_mul_f32 v0, s12, v0 :: v_dual_mul_f32 v1, s12, v1
	v_add_f32_e32 v2, v5, v9
	v_lshlrev_b64_e32 v[4:5], 4, v[3:4]
	v_mul_f32_e32 v3, s12, v6
	v_mul_f32_e32 v2, s12, v2
	s_cbranch_scc0 .LBB101_42
; %bb.41:
	s_wait_kmcnt 0x0
	s_delay_alu instid0(VALU_DEP_3)
	v_add_co_u32 v6, vcc_lo, s0, v4
	s_wait_alu 0xfffd
	v_add_co_ci_u32_e64 v7, null, s1, v5, vcc_lo
	s_mov_b32 s2, 0
	global_store_b128 v[6:7], v[0:3], off
.LBB101_42:
	s_wait_alu 0xfffe
	s_and_not1_b32 vcc_lo, exec_lo, s2
	s_wait_alu 0xfffe
	s_cbranch_vccnz .LBB101_10
; %bb.43:
	s_wait_kmcnt 0x0
	v_add_co_u32 v8, vcc_lo, s0, v4
	s_wait_alu 0xfffd
	v_add_co_ci_u32_e64 v9, null, s1, v5, vcc_lo
	global_load_b128 v[4:7], v[8:9], off
	s_wait_loadcnt 0x0
	v_dual_fmac_f32 v0, s16, v4 :: v_dual_fmac_f32 v1, s16, v5
	v_dual_fmac_f32 v2, s16, v6 :: v_dual_fmac_f32 v3, s16, v7
	global_store_b128 v[8:9], v[0:3], off
	s_endpgm
	.section	.rodata,"a",@progbits
	.p2align	6, 0x0
	.amdhsa_kernel _ZN9rocsparseL18bsrxmvn_4x4_kernelILj128ELj8EfllDF16_DF16_fEEvT3_20rocsparse_direction_NS_24const_host_device_scalarIT1_EES1_PKS1_PKT2_SA_S7_PKT4_PKT5_S5_PT6_21rocsparse_index_base_b
		.amdhsa_group_segment_fixed_size 0
		.amdhsa_private_segment_fixed_size 0
		.amdhsa_kernarg_size 104
		.amdhsa_user_sgpr_count 2
		.amdhsa_user_sgpr_dispatch_ptr 0
		.amdhsa_user_sgpr_queue_ptr 0
		.amdhsa_user_sgpr_kernarg_segment_ptr 1
		.amdhsa_user_sgpr_dispatch_id 0
		.amdhsa_user_sgpr_private_segment_size 0
		.amdhsa_wavefront_size32 1
		.amdhsa_uses_dynamic_stack 0
		.amdhsa_enable_private_segment 0
		.amdhsa_system_sgpr_workgroup_id_x 1
		.amdhsa_system_sgpr_workgroup_id_y 0
		.amdhsa_system_sgpr_workgroup_id_z 0
		.amdhsa_system_sgpr_workgroup_info 0
		.amdhsa_system_vgpr_workitem_id 0
		.amdhsa_next_free_vgpr 64
		.amdhsa_next_free_sgpr 18
		.amdhsa_reserve_vcc 1
		.amdhsa_float_round_mode_32 0
		.amdhsa_float_round_mode_16_64 0
		.amdhsa_float_denorm_mode_32 3
		.amdhsa_float_denorm_mode_16_64 3
		.amdhsa_fp16_overflow 0
		.amdhsa_workgroup_processor_mode 1
		.amdhsa_memory_ordered 1
		.amdhsa_forward_progress 1
		.amdhsa_inst_pref_size 39
		.amdhsa_round_robin_scheduling 0
		.amdhsa_exception_fp_ieee_invalid_op 0
		.amdhsa_exception_fp_denorm_src 0
		.amdhsa_exception_fp_ieee_div_zero 0
		.amdhsa_exception_fp_ieee_overflow 0
		.amdhsa_exception_fp_ieee_underflow 0
		.amdhsa_exception_fp_ieee_inexact 0
		.amdhsa_exception_int_div_zero 0
	.end_amdhsa_kernel
	.section	.text._ZN9rocsparseL18bsrxmvn_4x4_kernelILj128ELj8EfllDF16_DF16_fEEvT3_20rocsparse_direction_NS_24const_host_device_scalarIT1_EES1_PKS1_PKT2_SA_S7_PKT4_PKT5_S5_PT6_21rocsparse_index_base_b,"axG",@progbits,_ZN9rocsparseL18bsrxmvn_4x4_kernelILj128ELj8EfllDF16_DF16_fEEvT3_20rocsparse_direction_NS_24const_host_device_scalarIT1_EES1_PKS1_PKT2_SA_S7_PKT4_PKT5_S5_PT6_21rocsparse_index_base_b,comdat
.Lfunc_end101:
	.size	_ZN9rocsparseL18bsrxmvn_4x4_kernelILj128ELj8EfllDF16_DF16_fEEvT3_20rocsparse_direction_NS_24const_host_device_scalarIT1_EES1_PKS1_PKT2_SA_S7_PKT4_PKT5_S5_PT6_21rocsparse_index_base_b, .Lfunc_end101-_ZN9rocsparseL18bsrxmvn_4x4_kernelILj128ELj8EfllDF16_DF16_fEEvT3_20rocsparse_direction_NS_24const_host_device_scalarIT1_EES1_PKS1_PKT2_SA_S7_PKT4_PKT5_S5_PT6_21rocsparse_index_base_b
                                        ; -- End function
	.set _ZN9rocsparseL18bsrxmvn_4x4_kernelILj128ELj8EfllDF16_DF16_fEEvT3_20rocsparse_direction_NS_24const_host_device_scalarIT1_EES1_PKS1_PKT2_SA_S7_PKT4_PKT5_S5_PT6_21rocsparse_index_base_b.num_vgpr, 64
	.set _ZN9rocsparseL18bsrxmvn_4x4_kernelILj128ELj8EfllDF16_DF16_fEEvT3_20rocsparse_direction_NS_24const_host_device_scalarIT1_EES1_PKS1_PKT2_SA_S7_PKT4_PKT5_S5_PT6_21rocsparse_index_base_b.num_agpr, 0
	.set _ZN9rocsparseL18bsrxmvn_4x4_kernelILj128ELj8EfllDF16_DF16_fEEvT3_20rocsparse_direction_NS_24const_host_device_scalarIT1_EES1_PKS1_PKT2_SA_S7_PKT4_PKT5_S5_PT6_21rocsparse_index_base_b.numbered_sgpr, 18
	.set _ZN9rocsparseL18bsrxmvn_4x4_kernelILj128ELj8EfllDF16_DF16_fEEvT3_20rocsparse_direction_NS_24const_host_device_scalarIT1_EES1_PKS1_PKT2_SA_S7_PKT4_PKT5_S5_PT6_21rocsparse_index_base_b.num_named_barrier, 0
	.set _ZN9rocsparseL18bsrxmvn_4x4_kernelILj128ELj8EfllDF16_DF16_fEEvT3_20rocsparse_direction_NS_24const_host_device_scalarIT1_EES1_PKS1_PKT2_SA_S7_PKT4_PKT5_S5_PT6_21rocsparse_index_base_b.private_seg_size, 0
	.set _ZN9rocsparseL18bsrxmvn_4x4_kernelILj128ELj8EfllDF16_DF16_fEEvT3_20rocsparse_direction_NS_24const_host_device_scalarIT1_EES1_PKS1_PKT2_SA_S7_PKT4_PKT5_S5_PT6_21rocsparse_index_base_b.uses_vcc, 1
	.set _ZN9rocsparseL18bsrxmvn_4x4_kernelILj128ELj8EfllDF16_DF16_fEEvT3_20rocsparse_direction_NS_24const_host_device_scalarIT1_EES1_PKS1_PKT2_SA_S7_PKT4_PKT5_S5_PT6_21rocsparse_index_base_b.uses_flat_scratch, 0
	.set _ZN9rocsparseL18bsrxmvn_4x4_kernelILj128ELj8EfllDF16_DF16_fEEvT3_20rocsparse_direction_NS_24const_host_device_scalarIT1_EES1_PKS1_PKT2_SA_S7_PKT4_PKT5_S5_PT6_21rocsparse_index_base_b.has_dyn_sized_stack, 0
	.set _ZN9rocsparseL18bsrxmvn_4x4_kernelILj128ELj8EfllDF16_DF16_fEEvT3_20rocsparse_direction_NS_24const_host_device_scalarIT1_EES1_PKS1_PKT2_SA_S7_PKT4_PKT5_S5_PT6_21rocsparse_index_base_b.has_recursion, 0
	.set _ZN9rocsparseL18bsrxmvn_4x4_kernelILj128ELj8EfllDF16_DF16_fEEvT3_20rocsparse_direction_NS_24const_host_device_scalarIT1_EES1_PKS1_PKT2_SA_S7_PKT4_PKT5_S5_PT6_21rocsparse_index_base_b.has_indirect_call, 0
	.section	.AMDGPU.csdata,"",@progbits
; Kernel info:
; codeLenInByte = 4900
; TotalNumSgprs: 20
; NumVgprs: 64
; ScratchSize: 0
; MemoryBound: 0
; FloatMode: 240
; IeeeMode: 1
; LDSByteSize: 0 bytes/workgroup (compile time only)
; SGPRBlocks: 0
; VGPRBlocks: 7
; NumSGPRsForWavesPerEU: 20
; NumVGPRsForWavesPerEU: 64
; Occupancy: 16
; WaveLimiterHint : 1
; COMPUTE_PGM_RSRC2:SCRATCH_EN: 0
; COMPUTE_PGM_RSRC2:USER_SGPR: 2
; COMPUTE_PGM_RSRC2:TRAP_HANDLER: 0
; COMPUTE_PGM_RSRC2:TGID_X_EN: 1
; COMPUTE_PGM_RSRC2:TGID_Y_EN: 0
; COMPUTE_PGM_RSRC2:TGID_Z_EN: 0
; COMPUTE_PGM_RSRC2:TIDIG_COMP_CNT: 0
	.section	.text._ZN9rocsparseL18bsrxmvn_4x4_kernelILj128ELj16EfllDF16_DF16_fEEvT3_20rocsparse_direction_NS_24const_host_device_scalarIT1_EES1_PKS1_PKT2_SA_S7_PKT4_PKT5_S5_PT6_21rocsparse_index_base_b,"axG",@progbits,_ZN9rocsparseL18bsrxmvn_4x4_kernelILj128ELj16EfllDF16_DF16_fEEvT3_20rocsparse_direction_NS_24const_host_device_scalarIT1_EES1_PKS1_PKT2_SA_S7_PKT4_PKT5_S5_PT6_21rocsparse_index_base_b,comdat
	.globl	_ZN9rocsparseL18bsrxmvn_4x4_kernelILj128ELj16EfllDF16_DF16_fEEvT3_20rocsparse_direction_NS_24const_host_device_scalarIT1_EES1_PKS1_PKT2_SA_S7_PKT4_PKT5_S5_PT6_21rocsparse_index_base_b ; -- Begin function _ZN9rocsparseL18bsrxmvn_4x4_kernelILj128ELj16EfllDF16_DF16_fEEvT3_20rocsparse_direction_NS_24const_host_device_scalarIT1_EES1_PKS1_PKT2_SA_S7_PKT4_PKT5_S5_PT6_21rocsparse_index_base_b
	.p2align	8
	.type	_ZN9rocsparseL18bsrxmvn_4x4_kernelILj128ELj16EfllDF16_DF16_fEEvT3_20rocsparse_direction_NS_24const_host_device_scalarIT1_EES1_PKS1_PKT2_SA_S7_PKT4_PKT5_S5_PT6_21rocsparse_index_base_b,@function
_ZN9rocsparseL18bsrxmvn_4x4_kernelILj128ELj16EfllDF16_DF16_fEEvT3_20rocsparse_direction_NS_24const_host_device_scalarIT1_EES1_PKS1_PKT2_SA_S7_PKT4_PKT5_S5_PT6_21rocsparse_index_base_b: ; @_ZN9rocsparseL18bsrxmvn_4x4_kernelILj128ELj16EfllDF16_DF16_fEEvT3_20rocsparse_direction_NS_24const_host_device_scalarIT1_EES1_PKS1_PKT2_SA_S7_PKT4_PKT5_S5_PT6_21rocsparse_index_base_b
; %bb.0:
	s_clause 0x2
	s_load_b64 s[2:3], s[0:1], 0x60
	s_load_b128 s[12:15], s[0:1], 0x10
	s_load_b64 s[16:17], s[0:1], 0x50
	s_wait_kmcnt 0x0
	s_bitcmp1_b32 s3, 0
	s_cselect_b32 s3, -1, 0
	s_delay_alu instid0(SALU_CYCLE_1)
	s_and_b32 vcc_lo, exec_lo, s3
	s_xor_b32 s3, s3, -1
	s_cbranch_vccnz .LBB102_2
; %bb.1:
	s_load_b32 s12, s[12:13], 0x0
.LBB102_2:
	s_and_not1_b32 vcc_lo, exec_lo, s3
	s_cbranch_vccnz .LBB102_4
; %bb.3:
	s_load_b32 s16, s[16:17], 0x0
.LBB102_4:
	s_wait_kmcnt 0x0
	s_cmp_neq_f32 s12, 0
	s_mov_b32 s6, 0
	s_cselect_b32 s3, -1, 0
	s_cmp_neq_f32 s16, 1.0
	s_cselect_b32 s4, -1, 0
	s_delay_alu instid0(SALU_CYCLE_1) | instskip(NEXT) | instid1(SALU_CYCLE_1)
	s_or_b32 s3, s3, s4
	s_and_not1_b32 vcc_lo, exec_lo, s3
	s_cbranch_vccnz .LBB102_10
; %bb.5:
	s_load_b64 s[4:5], s[0:1], 0x20
	v_lshrrev_b32_e32 v1, 4, v0
	v_mov_b32_e32 v6, 0
	s_delay_alu instid0(VALU_DEP_2)
	v_lshl_or_b32 v5, ttmp9, 3, v1
	s_wait_kmcnt 0x0
	s_cmp_lg_u64 s[4:5], 0
	s_cbranch_scc0 .LBB102_11
; %bb.6:
	s_mov_b32 s7, 0
                                        ; implicit-def: $vgpr3_vgpr4
                                        ; implicit-def: $vgpr1_vgpr2
	s_mov_b32 s3, exec_lo
	v_cmpx_gt_i64_e64 s[14:15], v[5:6]
	s_xor_b32 s8, exec_lo, s3
	s_cbranch_execz .LBB102_8
; %bb.7:
	v_lshlrev_b64_e32 v[1:2], 3, v[5:6]
	s_mov_b32 s3, 0
	s_mov_b32 s6, exec_lo
	s_delay_alu instid0(VALU_DEP_1) | instskip(NEXT) | instid1(VALU_DEP_1)
	v_add_co_u32 v1, vcc_lo, s4, v1
	v_add_co_ci_u32_e64 v2, null, s5, v2, vcc_lo
	global_load_b64 v[1:2], v[1:2], off
	s_wait_loadcnt 0x0
	v_sub_co_u32 v3, vcc_lo, v1, s2
	s_wait_alu 0xfffd
	v_subrev_co_ci_u32_e64 v4, null, 0, v2, vcc_lo
	v_dual_mov_b32 v1, s2 :: v_dual_mov_b32 v2, s3
.LBB102_8:
	s_or_b32 exec_lo, exec_lo, s8
	s_delay_alu instid0(SALU_CYCLE_1)
	s_and_b32 vcc_lo, exec_lo, s7
	s_wait_alu 0xfffe
	s_cbranch_vccnz .LBB102_12
.LBB102_9:
	s_and_saveexec_b32 s2, s6
	s_cbranch_execnz .LBB102_15
.LBB102_10:
	s_endpgm
.LBB102_11:
                                        ; implicit-def: $vgpr3_vgpr4
                                        ; implicit-def: $vgpr1_vgpr2
	s_cbranch_execz .LBB102_9
.LBB102_12:
	s_load_b64 s[4:5], s[0:1], 0x0
	s_wait_kmcnt 0x0
	v_cmp_gt_i64_e32 vcc_lo, s[4:5], v[5:6]
	s_and_saveexec_b32 s4, vcc_lo
; %bb.13:
	s_mov_b32 s3, 0
	s_or_b32 s6, s6, exec_lo
; %bb.14:
	s_wait_alu 0xfffe
	s_or_b32 exec_lo, exec_lo, s4
	v_dual_mov_b32 v1, s2 :: v_dual_mov_b32 v2, s3
	v_dual_mov_b32 v3, v5 :: v_dual_mov_b32 v4, v6
	s_and_saveexec_b32 s2, s6
	s_cbranch_execz .LBB102_10
.LBB102_15:
	s_load_b256 s[4:11], s[0:1], 0x28
	s_delay_alu instid0(VALU_DEP_1) | instskip(SKIP_3) | instid1(VALU_DEP_2)
	v_lshlrev_b64_e32 v[5:6], 3, v[3:4]
	v_dual_mov_b32 v25, 0 :: v_dual_and_b32 v0, 15, v0
	s_load_b32 s3, s[0:1], 0x8
	s_wait_kmcnt 0x0
	v_add_co_u32 v7, vcc_lo, s4, v5
	s_wait_alu 0xfffd
	v_add_co_ci_u32_e64 v8, null, s5, v6, vcc_lo
	v_add_co_u32 v5, vcc_lo, s6, v5
	s_wait_alu 0xfffd
	v_add_co_ci_u32_e64 v6, null, s7, v6, vcc_lo
	v_add_co_u32 v9, vcc_lo, v7, 8
	global_load_b64 v[13:14], v[7:8], off
	s_wait_alu 0xfffd
	v_add_co_ci_u32_e64 v10, null, 0, v8, vcc_lo
	s_cmp_eq_u64 s[6:7], 0
	s_load_b64 s[4:5], s[0:1], 0x48
	s_cselect_b32 vcc_lo, -1, 0
	s_cmp_eq_u32 s3, 1
	s_wait_alu 0xfffe
	v_dual_cndmask_b32 v6, v6, v10 :: v_dual_cndmask_b32 v5, v5, v9
	global_load_b64 v[7:8], v[5:6], off
	s_wait_loadcnt 0x1
	v_sub_co_u32 v5, vcc_lo, v13, v1
	s_wait_alu 0xfffd
	v_sub_co_ci_u32_e64 v6, null, v14, v2, vcc_lo
	s_delay_alu instid0(VALU_DEP_2) | instskip(SKIP_1) | instid1(VALU_DEP_2)
	v_add_co_u32 v5, vcc_lo, v5, v0
	s_wait_alu 0xfffd
	v_add_co_ci_u32_e64 v6, null, 0, v6, vcc_lo
	s_delay_alu instid0(VALU_DEP_1) | instskip(SKIP_4) | instid1(VALU_DEP_3)
	v_lshlrev_b64_e32 v[9:10], 5, v[5:6]
	s_wait_loadcnt 0x0
	v_sub_co_u32 v7, vcc_lo, v7, v1
	s_wait_alu 0xfffd
	v_sub_co_ci_u32_e64 v8, null, v8, v2, vcc_lo
	v_add_co_u32 v9, vcc_lo, s10, v9
	s_delay_alu instid0(VALU_DEP_2)
	v_cmp_lt_i64_e64 s2, v[5:6], v[7:8]
	s_wait_alu 0xfffd
	v_add_co_ci_u32_e64 v10, null, s11, v10, vcc_lo
	s_cbranch_scc1 .LBB102_27
; %bb.16:
	v_dual_mov_b32 v26, 0 :: v_dual_mov_b32 v27, 0
	v_mov_b32_e32 v12, 0
	s_and_saveexec_b32 s6, s2
	s_cbranch_execz .LBB102_26
; %bb.17:
	v_or_b32_e32 v11, 16, v0
	v_not_b32_e32 v16, v13
	v_sub_co_u32 v17, s3, v1, v0
	v_not_b32_e32 v15, v14
	s_delay_alu instid0(VALU_DEP_4)
	v_sub_co_u32 v11, vcc_lo, v11, v1
	s_wait_alu 0xfffd
	v_sub_co_ci_u32_e64 v12, null, 0, v2, vcc_lo
	s_wait_alu 0xf1ff
	v_subrev_co_ci_u32_e64 v18, null, 0, v2, s3
	v_add_co_u32 v11, vcc_lo, v11, v13
	s_wait_alu 0xfffd
	v_add_co_ci_u32_e64 v12, null, v12, v14, vcc_lo
	s_mov_b32 s3, exec_lo
	v_cmp_gt_i64_e32 vcc_lo, v[11:12], v[7:8]
	s_wait_alu 0xfffd
	v_dual_cndmask_b32 v20, v8, v12 :: v_dual_cndmask_b32 v11, v7, v11
	v_add_co_u32 v12, vcc_lo, v17, v16
	s_wait_alu 0xfffd
	v_add_co_ci_u32_e64 v15, null, v18, v15, vcc_lo
	v_mov_b32_e32 v18, v10
	s_delay_alu instid0(VALU_DEP_3) | instskip(SKIP_3) | instid1(VALU_DEP_3)
	v_add_co_u32 v19, vcc_lo, v12, v11
	v_mov_b32_e32 v12, 0
	s_wait_alu 0xfffd
	v_add_co_ci_u32_e64 v20, null, v15, v20, vcc_lo
	v_dual_mov_b32 v16, v6 :: v_dual_and_b32 v11, 48, v19
	s_delay_alu instid0(VALU_DEP_3)
	v_mov_b32_e32 v25, v12
	v_mov_b32_e32 v15, v5
	v_dual_mov_b32 v27, v12 :: v_dual_mov_b32 v26, v12
	v_mov_b32_e32 v17, v9
	v_cmpx_ne_u64_e32 48, v[11:12]
	s_cbranch_execz .LBB102_21
; %bb.18:
	v_lshrrev_b32_e32 v11, 4, v19
	v_dual_mov_b32 v25, 0 :: v_dual_mov_b32 v18, v10
	v_dual_mov_b32 v17, v9 :: v_dual_mov_b32 v26, 0
	s_delay_alu instid0(VALU_DEP_3) | instskip(SKIP_3) | instid1(VALU_DEP_4)
	v_dual_mov_b32 v16, v6 :: v_dual_add_nc_u32 v21, 1, v11
	v_lshlrev_b64_e32 v[11:12], 3, v[5:6]
	v_mov_b32_e32 v15, v5
	v_mov_b32_e32 v27, 0
	v_and_b32_e32 v23, 3, v21
	s_delay_alu instid0(VALU_DEP_4) | instskip(NEXT) | instid1(VALU_DEP_2)
	v_add_co_u32 v21, vcc_lo, s8, v11
	v_sub_co_u32 v23, s7, 0, v23
	s_wait_alu 0xfffd
	v_add_co_ci_u32_e64 v22, null, s9, v12, vcc_lo
	s_wait_alu 0xf1ff
	v_sub_co_ci_u32_e64 v24, null, 0, 0, s7
	v_mov_b32_e32 v12, 0
	s_mov_b32 s7, 0
.LBB102_19:                             ; =>This Inner Loop Header: Depth=1
	global_load_b64 v[36:37], v[21:22], off
	s_clause 0x1
	global_load_b128 v[28:31], v[17:18], off
	global_load_b128 v[32:35], v[17:18], off offset:16
	s_wait_loadcnt 0x2
	v_sub_co_u32 v36, vcc_lo, v36, v1
	s_wait_alu 0xfffd
	v_sub_co_ci_u32_e64 v37, null, v37, v2, vcc_lo
	s_delay_alu instid0(VALU_DEP_1) | instskip(SKIP_1) | instid1(VALU_DEP_1)
	v_lshlrev_b64_e32 v[36:37], 3, v[36:37]
	s_wait_kmcnt 0x0
	v_add_co_u32 v36, vcc_lo, s4, v36
	s_wait_alu 0xfffd
	s_delay_alu instid0(VALU_DEP_2)
	v_add_co_ci_u32_e64 v37, null, s5, v37, vcc_lo
	v_add_co_u32 v17, vcc_lo, 0x200, v17
	s_wait_alu 0xfffd
	v_add_co_ci_u32_e64 v18, null, 0, v18, vcc_lo
	global_load_b64 v[36:37], v[36:37], off
	v_add_co_u32 v15, vcc_lo, v15, 16
	s_wait_alu 0xfffd
	v_add_co_ci_u32_e64 v16, null, 0, v16, vcc_lo
	v_add_co_u32 v21, vcc_lo, 0x80, v21
	s_wait_alu 0xfffd
	v_add_co_ci_u32_e64 v22, null, 0, v22, vcc_lo
	;; [unrolled: 3-line block ×3, first 2 shown]
	s_delay_alu instid0(VALU_DEP_1)
	v_cmp_eq_u64_e32 vcc_lo, 0, v[23:24]
	s_wait_alu 0xfffe
	s_or_b32 s7, vcc_lo, s7
	s_wait_loadcnt 0x0
	v_fma_mix_f32 v11, v28, v36, v12 op_sel_hi:[1,1,0]
	v_fma_mix_f32 v12, v30, v36, v27 op_sel_hi:[1,1,0]
	;; [unrolled: 1-line block ×4, first 2 shown]
	s_delay_alu instid0(VALU_DEP_4) | instskip(NEXT) | instid1(VALU_DEP_4)
	v_fma_mix_f32 v11, v28, v36, v11 op_sel:[1,1,0] op_sel_hi:[1,1,0]
	v_fma_mix_f32 v12, v30, v36, v12 op_sel:[1,1,0] op_sel_hi:[1,1,0]
	s_delay_alu instid0(VALU_DEP_4) | instskip(NEXT) | instid1(VALU_DEP_4)
	v_fma_mix_f32 v26, v32, v36, v26 op_sel:[1,1,0] op_sel_hi:[1,1,0]
	v_fma_mix_f32 v25, v34, v36, v25 op_sel:[1,1,0] op_sel_hi:[1,1,0]
	s_delay_alu instid0(VALU_DEP_4) | instskip(NEXT) | instid1(VALU_DEP_4)
	v_fma_mix_f32 v11, v29, v37, v11 op_sel_hi:[1,1,0]
	v_fma_mix_f32 v27, v31, v37, v12 op_sel_hi:[1,1,0]
	s_delay_alu instid0(VALU_DEP_4) | instskip(NEXT) | instid1(VALU_DEP_4)
	v_fma_mix_f32 v26, v33, v37, v26 op_sel_hi:[1,1,0]
	v_fma_mix_f32 v25, v35, v37, v25 op_sel_hi:[1,1,0]
	s_delay_alu instid0(VALU_DEP_4) | instskip(NEXT) | instid1(VALU_DEP_4)
	v_fma_mix_f32 v12, v29, v37, v11 op_sel:[1,1,0] op_sel_hi:[1,1,0]
	v_fma_mix_f32 v27, v31, v37, v27 op_sel:[1,1,0] op_sel_hi:[1,1,0]
	s_delay_alu instid0(VALU_DEP_4) | instskip(NEXT) | instid1(VALU_DEP_4)
	v_fma_mix_f32 v26, v33, v37, v26 op_sel:[1,1,0] op_sel_hi:[1,1,0]
	v_fma_mix_f32 v25, v35, v37, v25 op_sel:[1,1,0] op_sel_hi:[1,1,0]
	s_wait_alu 0xfffe
	s_and_not1_b32 exec_lo, exec_lo, s7
	s_cbranch_execnz .LBB102_19
; %bb.20:
	s_or_b32 exec_lo, exec_lo, s7
.LBB102_21:
	s_wait_alu 0xfffe
	s_or_b32 exec_lo, exec_lo, s3
	s_delay_alu instid0(SALU_CYCLE_1)
	s_mov_b32 s7, exec_lo
	v_cmpx_lt_u64_e32 47, v[19:20]
	s_cbranch_execz .LBB102_25
; %bb.22:
	v_lshlrev_b64_e32 v[19:20], 3, v[15:16]
	s_mov_b32 s10, 0
	s_delay_alu instid0(VALU_DEP_1) | instskip(SKIP_1) | instid1(VALU_DEP_2)
	v_add_co_u32 v11, vcc_lo, s8, v19
	s_wait_alu 0xfffd
	v_add_co_ci_u32_e64 v20, null, s9, v20, vcc_lo
	s_delay_alu instid0(VALU_DEP_2) | instskip(SKIP_1) | instid1(VALU_DEP_2)
	v_add_co_u32 v19, vcc_lo, 0x100, v11
	s_wait_alu 0xfffd
	v_add_co_ci_u32_e64 v20, null, 0, v20, vcc_lo
.LBB102_23:                             ; =>This Inner Loop Header: Depth=1
	s_clause 0x3
	global_load_b64 v[56:57], v[19:20], off offset:-256
	global_load_b64 v[58:59], v[19:20], off offset:-128
	global_load_b64 v[60:61], v[19:20], off
	global_load_b64 v[62:63], v[19:20], off offset:128
	s_clause 0x7
	global_load_b128 v[21:24], v[17:18], off
	global_load_b128 v[28:31], v[17:18], off offset:16
	global_load_b128 v[32:35], v[17:18], off offset:512
	;; [unrolled: 1-line block ×7, first 2 shown]
	s_wait_loadcnt 0xb
	v_sub_co_u32 v56, vcc_lo, v56, v1
	s_wait_alu 0xfffd
	v_sub_co_ci_u32_e64 v57, null, v57, v2, vcc_lo
	s_wait_loadcnt 0xa
	v_sub_co_u32 v58, vcc_lo, v58, v1
	s_wait_alu 0xfffd
	v_sub_co_ci_u32_e64 v59, null, v59, v2, vcc_lo
	v_lshlrev_b64_e32 v[56:57], 3, v[56:57]
	s_wait_loadcnt 0x9
	v_sub_co_u32 v60, vcc_lo, v60, v1
	s_delay_alu instid0(VALU_DEP_3)
	v_lshlrev_b64_e32 v[58:59], 3, v[58:59]
	s_wait_alu 0xfffd
	v_sub_co_ci_u32_e64 v61, null, v61, v2, vcc_lo
	s_wait_kmcnt 0x0
	v_add_co_u32 v56, s3, s4, v56
	s_wait_alu 0xf1ff
	v_add_co_ci_u32_e64 v57, null, s5, v57, s3
	v_add_co_u32 v58, vcc_lo, s4, v58
	s_wait_alu 0xfffd
	v_add_co_ci_u32_e64 v59, null, s5, v59, vcc_lo
	global_load_b64 v[56:57], v[56:57], off
	v_lshlrev_b64_e32 v[60:61], 3, v[60:61]
	s_wait_loadcnt 0x9
	v_sub_co_u32 v62, vcc_lo, v62, v1
	global_load_b64 v[58:59], v[58:59], off
	s_wait_alu 0xfffd
	v_sub_co_ci_u32_e64 v63, null, v63, v2, vcc_lo
	v_add_co_u32 v60, s3, s4, v60
	s_wait_alu 0xf1ff
	v_add_co_ci_u32_e64 v61, null, s5, v61, s3
	s_delay_alu instid0(VALU_DEP_3)
	v_lshlrev_b64_e32 v[62:63], 3, v[62:63]
	global_load_b64 v[60:61], v[60:61], off
	v_add_co_u32 v62, vcc_lo, s4, v62
	s_wait_alu 0xfffd
	v_add_co_ci_u32_e64 v63, null, s5, v63, vcc_lo
	v_add_co_u32 v17, vcc_lo, 0x800, v17
	s_wait_alu 0xfffd
	v_add_co_ci_u32_e64 v18, null, 0, v18, vcc_lo
	global_load_b64 v[62:63], v[62:63], off
	v_add_co_u32 v15, vcc_lo, v15, 64
	s_wait_alu 0xfffd
	v_add_co_ci_u32_e64 v16, null, 0, v16, vcc_lo
	v_add_co_u32 v19, vcc_lo, 0x200, v19
	s_wait_alu 0xfffd
	v_add_co_ci_u32_e64 v20, null, 0, v20, vcc_lo
	s_delay_alu instid0(VALU_DEP_3)
	v_cmp_ge_i64_e32 vcc_lo, v[15:16], v[7:8]
	s_wait_alu 0xfffe
	s_or_b32 s10, vcc_lo, s10
	s_wait_loadcnt 0x3
	v_fma_mix_f32 v11, v21, v56, v12 op_sel_hi:[1,1,0]
	v_fma_mix_f32 v12, v23, v56, v27 op_sel_hi:[1,1,0]
	v_fma_mix_f32 v26, v28, v56, v26 op_sel_hi:[1,1,0]
	v_fma_mix_f32 v25, v30, v56, v25 op_sel_hi:[1,1,0]
	s_delay_alu instid0(VALU_DEP_4) | instskip(NEXT) | instid1(VALU_DEP_4)
	v_fma_mix_f32 v11, v21, v56, v11 op_sel:[1,1,0] op_sel_hi:[1,1,0]
	v_fma_mix_f32 v12, v23, v56, v12 op_sel:[1,1,0] op_sel_hi:[1,1,0]
	s_delay_alu instid0(VALU_DEP_4) | instskip(NEXT) | instid1(VALU_DEP_4)
	v_fma_mix_f32 v21, v28, v56, v26 op_sel:[1,1,0] op_sel_hi:[1,1,0]
	v_fma_mix_f32 v23, v30, v56, v25 op_sel:[1,1,0] op_sel_hi:[1,1,0]
	s_delay_alu instid0(VALU_DEP_4) | instskip(NEXT) | instid1(VALU_DEP_4)
	v_fma_mix_f32 v11, v22, v57, v11 op_sel_hi:[1,1,0]
	v_fma_mix_f32 v12, v24, v57, v12 op_sel_hi:[1,1,0]
	s_delay_alu instid0(VALU_DEP_4) | instskip(NEXT) | instid1(VALU_DEP_4)
	v_fma_mix_f32 v21, v29, v57, v21 op_sel_hi:[1,1,0]
	v_fma_mix_f32 v23, v31, v57, v23 op_sel_hi:[1,1,0]
	s_delay_alu instid0(VALU_DEP_4) | instskip(NEXT) | instid1(VALU_DEP_4)
	v_fma_mix_f32 v11, v22, v57, v11 op_sel:[1,1,0] op_sel_hi:[1,1,0]
	v_fma_mix_f32 v12, v24, v57, v12 op_sel:[1,1,0] op_sel_hi:[1,1,0]
	s_delay_alu instid0(VALU_DEP_4) | instskip(NEXT) | instid1(VALU_DEP_4)
	v_fma_mix_f32 v21, v29, v57, v21 op_sel:[1,1,0] op_sel_hi:[1,1,0]
	v_fma_mix_f32 v22, v31, v57, v23 op_sel:[1,1,0] op_sel_hi:[1,1,0]
	s_wait_loadcnt 0x2
	v_fma_mix_f32 v11, v32, v58, v11 op_sel_hi:[1,1,0]
	v_fma_mix_f32 v12, v34, v58, v12 op_sel_hi:[1,1,0]
	v_fma_mix_f32 v21, v36, v58, v21 op_sel_hi:[1,1,0]
	v_fma_mix_f32 v22, v38, v58, v22 op_sel_hi:[1,1,0]
	s_delay_alu instid0(VALU_DEP_4) | instskip(NEXT) | instid1(VALU_DEP_4)
	v_fma_mix_f32 v11, v32, v58, v11 op_sel:[1,1,0] op_sel_hi:[1,1,0]
	v_fma_mix_f32 v12, v34, v58, v12 op_sel:[1,1,0] op_sel_hi:[1,1,0]
	s_delay_alu instid0(VALU_DEP_4) | instskip(NEXT) | instid1(VALU_DEP_4)
	v_fma_mix_f32 v21, v36, v58, v21 op_sel:[1,1,0] op_sel_hi:[1,1,0]
	v_fma_mix_f32 v22, v38, v58, v22 op_sel:[1,1,0] op_sel_hi:[1,1,0]
	s_delay_alu instid0(VALU_DEP_4) | instskip(NEXT) | instid1(VALU_DEP_4)
	v_fma_mix_f32 v11, v33, v59, v11 op_sel_hi:[1,1,0]
	v_fma_mix_f32 v12, v35, v59, v12 op_sel_hi:[1,1,0]
	s_delay_alu instid0(VALU_DEP_4) | instskip(NEXT) | instid1(VALU_DEP_4)
	v_fma_mix_f32 v21, v37, v59, v21 op_sel_hi:[1,1,0]
	v_fma_mix_f32 v22, v39, v59, v22 op_sel_hi:[1,1,0]
	s_delay_alu instid0(VALU_DEP_4) | instskip(NEXT) | instid1(VALU_DEP_4)
	v_fma_mix_f32 v11, v33, v59, v11 op_sel:[1,1,0] op_sel_hi:[1,1,0]
	v_fma_mix_f32 v12, v35, v59, v12 op_sel:[1,1,0] op_sel_hi:[1,1,0]
	s_delay_alu instid0(VALU_DEP_4) | instskip(NEXT) | instid1(VALU_DEP_4)
	v_fma_mix_f32 v21, v37, v59, v21 op_sel:[1,1,0] op_sel_hi:[1,1,0]
	v_fma_mix_f32 v22, v39, v59, v22 op_sel:[1,1,0] op_sel_hi:[1,1,0]
	s_wait_loadcnt 0x1
	v_fma_mix_f32 v11, v40, v60, v11 op_sel_hi:[1,1,0]
	v_fma_mix_f32 v12, v42, v60, v12 op_sel_hi:[1,1,0]
	v_fma_mix_f32 v21, v44, v60, v21 op_sel_hi:[1,1,0]
	v_fma_mix_f32 v22, v46, v60, v22 op_sel_hi:[1,1,0]
	s_delay_alu instid0(VALU_DEP_4) | instskip(NEXT) | instid1(VALU_DEP_4)
	v_fma_mix_f32 v11, v40, v60, v11 op_sel:[1,1,0] op_sel_hi:[1,1,0]
	v_fma_mix_f32 v12, v42, v60, v12 op_sel:[1,1,0] op_sel_hi:[1,1,0]
	s_delay_alu instid0(VALU_DEP_4) | instskip(NEXT) | instid1(VALU_DEP_4)
	v_fma_mix_f32 v21, v44, v60, v21 op_sel:[1,1,0] op_sel_hi:[1,1,0]
	v_fma_mix_f32 v22, v46, v60, v22 op_sel:[1,1,0] op_sel_hi:[1,1,0]
	s_delay_alu instid0(VALU_DEP_4) | instskip(NEXT) | instid1(VALU_DEP_4)
	v_fma_mix_f32 v11, v41, v61, v11 op_sel_hi:[1,1,0]
	v_fma_mix_f32 v12, v43, v61, v12 op_sel_hi:[1,1,0]
	s_delay_alu instid0(VALU_DEP_4) | instskip(NEXT) | instid1(VALU_DEP_4)
	v_fma_mix_f32 v21, v45, v61, v21 op_sel_hi:[1,1,0]
	v_fma_mix_f32 v22, v47, v61, v22 op_sel_hi:[1,1,0]
	s_delay_alu instid0(VALU_DEP_4) | instskip(NEXT) | instid1(VALU_DEP_4)
	v_fma_mix_f32 v11, v41, v61, v11 op_sel:[1,1,0] op_sel_hi:[1,1,0]
	v_fma_mix_f32 v12, v43, v61, v12 op_sel:[1,1,0] op_sel_hi:[1,1,0]
	s_delay_alu instid0(VALU_DEP_4) | instskip(NEXT) | instid1(VALU_DEP_4)
	v_fma_mix_f32 v21, v45, v61, v21 op_sel:[1,1,0] op_sel_hi:[1,1,0]
	v_fma_mix_f32 v22, v47, v61, v22 op_sel:[1,1,0] op_sel_hi:[1,1,0]
	s_wait_loadcnt 0x0
	v_fma_mix_f32 v11, v48, v62, v11 op_sel_hi:[1,1,0]
	v_fma_mix_f32 v12, v50, v62, v12 op_sel_hi:[1,1,0]
	v_fma_mix_f32 v21, v52, v62, v21 op_sel_hi:[1,1,0]
	v_fma_mix_f32 v22, v54, v62, v22 op_sel_hi:[1,1,0]
	s_delay_alu instid0(VALU_DEP_4) | instskip(NEXT) | instid1(VALU_DEP_4)
	v_fma_mix_f32 v11, v48, v62, v11 op_sel:[1,1,0] op_sel_hi:[1,1,0]
	v_fma_mix_f32 v12, v50, v62, v12 op_sel:[1,1,0] op_sel_hi:[1,1,0]
	s_delay_alu instid0(VALU_DEP_4) | instskip(NEXT) | instid1(VALU_DEP_4)
	v_fma_mix_f32 v21, v52, v62, v21 op_sel:[1,1,0] op_sel_hi:[1,1,0]
	v_fma_mix_f32 v22, v54, v62, v22 op_sel:[1,1,0] op_sel_hi:[1,1,0]
	s_delay_alu instid0(VALU_DEP_4) | instskip(NEXT) | instid1(VALU_DEP_4)
	v_fma_mix_f32 v11, v49, v63, v11 op_sel_hi:[1,1,0]
	v_fma_mix_f32 v23, v51, v63, v12 op_sel_hi:[1,1,0]
	s_delay_alu instid0(VALU_DEP_4) | instskip(NEXT) | instid1(VALU_DEP_4)
	v_fma_mix_f32 v21, v53, v63, v21 op_sel_hi:[1,1,0]
	v_fma_mix_f32 v22, v55, v63, v22 op_sel_hi:[1,1,0]
	s_delay_alu instid0(VALU_DEP_4) | instskip(NEXT) | instid1(VALU_DEP_4)
	v_fma_mix_f32 v12, v49, v63, v11 op_sel:[1,1,0] op_sel_hi:[1,1,0]
	v_fma_mix_f32 v27, v51, v63, v23 op_sel:[1,1,0] op_sel_hi:[1,1,0]
	s_delay_alu instid0(VALU_DEP_4) | instskip(NEXT) | instid1(VALU_DEP_4)
	v_fma_mix_f32 v26, v53, v63, v21 op_sel:[1,1,0] op_sel_hi:[1,1,0]
	v_fma_mix_f32 v25, v55, v63, v22 op_sel:[1,1,0] op_sel_hi:[1,1,0]
	s_wait_alu 0xfffe
	s_and_not1_b32 exec_lo, exec_lo, s10
	s_cbranch_execnz .LBB102_23
; %bb.24:
	s_or_b32 exec_lo, exec_lo, s10
.LBB102_25:
	s_wait_alu 0xfffe
	s_or_b32 exec_lo, exec_lo, s7
.LBB102_26:
	s_wait_alu 0xfffe
	s_or_b32 exec_lo, exec_lo, s6
	s_cbranch_execz .LBB102_28
	s_branch .LBB102_39
.LBB102_27:
                                        ; implicit-def: $vgpr25
                                        ; implicit-def: $vgpr26
                                        ; implicit-def: $vgpr27
                                        ; implicit-def: $vgpr12
.LBB102_28:
	v_dual_mov_b32 v25, 0 :: v_dual_mov_b32 v26, 0
	v_dual_mov_b32 v27, 0 :: v_dual_mov_b32 v12, 0
	s_and_saveexec_b32 s3, s2
	s_cbranch_execz .LBB102_38
; %bb.29:
	v_or_b32_e32 v11, 16, v0
	v_sub_co_u32 v15, s2, v1, v0
	s_wait_alu 0xf1ff
	v_subrev_co_ci_u32_e64 v16, null, 0, v2, s2
	s_delay_alu instid0(VALU_DEP_3)
	v_sub_co_u32 v11, vcc_lo, v11, v1
	s_wait_alu 0xfffd
	v_sub_co_ci_u32_e64 v12, null, 0, v2, vcc_lo
	s_mov_b32 s2, exec_lo
	v_add_co_u32 v11, vcc_lo, v11, v13
	s_wait_alu 0xfffd
	v_add_co_ci_u32_e64 v12, null, v12, v14, vcc_lo
	v_not_b32_e32 v13, v13
	v_not_b32_e32 v14, v14
	s_delay_alu instid0(VALU_DEP_3)
	v_cmp_gt_i64_e32 vcc_lo, v[11:12], v[7:8]
	s_wait_alu 0xfffd
	v_cndmask_b32_e32 v17, v8, v12, vcc_lo
	v_cndmask_b32_e32 v11, v7, v11, vcc_lo
	v_add_co_u32 v12, vcc_lo, v15, v13
	s_wait_alu 0xfffd
	v_add_co_ci_u32_e64 v14, null, v16, v14, vcc_lo
	s_delay_alu instid0(VALU_DEP_2) | instskip(SKIP_2) | instid1(VALU_DEP_3)
	v_add_co_u32 v13, vcc_lo, v12, v11
	v_mov_b32_e32 v12, 0
	s_wait_alu 0xfffd
	v_add_co_ci_u32_e64 v14, null, v14, v17, vcc_lo
	s_delay_alu instid0(VALU_DEP_3) | instskip(NEXT) | instid1(VALU_DEP_3)
	v_and_b32_e32 v11, 48, v13
	v_dual_mov_b32 v27, v12 :: v_dual_mov_b32 v26, v12
	v_mov_b32_e32 v25, v12
	s_delay_alu instid0(VALU_DEP_3)
	v_cmpx_ne_u64_e32 48, v[11:12]
	s_cbranch_execz .LBB102_33
; %bb.30:
	v_lshrrev_b32_e32 v11, 4, v13
	v_mov_b32_e32 v25, 0
	v_dual_mov_b32 v27, 0 :: v_dual_mov_b32 v26, 0
	s_delay_alu instid0(VALU_DEP_3) | instskip(SKIP_1) | instid1(VALU_DEP_2)
	v_add_nc_u32_e32 v15, 1, v11
	v_lshlrev_b64_e32 v[11:12], 3, v[5:6]
	v_and_b32_e32 v17, 3, v15
	s_delay_alu instid0(VALU_DEP_2) | instskip(SKIP_1) | instid1(VALU_DEP_3)
	v_add_co_u32 v15, vcc_lo, s8, v11
	s_wait_alu 0xfffd
	v_add_co_ci_u32_e64 v16, null, s9, v12, vcc_lo
	s_delay_alu instid0(VALU_DEP_3)
	v_sub_co_u32 v17, s6, 0, v17
	s_wait_alu 0xf1ff
	v_sub_co_ci_u32_e64 v18, null, 0, 0, s6
	v_mov_b32_e32 v12, 0
	s_mov_b32 s6, 0
.LBB102_31:                             ; =>This Inner Loop Header: Depth=1
	global_load_b64 v[23:24], v[15:16], off
	global_load_b128 v[19:22], v[9:10], off
	s_wait_loadcnt 0x1
	v_sub_co_u32 v23, vcc_lo, v23, v1
	s_wait_alu 0xfffd
	v_sub_co_ci_u32_e64 v24, null, v24, v2, vcc_lo
	s_delay_alu instid0(VALU_DEP_1) | instskip(SKIP_1) | instid1(VALU_DEP_1)
	v_lshlrev_b64_e32 v[23:24], 3, v[23:24]
	s_wait_kmcnt 0x0
	v_add_co_u32 v23, vcc_lo, s4, v23
	s_wait_alu 0xfffd
	s_delay_alu instid0(VALU_DEP_2)
	v_add_co_ci_u32_e64 v24, null, s5, v24, vcc_lo
	global_load_b64 v[23:24], v[23:24], off
	global_load_b128 v[28:31], v[9:10], off offset:16
	v_add_co_u32 v9, vcc_lo, 0x200, v9
	s_wait_alu 0xfffd
	v_add_co_ci_u32_e64 v10, null, 0, v10, vcc_lo
	v_add_co_u32 v5, vcc_lo, v5, 16
	s_wait_alu 0xfffd
	v_add_co_ci_u32_e64 v6, null, 0, v6, vcc_lo
	;; [unrolled: 3-line block ×4, first 2 shown]
	s_delay_alu instid0(VALU_DEP_1)
	v_cmp_eq_u64_e32 vcc_lo, 0, v[17:18]
	s_wait_alu 0xfffe
	s_or_b32 s6, vcc_lo, s6
	s_wait_loadcnt 0x1
	v_fma_mix_f32 v11, v19, v23, v12 op_sel_hi:[1,1,0]
	v_fma_mix_f32 v12, v19, v23, v27 op_sel:[1,0,0] op_sel_hi:[1,1,0]
	v_fma_mix_f32 v19, v20, v23, v26 op_sel_hi:[1,1,0]
	v_fma_mix_f32 v20, v20, v23, v25 op_sel:[1,0,0] op_sel_hi:[1,1,0]
	s_delay_alu instid0(VALU_DEP_4) | instskip(NEXT) | instid1(VALU_DEP_4)
	v_fma_mix_f32 v11, v21, v23, v11 op_sel:[0,1,0] op_sel_hi:[1,1,0]
	v_fma_mix_f32 v12, v21, v23, v12 op_sel:[1,1,0] op_sel_hi:[1,1,0]
	s_delay_alu instid0(VALU_DEP_4) | instskip(NEXT) | instid1(VALU_DEP_4)
	v_fma_mix_f32 v19, v22, v23, v19 op_sel:[0,1,0] op_sel_hi:[1,1,0]
	v_fma_mix_f32 v20, v22, v23, v20 op_sel:[1,1,0] op_sel_hi:[1,1,0]
	s_wait_loadcnt 0x0
	v_fma_mix_f32 v11, v28, v24, v11 op_sel_hi:[1,1,0]
	v_fma_mix_f32 v21, v28, v24, v12 op_sel:[1,0,0] op_sel_hi:[1,1,0]
	v_fma_mix_f32 v19, v29, v24, v19 op_sel_hi:[1,1,0]
	v_fma_mix_f32 v20, v29, v24, v20 op_sel:[1,0,0] op_sel_hi:[1,1,0]
	s_delay_alu instid0(VALU_DEP_4) | instskip(NEXT) | instid1(VALU_DEP_4)
	v_fma_mix_f32 v12, v30, v24, v11 op_sel:[0,1,0] op_sel_hi:[1,1,0]
	v_fma_mix_f32 v27, v30, v24, v21 op_sel:[1,1,0] op_sel_hi:[1,1,0]
	s_delay_alu instid0(VALU_DEP_4) | instskip(NEXT) | instid1(VALU_DEP_4)
	v_fma_mix_f32 v26, v31, v24, v19 op_sel:[0,1,0] op_sel_hi:[1,1,0]
	v_fma_mix_f32 v25, v31, v24, v20 op_sel:[1,1,0] op_sel_hi:[1,1,0]
	s_wait_alu 0xfffe
	s_and_not1_b32 exec_lo, exec_lo, s6
	s_cbranch_execnz .LBB102_31
; %bb.32:
	s_or_b32 exec_lo, exec_lo, s6
.LBB102_33:
	s_wait_alu 0xfffe
	s_or_b32 exec_lo, exec_lo, s2
	s_delay_alu instid0(SALU_CYCLE_1)
	s_mov_b32 s6, exec_lo
	v_cmpx_lt_u64_e32 47, v[13:14]
	s_cbranch_execz .LBB102_37
; %bb.34:
	v_lshlrev_b64_e32 v[13:14], 3, v[5:6]
	s_mov_b32 s7, 0
	s_delay_alu instid0(VALU_DEP_1) | instskip(SKIP_1) | instid1(VALU_DEP_2)
	v_add_co_u32 v11, vcc_lo, s8, v13
	s_wait_alu 0xfffd
	v_add_co_ci_u32_e64 v14, null, s9, v14, vcc_lo
	s_delay_alu instid0(VALU_DEP_2) | instskip(SKIP_1) | instid1(VALU_DEP_2)
	v_add_co_u32 v13, vcc_lo, 0x100, v11
	s_wait_alu 0xfffd
	v_add_co_ci_u32_e64 v14, null, 0, v14, vcc_lo
.LBB102_35:                             ; =>This Inner Loop Header: Depth=1
	s_clause 0x3
	global_load_b64 v[23:24], v[13:14], off offset:-256
	global_load_b64 v[48:49], v[13:14], off offset:-128
	global_load_b64 v[50:51], v[13:14], off
	global_load_b64 v[52:53], v[13:14], off offset:128
	s_clause 0x6
	global_load_b128 v[15:18], v[9:10], off
	global_load_b128 v[19:22], v[9:10], off offset:16
	global_load_b128 v[28:31], v[9:10], off offset:512
	;; [unrolled: 1-line block ×6, first 2 shown]
	s_wait_loadcnt 0xa
	v_sub_co_u32 v23, vcc_lo, v23, v1
	s_wait_alu 0xfffd
	v_sub_co_ci_u32_e64 v24, null, v24, v2, vcc_lo
	s_wait_loadcnt 0x9
	v_sub_co_u32 v48, vcc_lo, v48, v1
	s_wait_alu 0xfffd
	v_sub_co_ci_u32_e64 v49, null, v49, v2, vcc_lo
	v_lshlrev_b64_e32 v[23:24], 3, v[23:24]
	s_wait_loadcnt 0x8
	v_sub_co_u32 v50, vcc_lo, v50, v1
	s_delay_alu instid0(VALU_DEP_3)
	v_lshlrev_b64_e32 v[48:49], 3, v[48:49]
	s_wait_alu 0xfffd
	v_sub_co_ci_u32_e64 v51, null, v51, v2, vcc_lo
	s_wait_kmcnt 0x0
	v_add_co_u32 v23, s2, s4, v23
	s_wait_alu 0xf1ff
	v_add_co_ci_u32_e64 v24, null, s5, v24, s2
	v_add_co_u32 v48, vcc_lo, s4, v48
	s_wait_alu 0xfffd
	v_add_co_ci_u32_e64 v49, null, s5, v49, vcc_lo
	s_clause 0x1
	global_load_b64 v[23:24], v[23:24], off
	global_load_b64 v[54:55], v[48:49], off
	v_lshlrev_b64_e32 v[49:50], 3, v[50:51]
	s_wait_loadcnt 0x9
	v_sub_co_u32 v48, vcc_lo, v52, v1
	s_delay_alu instid0(VALU_DEP_2) | instskip(SKIP_1) | instid1(VALU_DEP_3)
	v_add_co_u32 v49, s2, s4, v49
	s_wait_alu 0xf1ff
	v_add_co_ci_u32_e64 v50, null, s5, v50, s2
	global_load_b64 v[56:57], v[49:50], off
	s_wait_alu 0xfffd
	v_sub_co_ci_u32_e64 v49, null, v53, v2, vcc_lo
	s_delay_alu instid0(VALU_DEP_1) | instskip(NEXT) | instid1(VALU_DEP_1)
	v_lshlrev_b64_e32 v[48:49], 3, v[48:49]
	v_add_co_u32 v48, vcc_lo, s4, v48
	s_wait_alu 0xfffd
	s_delay_alu instid0(VALU_DEP_2)
	v_add_co_ci_u32_e64 v49, null, s5, v49, vcc_lo
	global_load_b64 v[52:53], v[48:49], off
	global_load_b128 v[48:51], v[9:10], off offset:1552
	v_add_co_u32 v9, vcc_lo, 0x800, v9
	s_wait_alu 0xfffd
	v_add_co_ci_u32_e64 v10, null, 0, v10, vcc_lo
	v_add_co_u32 v5, vcc_lo, v5, 64
	s_wait_alu 0xfffd
	v_add_co_ci_u32_e64 v6, null, 0, v6, vcc_lo
	;; [unrolled: 3-line block ×3, first 2 shown]
	s_delay_alu instid0(VALU_DEP_3)
	v_cmp_ge_i64_e32 vcc_lo, v[5:6], v[7:8]
	s_wait_alu 0xfffe
	s_or_b32 s7, vcc_lo, s7
	s_wait_loadcnt 0x4
	v_fma_mix_f32 v11, v15, v23, v12 op_sel_hi:[1,1,0]
	v_fma_mix_f32 v12, v15, v23, v27 op_sel:[1,0,0] op_sel_hi:[1,1,0]
	v_fma_mix_f32 v15, v16, v23, v26 op_sel_hi:[1,1,0]
	v_fma_mix_f32 v16, v16, v23, v25 op_sel:[1,0,0] op_sel_hi:[1,1,0]
	s_delay_alu instid0(VALU_DEP_4) | instskip(NEXT) | instid1(VALU_DEP_4)
	v_fma_mix_f32 v11, v17, v23, v11 op_sel:[0,1,0] op_sel_hi:[1,1,0]
	v_fma_mix_f32 v12, v17, v23, v12 op_sel:[1,1,0] op_sel_hi:[1,1,0]
	s_delay_alu instid0(VALU_DEP_4) | instskip(NEXT) | instid1(VALU_DEP_4)
	v_fma_mix_f32 v15, v18, v23, v15 op_sel:[0,1,0] op_sel_hi:[1,1,0]
	v_fma_mix_f32 v16, v18, v23, v16 op_sel:[1,1,0] op_sel_hi:[1,1,0]
	s_delay_alu instid0(VALU_DEP_4) | instskip(NEXT) | instid1(VALU_DEP_4)
	v_fma_mix_f32 v11, v19, v24, v11 op_sel_hi:[1,1,0]
	v_fma_mix_f32 v12, v19, v24, v12 op_sel:[1,0,0] op_sel_hi:[1,1,0]
	s_delay_alu instid0(VALU_DEP_4) | instskip(NEXT) | instid1(VALU_DEP_4)
	v_fma_mix_f32 v15, v20, v24, v15 op_sel_hi:[1,1,0]
	v_fma_mix_f32 v16, v20, v24, v16 op_sel:[1,0,0] op_sel_hi:[1,1,0]
	s_delay_alu instid0(VALU_DEP_4) | instskip(NEXT) | instid1(VALU_DEP_4)
	v_fma_mix_f32 v11, v21, v24, v11 op_sel:[0,1,0] op_sel_hi:[1,1,0]
	v_fma_mix_f32 v12, v21, v24, v12 op_sel:[1,1,0] op_sel_hi:[1,1,0]
	s_delay_alu instid0(VALU_DEP_4) | instskip(NEXT) | instid1(VALU_DEP_4)
	v_fma_mix_f32 v15, v22, v24, v15 op_sel:[0,1,0] op_sel_hi:[1,1,0]
	v_fma_mix_f32 v16, v22, v24, v16 op_sel:[1,1,0] op_sel_hi:[1,1,0]
	s_wait_loadcnt 0x3
	v_fma_mix_f32 v11, v28, v54, v11 op_sel_hi:[1,1,0]
	v_fma_mix_f32 v12, v28, v54, v12 op_sel:[1,0,0] op_sel_hi:[1,1,0]
	v_fma_mix_f32 v15, v29, v54, v15 op_sel_hi:[1,1,0]
	v_fma_mix_f32 v16, v29, v54, v16 op_sel:[1,0,0] op_sel_hi:[1,1,0]
	s_delay_alu instid0(VALU_DEP_4) | instskip(NEXT) | instid1(VALU_DEP_4)
	v_fma_mix_f32 v11, v30, v54, v11 op_sel:[0,1,0] op_sel_hi:[1,1,0]
	v_fma_mix_f32 v12, v30, v54, v12 op_sel:[1,1,0] op_sel_hi:[1,1,0]
	s_delay_alu instid0(VALU_DEP_4) | instskip(NEXT) | instid1(VALU_DEP_4)
	v_fma_mix_f32 v15, v31, v54, v15 op_sel:[0,1,0] op_sel_hi:[1,1,0]
	v_fma_mix_f32 v16, v31, v54, v16 op_sel:[1,1,0] op_sel_hi:[1,1,0]
	s_delay_alu instid0(VALU_DEP_4) | instskip(NEXT) | instid1(VALU_DEP_4)
	v_fma_mix_f32 v11, v32, v55, v11 op_sel_hi:[1,1,0]
	v_fma_mix_f32 v12, v32, v55, v12 op_sel:[1,0,0] op_sel_hi:[1,1,0]
	s_delay_alu instid0(VALU_DEP_4) | instskip(NEXT) | instid1(VALU_DEP_4)
	v_fma_mix_f32 v15, v33, v55, v15 op_sel_hi:[1,1,0]
	v_fma_mix_f32 v16, v33, v55, v16 op_sel:[1,0,0] op_sel_hi:[1,1,0]
	s_delay_alu instid0(VALU_DEP_4) | instskip(NEXT) | instid1(VALU_DEP_4)
	v_fma_mix_f32 v11, v34, v55, v11 op_sel:[0,1,0] op_sel_hi:[1,1,0]
	v_fma_mix_f32 v12, v34, v55, v12 op_sel:[1,1,0] op_sel_hi:[1,1,0]
	s_delay_alu instid0(VALU_DEP_4) | instskip(NEXT) | instid1(VALU_DEP_4)
	v_fma_mix_f32 v15, v35, v55, v15 op_sel:[0,1,0] op_sel_hi:[1,1,0]
	v_fma_mix_f32 v16, v35, v55, v16 op_sel:[1,1,0] op_sel_hi:[1,1,0]
	s_wait_loadcnt 0x2
	v_fma_mix_f32 v11, v36, v56, v11 op_sel_hi:[1,1,0]
	v_fma_mix_f32 v12, v36, v56, v12 op_sel:[1,0,0] op_sel_hi:[1,1,0]
	v_fma_mix_f32 v15, v37, v56, v15 op_sel_hi:[1,1,0]
	v_fma_mix_f32 v16, v37, v56, v16 op_sel:[1,0,0] op_sel_hi:[1,1,0]
	s_delay_alu instid0(VALU_DEP_4) | instskip(NEXT) | instid1(VALU_DEP_4)
	v_fma_mix_f32 v11, v38, v56, v11 op_sel:[0,1,0] op_sel_hi:[1,1,0]
	v_fma_mix_f32 v12, v38, v56, v12 op_sel:[1,1,0] op_sel_hi:[1,1,0]
	s_delay_alu instid0(VALU_DEP_4) | instskip(NEXT) | instid1(VALU_DEP_4)
	v_fma_mix_f32 v15, v39, v56, v15 op_sel:[0,1,0] op_sel_hi:[1,1,0]
	v_fma_mix_f32 v16, v39, v56, v16 op_sel:[1,1,0] op_sel_hi:[1,1,0]
	s_delay_alu instid0(VALU_DEP_4) | instskip(NEXT) | instid1(VALU_DEP_4)
	v_fma_mix_f32 v11, v40, v57, v11 op_sel_hi:[1,1,0]
	v_fma_mix_f32 v12, v40, v57, v12 op_sel:[1,0,0] op_sel_hi:[1,1,0]
	s_delay_alu instid0(VALU_DEP_4) | instskip(NEXT) | instid1(VALU_DEP_4)
	v_fma_mix_f32 v15, v41, v57, v15 op_sel_hi:[1,1,0]
	v_fma_mix_f32 v16, v41, v57, v16 op_sel:[1,0,0] op_sel_hi:[1,1,0]
	s_delay_alu instid0(VALU_DEP_4) | instskip(NEXT) | instid1(VALU_DEP_4)
	v_fma_mix_f32 v11, v42, v57, v11 op_sel:[0,1,0] op_sel_hi:[1,1,0]
	v_fma_mix_f32 v12, v42, v57, v12 op_sel:[1,1,0] op_sel_hi:[1,1,0]
	s_delay_alu instid0(VALU_DEP_4) | instskip(NEXT) | instid1(VALU_DEP_4)
	v_fma_mix_f32 v15, v43, v57, v15 op_sel:[0,1,0] op_sel_hi:[1,1,0]
	v_fma_mix_f32 v16, v43, v57, v16 op_sel:[1,1,0] op_sel_hi:[1,1,0]
	s_wait_loadcnt 0x1
	v_fma_mix_f32 v11, v44, v52, v11 op_sel_hi:[1,1,0]
	v_fma_mix_f32 v12, v44, v52, v12 op_sel:[1,0,0] op_sel_hi:[1,1,0]
	v_fma_mix_f32 v15, v45, v52, v15 op_sel_hi:[1,1,0]
	v_fma_mix_f32 v16, v45, v52, v16 op_sel:[1,0,0] op_sel_hi:[1,1,0]
	s_delay_alu instid0(VALU_DEP_4) | instskip(NEXT) | instid1(VALU_DEP_4)
	v_fma_mix_f32 v11, v46, v52, v11 op_sel:[0,1,0] op_sel_hi:[1,1,0]
	v_fma_mix_f32 v12, v46, v52, v12 op_sel:[1,1,0] op_sel_hi:[1,1,0]
	s_delay_alu instid0(VALU_DEP_4) | instskip(NEXT) | instid1(VALU_DEP_4)
	v_fma_mix_f32 v15, v47, v52, v15 op_sel:[0,1,0] op_sel_hi:[1,1,0]
	v_fma_mix_f32 v16, v47, v52, v16 op_sel:[1,1,0] op_sel_hi:[1,1,0]
	s_wait_loadcnt 0x0
	v_fma_mix_f32 v11, v48, v53, v11 op_sel_hi:[1,1,0]
	v_fma_mix_f32 v17, v48, v53, v12 op_sel:[1,0,0] op_sel_hi:[1,1,0]
	v_fma_mix_f32 v15, v49, v53, v15 op_sel_hi:[1,1,0]
	v_fma_mix_f32 v16, v49, v53, v16 op_sel:[1,0,0] op_sel_hi:[1,1,0]
	s_delay_alu instid0(VALU_DEP_4) | instskip(NEXT) | instid1(VALU_DEP_4)
	v_fma_mix_f32 v12, v50, v53, v11 op_sel:[0,1,0] op_sel_hi:[1,1,0]
	v_fma_mix_f32 v27, v50, v53, v17 op_sel:[1,1,0] op_sel_hi:[1,1,0]
	s_delay_alu instid0(VALU_DEP_4) | instskip(NEXT) | instid1(VALU_DEP_4)
	v_fma_mix_f32 v26, v51, v53, v15 op_sel:[0,1,0] op_sel_hi:[1,1,0]
	v_fma_mix_f32 v25, v51, v53, v16 op_sel:[1,1,0] op_sel_hi:[1,1,0]
	s_wait_alu 0xfffe
	s_and_not1_b32 exec_lo, exec_lo, s7
	s_cbranch_execnz .LBB102_35
; %bb.36:
	s_or_b32 exec_lo, exec_lo, s7
.LBB102_37:
	s_wait_alu 0xfffe
	s_or_b32 exec_lo, exec_lo, s6
.LBB102_38:
	s_wait_alu 0xfffe
	s_or_b32 exec_lo, exec_lo, s3
.LBB102_39:
	v_mbcnt_lo_u32_b32 v1, -1, 0
	s_mov_b32 s2, -1
	s_delay_alu instid0(VALU_DEP_1) | instskip(SKIP_1) | instid1(VALU_DEP_2)
	v_xor_b32_e32 v2, 8, v1
	v_xor_b32_e32 v8, 4, v1
	v_cmp_gt_i32_e32 vcc_lo, 32, v2
	s_wait_alu 0xfffd
	v_cndmask_b32_e32 v2, v1, v2, vcc_lo
	s_delay_alu instid0(VALU_DEP_3) | instskip(NEXT) | instid1(VALU_DEP_2)
	v_cmp_gt_i32_e32 vcc_lo, 32, v8
	v_lshlrev_b32_e32 v2, 2, v2
	ds_bpermute_b32 v7, v2, v26
	s_wait_dscnt 0x0
	v_add_f32_e32 v7, v26, v7
	ds_bpermute_b32 v5, v2, v12
	s_wait_alu 0xfffd
	v_cndmask_b32_e32 v8, v1, v8, vcc_lo
	ds_bpermute_b32 v6, v2, v27
	ds_bpermute_b32 v2, v2, v25
	s_wait_dscnt 0x2
	v_dual_add_f32 v5, v12, v5 :: v_dual_lshlrev_b32 v8, 2, v8
	s_wait_dscnt 0x1
	v_add_f32_e32 v6, v27, v6
	s_wait_dscnt 0x0
	v_add_f32_e32 v2, v25, v2
	v_xor_b32_e32 v12, 2, v1
	ds_bpermute_b32 v9, v8, v5
	v_cmp_gt_i32_e32 vcc_lo, 32, v12
	s_wait_dscnt 0x0
	v_add_f32_e32 v5, v5, v9
	ds_bpermute_b32 v11, v8, v7
	ds_bpermute_b32 v10, v8, v6
	;; [unrolled: 1-line block ×3, first 2 shown]
	s_wait_dscnt 0x2
	s_wait_alu 0xfffd
	v_dual_add_f32 v7, v7, v11 :: v_dual_cndmask_b32 v12, v1, v12
	s_wait_dscnt 0x1
	v_add_f32_e32 v6, v6, v10
	s_wait_dscnt 0x0
	v_add_f32_e32 v8, v2, v8
	v_lshlrev_b32_e32 v12, 2, v12
	ds_bpermute_b32 v2, v12, v5
	ds_bpermute_b32 v9, v12, v6
	;; [unrolled: 1-line block ×4, first 2 shown]
	v_xor_b32_e32 v12, 1, v1
	s_delay_alu instid0(VALU_DEP_1) | instskip(SKIP_4) | instid1(VALU_DEP_2)
	v_cmp_gt_i32_e32 vcc_lo, 32, v12
	s_wait_alu 0xfffd
	v_cndmask_b32_e32 v1, v1, v12, vcc_lo
	v_cmp_eq_u32_e32 vcc_lo, 15, v0
	s_wait_dscnt 0x3
	v_dual_add_f32 v1, v5, v2 :: v_dual_lshlrev_b32 v12, 2, v1
	s_wait_dscnt 0x1
	v_dual_add_f32 v2, v6, v9 :: v_dual_add_f32 v5, v7, v10
	s_wait_dscnt 0x0
	v_add_f32_e32 v6, v8, v11
	ds_bpermute_b32 v7, v12, v1
	ds_bpermute_b32 v8, v12, v2
	;; [unrolled: 1-line block ×4, first 2 shown]
	s_and_b32 exec_lo, exec_lo, vcc_lo
	s_cbranch_execz .LBB102_10
; %bb.40:
	s_load_b64 s[0:1], s[0:1], 0x58
	s_wait_dscnt 0x2
	v_dual_add_f32 v0, v1, v7 :: v_dual_add_f32 v1, v2, v8
	s_wait_dscnt 0x0
	v_add_f32_e32 v6, v6, v10
	s_cmp_eq_f32 s16, 0
	s_delay_alu instid0(VALU_DEP_2) | instskip(SKIP_3) | instid1(VALU_DEP_3)
	v_dual_mul_f32 v0, s12, v0 :: v_dual_mul_f32 v1, s12, v1
	v_add_f32_e32 v2, v5, v9
	v_lshlrev_b64_e32 v[4:5], 4, v[3:4]
	v_mul_f32_e32 v3, s12, v6
	v_mul_f32_e32 v2, s12, v2
	s_cbranch_scc0 .LBB102_42
; %bb.41:
	s_wait_kmcnt 0x0
	s_delay_alu instid0(VALU_DEP_3)
	v_add_co_u32 v6, vcc_lo, s0, v4
	s_wait_alu 0xfffd
	v_add_co_ci_u32_e64 v7, null, s1, v5, vcc_lo
	s_mov_b32 s2, 0
	global_store_b128 v[6:7], v[0:3], off
.LBB102_42:
	s_wait_alu 0xfffe
	s_and_not1_b32 vcc_lo, exec_lo, s2
	s_wait_alu 0xfffe
	s_cbranch_vccnz .LBB102_10
; %bb.43:
	s_wait_kmcnt 0x0
	v_add_co_u32 v8, vcc_lo, s0, v4
	s_wait_alu 0xfffd
	v_add_co_ci_u32_e64 v9, null, s1, v5, vcc_lo
	global_load_b128 v[4:7], v[8:9], off
	s_wait_loadcnt 0x0
	v_dual_fmac_f32 v0, s16, v4 :: v_dual_fmac_f32 v1, s16, v5
	v_dual_fmac_f32 v2, s16, v6 :: v_dual_fmac_f32 v3, s16, v7
	global_store_b128 v[8:9], v[0:3], off
	s_endpgm
	.section	.rodata,"a",@progbits
	.p2align	6, 0x0
	.amdhsa_kernel _ZN9rocsparseL18bsrxmvn_4x4_kernelILj128ELj16EfllDF16_DF16_fEEvT3_20rocsparse_direction_NS_24const_host_device_scalarIT1_EES1_PKS1_PKT2_SA_S7_PKT4_PKT5_S5_PT6_21rocsparse_index_base_b
		.amdhsa_group_segment_fixed_size 0
		.amdhsa_private_segment_fixed_size 0
		.amdhsa_kernarg_size 104
		.amdhsa_user_sgpr_count 2
		.amdhsa_user_sgpr_dispatch_ptr 0
		.amdhsa_user_sgpr_queue_ptr 0
		.amdhsa_user_sgpr_kernarg_segment_ptr 1
		.amdhsa_user_sgpr_dispatch_id 0
		.amdhsa_user_sgpr_private_segment_size 0
		.amdhsa_wavefront_size32 1
		.amdhsa_uses_dynamic_stack 0
		.amdhsa_enable_private_segment 0
		.amdhsa_system_sgpr_workgroup_id_x 1
		.amdhsa_system_sgpr_workgroup_id_y 0
		.amdhsa_system_sgpr_workgroup_id_z 0
		.amdhsa_system_sgpr_workgroup_info 0
		.amdhsa_system_vgpr_workitem_id 0
		.amdhsa_next_free_vgpr 64
		.amdhsa_next_free_sgpr 18
		.amdhsa_reserve_vcc 1
		.amdhsa_float_round_mode_32 0
		.amdhsa_float_round_mode_16_64 0
		.amdhsa_float_denorm_mode_32 3
		.amdhsa_float_denorm_mode_16_64 3
		.amdhsa_fp16_overflow 0
		.amdhsa_workgroup_processor_mode 1
		.amdhsa_memory_ordered 1
		.amdhsa_forward_progress 1
		.amdhsa_inst_pref_size 40
		.amdhsa_round_robin_scheduling 0
		.amdhsa_exception_fp_ieee_invalid_op 0
		.amdhsa_exception_fp_denorm_src 0
		.amdhsa_exception_fp_ieee_div_zero 0
		.amdhsa_exception_fp_ieee_overflow 0
		.amdhsa_exception_fp_ieee_underflow 0
		.amdhsa_exception_fp_ieee_inexact 0
		.amdhsa_exception_int_div_zero 0
	.end_amdhsa_kernel
	.section	.text._ZN9rocsparseL18bsrxmvn_4x4_kernelILj128ELj16EfllDF16_DF16_fEEvT3_20rocsparse_direction_NS_24const_host_device_scalarIT1_EES1_PKS1_PKT2_SA_S7_PKT4_PKT5_S5_PT6_21rocsparse_index_base_b,"axG",@progbits,_ZN9rocsparseL18bsrxmvn_4x4_kernelILj128ELj16EfllDF16_DF16_fEEvT3_20rocsparse_direction_NS_24const_host_device_scalarIT1_EES1_PKS1_PKT2_SA_S7_PKT4_PKT5_S5_PT6_21rocsparse_index_base_b,comdat
.Lfunc_end102:
	.size	_ZN9rocsparseL18bsrxmvn_4x4_kernelILj128ELj16EfllDF16_DF16_fEEvT3_20rocsparse_direction_NS_24const_host_device_scalarIT1_EES1_PKS1_PKT2_SA_S7_PKT4_PKT5_S5_PT6_21rocsparse_index_base_b, .Lfunc_end102-_ZN9rocsparseL18bsrxmvn_4x4_kernelILj128ELj16EfllDF16_DF16_fEEvT3_20rocsparse_direction_NS_24const_host_device_scalarIT1_EES1_PKS1_PKT2_SA_S7_PKT4_PKT5_S5_PT6_21rocsparse_index_base_b
                                        ; -- End function
	.set _ZN9rocsparseL18bsrxmvn_4x4_kernelILj128ELj16EfllDF16_DF16_fEEvT3_20rocsparse_direction_NS_24const_host_device_scalarIT1_EES1_PKS1_PKT2_SA_S7_PKT4_PKT5_S5_PT6_21rocsparse_index_base_b.num_vgpr, 64
	.set _ZN9rocsparseL18bsrxmvn_4x4_kernelILj128ELj16EfllDF16_DF16_fEEvT3_20rocsparse_direction_NS_24const_host_device_scalarIT1_EES1_PKS1_PKT2_SA_S7_PKT4_PKT5_S5_PT6_21rocsparse_index_base_b.num_agpr, 0
	.set _ZN9rocsparseL18bsrxmvn_4x4_kernelILj128ELj16EfllDF16_DF16_fEEvT3_20rocsparse_direction_NS_24const_host_device_scalarIT1_EES1_PKS1_PKT2_SA_S7_PKT4_PKT5_S5_PT6_21rocsparse_index_base_b.numbered_sgpr, 18
	.set _ZN9rocsparseL18bsrxmvn_4x4_kernelILj128ELj16EfllDF16_DF16_fEEvT3_20rocsparse_direction_NS_24const_host_device_scalarIT1_EES1_PKS1_PKT2_SA_S7_PKT4_PKT5_S5_PT6_21rocsparse_index_base_b.num_named_barrier, 0
	.set _ZN9rocsparseL18bsrxmvn_4x4_kernelILj128ELj16EfllDF16_DF16_fEEvT3_20rocsparse_direction_NS_24const_host_device_scalarIT1_EES1_PKS1_PKT2_SA_S7_PKT4_PKT5_S5_PT6_21rocsparse_index_base_b.private_seg_size, 0
	.set _ZN9rocsparseL18bsrxmvn_4x4_kernelILj128ELj16EfllDF16_DF16_fEEvT3_20rocsparse_direction_NS_24const_host_device_scalarIT1_EES1_PKS1_PKT2_SA_S7_PKT4_PKT5_S5_PT6_21rocsparse_index_base_b.uses_vcc, 1
	.set _ZN9rocsparseL18bsrxmvn_4x4_kernelILj128ELj16EfllDF16_DF16_fEEvT3_20rocsparse_direction_NS_24const_host_device_scalarIT1_EES1_PKS1_PKT2_SA_S7_PKT4_PKT5_S5_PT6_21rocsparse_index_base_b.uses_flat_scratch, 0
	.set _ZN9rocsparseL18bsrxmvn_4x4_kernelILj128ELj16EfllDF16_DF16_fEEvT3_20rocsparse_direction_NS_24const_host_device_scalarIT1_EES1_PKS1_PKT2_SA_S7_PKT4_PKT5_S5_PT6_21rocsparse_index_base_b.has_dyn_sized_stack, 0
	.set _ZN9rocsparseL18bsrxmvn_4x4_kernelILj128ELj16EfllDF16_DF16_fEEvT3_20rocsparse_direction_NS_24const_host_device_scalarIT1_EES1_PKS1_PKT2_SA_S7_PKT4_PKT5_S5_PT6_21rocsparse_index_base_b.has_recursion, 0
	.set _ZN9rocsparseL18bsrxmvn_4x4_kernelILj128ELj16EfllDF16_DF16_fEEvT3_20rocsparse_direction_NS_24const_host_device_scalarIT1_EES1_PKS1_PKT2_SA_S7_PKT4_PKT5_S5_PT6_21rocsparse_index_base_b.has_indirect_call, 0
	.section	.AMDGPU.csdata,"",@progbits
; Kernel info:
; codeLenInByte = 4996
; TotalNumSgprs: 20
; NumVgprs: 64
; ScratchSize: 0
; MemoryBound: 0
; FloatMode: 240
; IeeeMode: 1
; LDSByteSize: 0 bytes/workgroup (compile time only)
; SGPRBlocks: 0
; VGPRBlocks: 7
; NumSGPRsForWavesPerEU: 20
; NumVGPRsForWavesPerEU: 64
; Occupancy: 16
; WaveLimiterHint : 1
; COMPUTE_PGM_RSRC2:SCRATCH_EN: 0
; COMPUTE_PGM_RSRC2:USER_SGPR: 2
; COMPUTE_PGM_RSRC2:TRAP_HANDLER: 0
; COMPUTE_PGM_RSRC2:TGID_X_EN: 1
; COMPUTE_PGM_RSRC2:TGID_Y_EN: 0
; COMPUTE_PGM_RSRC2:TGID_Z_EN: 0
; COMPUTE_PGM_RSRC2:TIDIG_COMP_CNT: 0
	.section	.text._ZN9rocsparseL18bsrxmvn_4x4_kernelILj128ELj32EfllDF16_DF16_fEEvT3_20rocsparse_direction_NS_24const_host_device_scalarIT1_EES1_PKS1_PKT2_SA_S7_PKT4_PKT5_S5_PT6_21rocsparse_index_base_b,"axG",@progbits,_ZN9rocsparseL18bsrxmvn_4x4_kernelILj128ELj32EfllDF16_DF16_fEEvT3_20rocsparse_direction_NS_24const_host_device_scalarIT1_EES1_PKS1_PKT2_SA_S7_PKT4_PKT5_S5_PT6_21rocsparse_index_base_b,comdat
	.globl	_ZN9rocsparseL18bsrxmvn_4x4_kernelILj128ELj32EfllDF16_DF16_fEEvT3_20rocsparse_direction_NS_24const_host_device_scalarIT1_EES1_PKS1_PKT2_SA_S7_PKT4_PKT5_S5_PT6_21rocsparse_index_base_b ; -- Begin function _ZN9rocsparseL18bsrxmvn_4x4_kernelILj128ELj32EfllDF16_DF16_fEEvT3_20rocsparse_direction_NS_24const_host_device_scalarIT1_EES1_PKS1_PKT2_SA_S7_PKT4_PKT5_S5_PT6_21rocsparse_index_base_b
	.p2align	8
	.type	_ZN9rocsparseL18bsrxmvn_4x4_kernelILj128ELj32EfllDF16_DF16_fEEvT3_20rocsparse_direction_NS_24const_host_device_scalarIT1_EES1_PKS1_PKT2_SA_S7_PKT4_PKT5_S5_PT6_21rocsparse_index_base_b,@function
_ZN9rocsparseL18bsrxmvn_4x4_kernelILj128ELj32EfllDF16_DF16_fEEvT3_20rocsparse_direction_NS_24const_host_device_scalarIT1_EES1_PKS1_PKT2_SA_S7_PKT4_PKT5_S5_PT6_21rocsparse_index_base_b: ; @_ZN9rocsparseL18bsrxmvn_4x4_kernelILj128ELj32EfllDF16_DF16_fEEvT3_20rocsparse_direction_NS_24const_host_device_scalarIT1_EES1_PKS1_PKT2_SA_S7_PKT4_PKT5_S5_PT6_21rocsparse_index_base_b
; %bb.0:
	s_clause 0x2
	s_load_b64 s[2:3], s[0:1], 0x60
	s_load_b128 s[12:15], s[0:1], 0x10
	s_load_b64 s[16:17], s[0:1], 0x50
	s_wait_kmcnt 0x0
	s_bitcmp1_b32 s3, 0
	s_cselect_b32 s3, -1, 0
	s_delay_alu instid0(SALU_CYCLE_1)
	s_and_b32 vcc_lo, exec_lo, s3
	s_xor_b32 s3, s3, -1
	s_cbranch_vccnz .LBB103_2
; %bb.1:
	s_load_b32 s12, s[12:13], 0x0
.LBB103_2:
	s_and_not1_b32 vcc_lo, exec_lo, s3
	s_cbranch_vccnz .LBB103_4
; %bb.3:
	s_load_b32 s16, s[16:17], 0x0
.LBB103_4:
	s_wait_kmcnt 0x0
	s_cmp_neq_f32 s12, 0
	s_mov_b32 s6, 0
	s_cselect_b32 s3, -1, 0
	s_cmp_neq_f32 s16, 1.0
	s_cselect_b32 s4, -1, 0
	s_delay_alu instid0(SALU_CYCLE_1) | instskip(NEXT) | instid1(SALU_CYCLE_1)
	s_or_b32 s3, s3, s4
	s_and_not1_b32 vcc_lo, exec_lo, s3
	s_cbranch_vccnz .LBB103_10
; %bb.5:
	s_load_b64 s[4:5], s[0:1], 0x20
	v_lshrrev_b32_e32 v1, 5, v0
	v_mov_b32_e32 v6, 0
	s_delay_alu instid0(VALU_DEP_2)
	v_lshl_or_b32 v5, ttmp9, 2, v1
	s_wait_kmcnt 0x0
	s_cmp_lg_u64 s[4:5], 0
	s_cbranch_scc0 .LBB103_11
; %bb.6:
	s_mov_b32 s7, 0
                                        ; implicit-def: $vgpr3_vgpr4
                                        ; implicit-def: $vgpr1_vgpr2
	s_mov_b32 s3, exec_lo
	v_cmpx_gt_i64_e64 s[14:15], v[5:6]
	s_xor_b32 s8, exec_lo, s3
	s_cbranch_execz .LBB103_8
; %bb.7:
	v_lshlrev_b64_e32 v[1:2], 3, v[5:6]
	s_mov_b32 s3, 0
	s_mov_b32 s6, exec_lo
	s_delay_alu instid0(VALU_DEP_1) | instskip(NEXT) | instid1(VALU_DEP_1)
	v_add_co_u32 v1, vcc_lo, s4, v1
	v_add_co_ci_u32_e64 v2, null, s5, v2, vcc_lo
	global_load_b64 v[1:2], v[1:2], off
	s_wait_loadcnt 0x0
	v_sub_co_u32 v3, vcc_lo, v1, s2
	s_wait_alu 0xfffd
	v_subrev_co_ci_u32_e64 v4, null, 0, v2, vcc_lo
	v_dual_mov_b32 v1, s2 :: v_dual_mov_b32 v2, s3
.LBB103_8:
	s_or_b32 exec_lo, exec_lo, s8
	s_delay_alu instid0(SALU_CYCLE_1)
	s_and_b32 vcc_lo, exec_lo, s7
	s_wait_alu 0xfffe
	s_cbranch_vccnz .LBB103_12
.LBB103_9:
	s_and_saveexec_b32 s2, s6
	s_cbranch_execnz .LBB103_15
.LBB103_10:
	s_endpgm
.LBB103_11:
                                        ; implicit-def: $vgpr3_vgpr4
                                        ; implicit-def: $vgpr1_vgpr2
	s_cbranch_execz .LBB103_9
.LBB103_12:
	s_load_b64 s[4:5], s[0:1], 0x0
	s_wait_kmcnt 0x0
	v_cmp_gt_i64_e32 vcc_lo, s[4:5], v[5:6]
	s_and_saveexec_b32 s4, vcc_lo
; %bb.13:
	s_mov_b32 s3, 0
	s_or_b32 s6, s6, exec_lo
; %bb.14:
	s_wait_alu 0xfffe
	s_or_b32 exec_lo, exec_lo, s4
	v_dual_mov_b32 v1, s2 :: v_dual_mov_b32 v2, s3
	v_dual_mov_b32 v3, v5 :: v_dual_mov_b32 v4, v6
	s_and_saveexec_b32 s2, s6
	s_cbranch_execz .LBB103_10
.LBB103_15:
	s_load_b256 s[4:11], s[0:1], 0x28
	s_delay_alu instid0(VALU_DEP_1) | instskip(SKIP_3) | instid1(VALU_DEP_2)
	v_lshlrev_b64_e32 v[5:6], 3, v[3:4]
	v_dual_mov_b32 v25, 0 :: v_dual_and_b32 v0, 31, v0
	s_load_b32 s3, s[0:1], 0x8
	s_wait_kmcnt 0x0
	v_add_co_u32 v7, vcc_lo, s4, v5
	s_wait_alu 0xfffd
	v_add_co_ci_u32_e64 v8, null, s5, v6, vcc_lo
	v_add_co_u32 v5, vcc_lo, s6, v5
	s_wait_alu 0xfffd
	v_add_co_ci_u32_e64 v6, null, s7, v6, vcc_lo
	v_add_co_u32 v9, vcc_lo, v7, 8
	global_load_b64 v[13:14], v[7:8], off
	s_wait_alu 0xfffd
	v_add_co_ci_u32_e64 v10, null, 0, v8, vcc_lo
	s_cmp_eq_u64 s[6:7], 0
	s_load_b64 s[4:5], s[0:1], 0x48
	s_cselect_b32 vcc_lo, -1, 0
	s_cmp_eq_u32 s3, 1
	s_wait_alu 0xfffe
	v_dual_cndmask_b32 v6, v6, v10 :: v_dual_cndmask_b32 v5, v5, v9
	global_load_b64 v[7:8], v[5:6], off
	s_wait_loadcnt 0x1
	v_sub_co_u32 v5, vcc_lo, v13, v1
	s_wait_alu 0xfffd
	v_sub_co_ci_u32_e64 v6, null, v14, v2, vcc_lo
	s_delay_alu instid0(VALU_DEP_2) | instskip(SKIP_1) | instid1(VALU_DEP_2)
	v_add_co_u32 v5, vcc_lo, v5, v0
	s_wait_alu 0xfffd
	v_add_co_ci_u32_e64 v6, null, 0, v6, vcc_lo
	s_delay_alu instid0(VALU_DEP_1) | instskip(SKIP_4) | instid1(VALU_DEP_3)
	v_lshlrev_b64_e32 v[9:10], 5, v[5:6]
	s_wait_loadcnt 0x0
	v_sub_co_u32 v7, vcc_lo, v7, v1
	s_wait_alu 0xfffd
	v_sub_co_ci_u32_e64 v8, null, v8, v2, vcc_lo
	v_add_co_u32 v9, vcc_lo, s10, v9
	s_delay_alu instid0(VALU_DEP_2)
	v_cmp_lt_i64_e64 s2, v[5:6], v[7:8]
	s_wait_alu 0xfffd
	v_add_co_ci_u32_e64 v10, null, s11, v10, vcc_lo
	s_cbranch_scc1 .LBB103_27
; %bb.16:
	v_dual_mov_b32 v26, 0 :: v_dual_mov_b32 v27, 0
	v_mov_b32_e32 v12, 0
	s_and_saveexec_b32 s6, s2
	s_cbranch_execz .LBB103_26
; %bb.17:
	v_or_b32_e32 v11, 32, v0
	v_not_b32_e32 v16, v13
	v_sub_co_u32 v17, s3, v1, v0
	v_not_b32_e32 v15, v14
	s_delay_alu instid0(VALU_DEP_4)
	v_sub_co_u32 v11, vcc_lo, v11, v1
	s_wait_alu 0xfffd
	v_sub_co_ci_u32_e64 v12, null, 0, v2, vcc_lo
	s_wait_alu 0xf1ff
	v_subrev_co_ci_u32_e64 v18, null, 0, v2, s3
	v_add_co_u32 v11, vcc_lo, v11, v13
	s_wait_alu 0xfffd
	v_add_co_ci_u32_e64 v12, null, v12, v14, vcc_lo
	s_mov_b32 s3, exec_lo
	v_cmp_gt_i64_e32 vcc_lo, v[11:12], v[7:8]
	s_wait_alu 0xfffd
	v_dual_cndmask_b32 v20, v8, v12 :: v_dual_cndmask_b32 v11, v7, v11
	v_add_co_u32 v12, vcc_lo, v17, v16
	s_wait_alu 0xfffd
	v_add_co_ci_u32_e64 v15, null, v18, v15, vcc_lo
	v_mov_b32_e32 v18, v10
	s_delay_alu instid0(VALU_DEP_3) | instskip(SKIP_3) | instid1(VALU_DEP_3)
	v_add_co_u32 v19, vcc_lo, v12, v11
	v_mov_b32_e32 v12, 0
	s_wait_alu 0xfffd
	v_add_co_ci_u32_e64 v20, null, v15, v20, vcc_lo
	v_dual_mov_b32 v16, v6 :: v_dual_and_b32 v11, 0x60, v19
	s_delay_alu instid0(VALU_DEP_3)
	v_mov_b32_e32 v25, v12
	v_mov_b32_e32 v15, v5
	v_dual_mov_b32 v27, v12 :: v_dual_mov_b32 v26, v12
	v_mov_b32_e32 v17, v9
	v_cmpx_ne_u64_e32 0x60, v[11:12]
	s_cbranch_execz .LBB103_21
; %bb.18:
	v_lshrrev_b32_e32 v11, 5, v19
	v_dual_mov_b32 v25, 0 :: v_dual_mov_b32 v18, v10
	v_dual_mov_b32 v17, v9 :: v_dual_mov_b32 v26, 0
	s_delay_alu instid0(VALU_DEP_3) | instskip(SKIP_3) | instid1(VALU_DEP_4)
	v_dual_mov_b32 v16, v6 :: v_dual_add_nc_u32 v21, 1, v11
	v_lshlrev_b64_e32 v[11:12], 3, v[5:6]
	v_mov_b32_e32 v15, v5
	v_mov_b32_e32 v27, 0
	v_and_b32_e32 v23, 3, v21
	s_delay_alu instid0(VALU_DEP_4) | instskip(NEXT) | instid1(VALU_DEP_2)
	v_add_co_u32 v21, vcc_lo, s8, v11
	v_sub_co_u32 v23, s7, 0, v23
	s_wait_alu 0xfffd
	v_add_co_ci_u32_e64 v22, null, s9, v12, vcc_lo
	s_wait_alu 0xf1ff
	v_sub_co_ci_u32_e64 v24, null, 0, 0, s7
	v_mov_b32_e32 v12, 0
	s_mov_b32 s7, 0
.LBB103_19:                             ; =>This Inner Loop Header: Depth=1
	global_load_b64 v[36:37], v[21:22], off
	s_clause 0x1
	global_load_b128 v[28:31], v[17:18], off
	global_load_b128 v[32:35], v[17:18], off offset:16
	s_wait_loadcnt 0x2
	v_sub_co_u32 v36, vcc_lo, v36, v1
	s_wait_alu 0xfffd
	v_sub_co_ci_u32_e64 v37, null, v37, v2, vcc_lo
	s_delay_alu instid0(VALU_DEP_1) | instskip(SKIP_1) | instid1(VALU_DEP_1)
	v_lshlrev_b64_e32 v[36:37], 3, v[36:37]
	s_wait_kmcnt 0x0
	v_add_co_u32 v36, vcc_lo, s4, v36
	s_wait_alu 0xfffd
	s_delay_alu instid0(VALU_DEP_2)
	v_add_co_ci_u32_e64 v37, null, s5, v37, vcc_lo
	v_add_co_u32 v17, vcc_lo, 0x400, v17
	s_wait_alu 0xfffd
	v_add_co_ci_u32_e64 v18, null, 0, v18, vcc_lo
	global_load_b64 v[36:37], v[36:37], off
	v_add_co_u32 v15, vcc_lo, v15, 32
	s_wait_alu 0xfffd
	v_add_co_ci_u32_e64 v16, null, 0, v16, vcc_lo
	v_add_co_u32 v21, vcc_lo, 0x100, v21
	s_wait_alu 0xfffd
	v_add_co_ci_u32_e64 v22, null, 0, v22, vcc_lo
	;; [unrolled: 3-line block ×3, first 2 shown]
	s_delay_alu instid0(VALU_DEP_1)
	v_cmp_eq_u64_e32 vcc_lo, 0, v[23:24]
	s_wait_alu 0xfffe
	s_or_b32 s7, vcc_lo, s7
	s_wait_loadcnt 0x0
	v_fma_mix_f32 v11, v28, v36, v12 op_sel_hi:[1,1,0]
	v_fma_mix_f32 v12, v30, v36, v27 op_sel_hi:[1,1,0]
	;; [unrolled: 1-line block ×4, first 2 shown]
	s_delay_alu instid0(VALU_DEP_4) | instskip(NEXT) | instid1(VALU_DEP_4)
	v_fma_mix_f32 v11, v28, v36, v11 op_sel:[1,1,0] op_sel_hi:[1,1,0]
	v_fma_mix_f32 v12, v30, v36, v12 op_sel:[1,1,0] op_sel_hi:[1,1,0]
	s_delay_alu instid0(VALU_DEP_4) | instskip(NEXT) | instid1(VALU_DEP_4)
	v_fma_mix_f32 v26, v32, v36, v26 op_sel:[1,1,0] op_sel_hi:[1,1,0]
	v_fma_mix_f32 v25, v34, v36, v25 op_sel:[1,1,0] op_sel_hi:[1,1,0]
	s_delay_alu instid0(VALU_DEP_4) | instskip(NEXT) | instid1(VALU_DEP_4)
	v_fma_mix_f32 v11, v29, v37, v11 op_sel_hi:[1,1,0]
	v_fma_mix_f32 v27, v31, v37, v12 op_sel_hi:[1,1,0]
	s_delay_alu instid0(VALU_DEP_4) | instskip(NEXT) | instid1(VALU_DEP_4)
	v_fma_mix_f32 v26, v33, v37, v26 op_sel_hi:[1,1,0]
	v_fma_mix_f32 v25, v35, v37, v25 op_sel_hi:[1,1,0]
	s_delay_alu instid0(VALU_DEP_4) | instskip(NEXT) | instid1(VALU_DEP_4)
	v_fma_mix_f32 v12, v29, v37, v11 op_sel:[1,1,0] op_sel_hi:[1,1,0]
	v_fma_mix_f32 v27, v31, v37, v27 op_sel:[1,1,0] op_sel_hi:[1,1,0]
	s_delay_alu instid0(VALU_DEP_4) | instskip(NEXT) | instid1(VALU_DEP_4)
	v_fma_mix_f32 v26, v33, v37, v26 op_sel:[1,1,0] op_sel_hi:[1,1,0]
	v_fma_mix_f32 v25, v35, v37, v25 op_sel:[1,1,0] op_sel_hi:[1,1,0]
	s_wait_alu 0xfffe
	s_and_not1_b32 exec_lo, exec_lo, s7
	s_cbranch_execnz .LBB103_19
; %bb.20:
	s_or_b32 exec_lo, exec_lo, s7
.LBB103_21:
	s_wait_alu 0xfffe
	s_or_b32 exec_lo, exec_lo, s3
	s_delay_alu instid0(SALU_CYCLE_1)
	s_mov_b32 s7, exec_lo
	v_cmpx_lt_u64_e32 0x5f, v[19:20]
	s_cbranch_execz .LBB103_25
; %bb.22:
	v_lshlrev_b64_e32 v[19:20], 3, v[15:16]
	s_mov_b32 s10, 0
	s_delay_alu instid0(VALU_DEP_1) | instskip(SKIP_1) | instid1(VALU_DEP_2)
	v_add_co_u32 v11, vcc_lo, s8, v19
	s_wait_alu 0xfffd
	v_add_co_ci_u32_e64 v20, null, s9, v20, vcc_lo
	s_delay_alu instid0(VALU_DEP_2) | instskip(SKIP_1) | instid1(VALU_DEP_2)
	v_add_co_u32 v19, vcc_lo, 0x200, v11
	s_wait_alu 0xfffd
	v_add_co_ci_u32_e64 v20, null, 0, v20, vcc_lo
.LBB103_23:                             ; =>This Inner Loop Header: Depth=1
	s_clause 0x3
	global_load_b64 v[56:57], v[19:20], off offset:-512
	global_load_b64 v[58:59], v[19:20], off offset:-256
	global_load_b64 v[60:61], v[19:20], off
	global_load_b64 v[62:63], v[19:20], off offset:256
	s_clause 0x7
	global_load_b128 v[21:24], v[17:18], off
	global_load_b128 v[28:31], v[17:18], off offset:16
	global_load_b128 v[32:35], v[17:18], off offset:1024
	;; [unrolled: 1-line block ×7, first 2 shown]
	s_wait_loadcnt 0xb
	v_sub_co_u32 v56, vcc_lo, v56, v1
	s_wait_alu 0xfffd
	v_sub_co_ci_u32_e64 v57, null, v57, v2, vcc_lo
	s_wait_loadcnt 0xa
	v_sub_co_u32 v58, vcc_lo, v58, v1
	s_wait_alu 0xfffd
	v_sub_co_ci_u32_e64 v59, null, v59, v2, vcc_lo
	v_lshlrev_b64_e32 v[56:57], 3, v[56:57]
	s_wait_loadcnt 0x9
	v_sub_co_u32 v60, vcc_lo, v60, v1
	s_delay_alu instid0(VALU_DEP_3)
	v_lshlrev_b64_e32 v[58:59], 3, v[58:59]
	s_wait_alu 0xfffd
	v_sub_co_ci_u32_e64 v61, null, v61, v2, vcc_lo
	s_wait_kmcnt 0x0
	v_add_co_u32 v56, s3, s4, v56
	s_wait_alu 0xf1ff
	v_add_co_ci_u32_e64 v57, null, s5, v57, s3
	v_add_co_u32 v58, vcc_lo, s4, v58
	s_wait_alu 0xfffd
	v_add_co_ci_u32_e64 v59, null, s5, v59, vcc_lo
	global_load_b64 v[56:57], v[56:57], off
	v_lshlrev_b64_e32 v[60:61], 3, v[60:61]
	s_wait_loadcnt 0x9
	v_sub_co_u32 v62, vcc_lo, v62, v1
	global_load_b64 v[58:59], v[58:59], off
	s_wait_alu 0xfffd
	v_sub_co_ci_u32_e64 v63, null, v63, v2, vcc_lo
	v_add_co_u32 v60, s3, s4, v60
	s_wait_alu 0xf1ff
	v_add_co_ci_u32_e64 v61, null, s5, v61, s3
	s_delay_alu instid0(VALU_DEP_3)
	v_lshlrev_b64_e32 v[62:63], 3, v[62:63]
	global_load_b64 v[60:61], v[60:61], off
	v_add_co_u32 v62, vcc_lo, s4, v62
	s_wait_alu 0xfffd
	v_add_co_ci_u32_e64 v63, null, s5, v63, vcc_lo
	v_add_co_u32 v17, vcc_lo, 0x1000, v17
	s_wait_alu 0xfffd
	v_add_co_ci_u32_e64 v18, null, 0, v18, vcc_lo
	global_load_b64 v[62:63], v[62:63], off
	v_add_co_u32 v15, vcc_lo, 0x80, v15
	s_wait_alu 0xfffd
	v_add_co_ci_u32_e64 v16, null, 0, v16, vcc_lo
	v_add_co_u32 v19, vcc_lo, 0x400, v19
	s_wait_alu 0xfffd
	v_add_co_ci_u32_e64 v20, null, 0, v20, vcc_lo
	s_delay_alu instid0(VALU_DEP_3)
	v_cmp_ge_i64_e32 vcc_lo, v[15:16], v[7:8]
	s_wait_alu 0xfffe
	s_or_b32 s10, vcc_lo, s10
	s_wait_loadcnt 0x3
	v_fma_mix_f32 v11, v21, v56, v12 op_sel_hi:[1,1,0]
	v_fma_mix_f32 v12, v23, v56, v27 op_sel_hi:[1,1,0]
	v_fma_mix_f32 v26, v28, v56, v26 op_sel_hi:[1,1,0]
	v_fma_mix_f32 v25, v30, v56, v25 op_sel_hi:[1,1,0]
	s_delay_alu instid0(VALU_DEP_4) | instskip(NEXT) | instid1(VALU_DEP_4)
	v_fma_mix_f32 v11, v21, v56, v11 op_sel:[1,1,0] op_sel_hi:[1,1,0]
	v_fma_mix_f32 v12, v23, v56, v12 op_sel:[1,1,0] op_sel_hi:[1,1,0]
	s_delay_alu instid0(VALU_DEP_4) | instskip(NEXT) | instid1(VALU_DEP_4)
	v_fma_mix_f32 v21, v28, v56, v26 op_sel:[1,1,0] op_sel_hi:[1,1,0]
	v_fma_mix_f32 v23, v30, v56, v25 op_sel:[1,1,0] op_sel_hi:[1,1,0]
	s_delay_alu instid0(VALU_DEP_4) | instskip(NEXT) | instid1(VALU_DEP_4)
	v_fma_mix_f32 v11, v22, v57, v11 op_sel_hi:[1,1,0]
	v_fma_mix_f32 v12, v24, v57, v12 op_sel_hi:[1,1,0]
	s_delay_alu instid0(VALU_DEP_4) | instskip(NEXT) | instid1(VALU_DEP_4)
	v_fma_mix_f32 v21, v29, v57, v21 op_sel_hi:[1,1,0]
	v_fma_mix_f32 v23, v31, v57, v23 op_sel_hi:[1,1,0]
	s_delay_alu instid0(VALU_DEP_4) | instskip(NEXT) | instid1(VALU_DEP_4)
	v_fma_mix_f32 v11, v22, v57, v11 op_sel:[1,1,0] op_sel_hi:[1,1,0]
	v_fma_mix_f32 v12, v24, v57, v12 op_sel:[1,1,0] op_sel_hi:[1,1,0]
	s_delay_alu instid0(VALU_DEP_4) | instskip(NEXT) | instid1(VALU_DEP_4)
	v_fma_mix_f32 v21, v29, v57, v21 op_sel:[1,1,0] op_sel_hi:[1,1,0]
	v_fma_mix_f32 v22, v31, v57, v23 op_sel:[1,1,0] op_sel_hi:[1,1,0]
	s_wait_loadcnt 0x2
	v_fma_mix_f32 v11, v32, v58, v11 op_sel_hi:[1,1,0]
	v_fma_mix_f32 v12, v34, v58, v12 op_sel_hi:[1,1,0]
	v_fma_mix_f32 v21, v36, v58, v21 op_sel_hi:[1,1,0]
	v_fma_mix_f32 v22, v38, v58, v22 op_sel_hi:[1,1,0]
	s_delay_alu instid0(VALU_DEP_4) | instskip(NEXT) | instid1(VALU_DEP_4)
	v_fma_mix_f32 v11, v32, v58, v11 op_sel:[1,1,0] op_sel_hi:[1,1,0]
	v_fma_mix_f32 v12, v34, v58, v12 op_sel:[1,1,0] op_sel_hi:[1,1,0]
	s_delay_alu instid0(VALU_DEP_4) | instskip(NEXT) | instid1(VALU_DEP_4)
	v_fma_mix_f32 v21, v36, v58, v21 op_sel:[1,1,0] op_sel_hi:[1,1,0]
	v_fma_mix_f32 v22, v38, v58, v22 op_sel:[1,1,0] op_sel_hi:[1,1,0]
	s_delay_alu instid0(VALU_DEP_4) | instskip(NEXT) | instid1(VALU_DEP_4)
	v_fma_mix_f32 v11, v33, v59, v11 op_sel_hi:[1,1,0]
	v_fma_mix_f32 v12, v35, v59, v12 op_sel_hi:[1,1,0]
	s_delay_alu instid0(VALU_DEP_4) | instskip(NEXT) | instid1(VALU_DEP_4)
	v_fma_mix_f32 v21, v37, v59, v21 op_sel_hi:[1,1,0]
	v_fma_mix_f32 v22, v39, v59, v22 op_sel_hi:[1,1,0]
	s_delay_alu instid0(VALU_DEP_4) | instskip(NEXT) | instid1(VALU_DEP_4)
	v_fma_mix_f32 v11, v33, v59, v11 op_sel:[1,1,0] op_sel_hi:[1,1,0]
	v_fma_mix_f32 v12, v35, v59, v12 op_sel:[1,1,0] op_sel_hi:[1,1,0]
	s_delay_alu instid0(VALU_DEP_4) | instskip(NEXT) | instid1(VALU_DEP_4)
	v_fma_mix_f32 v21, v37, v59, v21 op_sel:[1,1,0] op_sel_hi:[1,1,0]
	v_fma_mix_f32 v22, v39, v59, v22 op_sel:[1,1,0] op_sel_hi:[1,1,0]
	;; [unrolled: 23-line block ×4, first 2 shown]
	s_wait_alu 0xfffe
	s_and_not1_b32 exec_lo, exec_lo, s10
	s_cbranch_execnz .LBB103_23
; %bb.24:
	s_or_b32 exec_lo, exec_lo, s10
.LBB103_25:
	s_wait_alu 0xfffe
	s_or_b32 exec_lo, exec_lo, s7
.LBB103_26:
	s_wait_alu 0xfffe
	s_or_b32 exec_lo, exec_lo, s6
	s_cbranch_execz .LBB103_28
	s_branch .LBB103_39
.LBB103_27:
                                        ; implicit-def: $vgpr25
                                        ; implicit-def: $vgpr26
                                        ; implicit-def: $vgpr27
                                        ; implicit-def: $vgpr12
.LBB103_28:
	v_dual_mov_b32 v25, 0 :: v_dual_mov_b32 v26, 0
	v_dual_mov_b32 v27, 0 :: v_dual_mov_b32 v12, 0
	s_and_saveexec_b32 s3, s2
	s_cbranch_execz .LBB103_38
; %bb.29:
	v_or_b32_e32 v11, 32, v0
	v_sub_co_u32 v15, s2, v1, v0
	s_wait_alu 0xf1ff
	v_subrev_co_ci_u32_e64 v16, null, 0, v2, s2
	s_delay_alu instid0(VALU_DEP_3)
	v_sub_co_u32 v11, vcc_lo, v11, v1
	s_wait_alu 0xfffd
	v_sub_co_ci_u32_e64 v12, null, 0, v2, vcc_lo
	s_mov_b32 s2, exec_lo
	v_add_co_u32 v11, vcc_lo, v11, v13
	s_wait_alu 0xfffd
	v_add_co_ci_u32_e64 v12, null, v12, v14, vcc_lo
	v_not_b32_e32 v13, v13
	v_not_b32_e32 v14, v14
	s_delay_alu instid0(VALU_DEP_3)
	v_cmp_gt_i64_e32 vcc_lo, v[11:12], v[7:8]
	s_wait_alu 0xfffd
	v_cndmask_b32_e32 v17, v8, v12, vcc_lo
	v_cndmask_b32_e32 v11, v7, v11, vcc_lo
	v_add_co_u32 v12, vcc_lo, v15, v13
	s_wait_alu 0xfffd
	v_add_co_ci_u32_e64 v14, null, v16, v14, vcc_lo
	s_delay_alu instid0(VALU_DEP_2) | instskip(SKIP_2) | instid1(VALU_DEP_3)
	v_add_co_u32 v13, vcc_lo, v12, v11
	v_mov_b32_e32 v12, 0
	s_wait_alu 0xfffd
	v_add_co_ci_u32_e64 v14, null, v14, v17, vcc_lo
	s_delay_alu instid0(VALU_DEP_3) | instskip(NEXT) | instid1(VALU_DEP_3)
	v_and_b32_e32 v11, 0x60, v13
	v_dual_mov_b32 v27, v12 :: v_dual_mov_b32 v26, v12
	v_mov_b32_e32 v25, v12
	s_delay_alu instid0(VALU_DEP_3)
	v_cmpx_ne_u64_e32 0x60, v[11:12]
	s_cbranch_execz .LBB103_33
; %bb.30:
	v_lshrrev_b32_e32 v11, 5, v13
	v_mov_b32_e32 v25, 0
	v_dual_mov_b32 v27, 0 :: v_dual_mov_b32 v26, 0
	s_delay_alu instid0(VALU_DEP_3) | instskip(SKIP_1) | instid1(VALU_DEP_2)
	v_add_nc_u32_e32 v15, 1, v11
	v_lshlrev_b64_e32 v[11:12], 3, v[5:6]
	v_and_b32_e32 v17, 3, v15
	s_delay_alu instid0(VALU_DEP_2) | instskip(SKIP_1) | instid1(VALU_DEP_3)
	v_add_co_u32 v15, vcc_lo, s8, v11
	s_wait_alu 0xfffd
	v_add_co_ci_u32_e64 v16, null, s9, v12, vcc_lo
	s_delay_alu instid0(VALU_DEP_3)
	v_sub_co_u32 v17, s6, 0, v17
	s_wait_alu 0xf1ff
	v_sub_co_ci_u32_e64 v18, null, 0, 0, s6
	v_mov_b32_e32 v12, 0
	s_mov_b32 s6, 0
.LBB103_31:                             ; =>This Inner Loop Header: Depth=1
	global_load_b64 v[23:24], v[15:16], off
	global_load_b128 v[19:22], v[9:10], off
	s_wait_loadcnt 0x1
	v_sub_co_u32 v23, vcc_lo, v23, v1
	s_wait_alu 0xfffd
	v_sub_co_ci_u32_e64 v24, null, v24, v2, vcc_lo
	s_delay_alu instid0(VALU_DEP_1) | instskip(SKIP_1) | instid1(VALU_DEP_1)
	v_lshlrev_b64_e32 v[23:24], 3, v[23:24]
	s_wait_kmcnt 0x0
	v_add_co_u32 v23, vcc_lo, s4, v23
	s_wait_alu 0xfffd
	s_delay_alu instid0(VALU_DEP_2)
	v_add_co_ci_u32_e64 v24, null, s5, v24, vcc_lo
	global_load_b64 v[23:24], v[23:24], off
	global_load_b128 v[28:31], v[9:10], off offset:16
	v_add_co_u32 v9, vcc_lo, 0x400, v9
	s_wait_alu 0xfffd
	v_add_co_ci_u32_e64 v10, null, 0, v10, vcc_lo
	v_add_co_u32 v5, vcc_lo, v5, 32
	s_wait_alu 0xfffd
	v_add_co_ci_u32_e64 v6, null, 0, v6, vcc_lo
	v_add_co_u32 v15, vcc_lo, 0x100, v15
	s_wait_alu 0xfffd
	v_add_co_ci_u32_e64 v16, null, 0, v16, vcc_lo
	v_add_co_u32 v17, vcc_lo, v17, 1
	s_wait_alu 0xfffd
	v_add_co_ci_u32_e64 v18, null, 0, v18, vcc_lo
	s_delay_alu instid0(VALU_DEP_1)
	v_cmp_eq_u64_e32 vcc_lo, 0, v[17:18]
	s_wait_alu 0xfffe
	s_or_b32 s6, vcc_lo, s6
	s_wait_loadcnt 0x1
	v_fma_mix_f32 v11, v19, v23, v12 op_sel_hi:[1,1,0]
	v_fma_mix_f32 v12, v19, v23, v27 op_sel:[1,0,0] op_sel_hi:[1,1,0]
	v_fma_mix_f32 v19, v20, v23, v26 op_sel_hi:[1,1,0]
	v_fma_mix_f32 v20, v20, v23, v25 op_sel:[1,0,0] op_sel_hi:[1,1,0]
	s_delay_alu instid0(VALU_DEP_4) | instskip(NEXT) | instid1(VALU_DEP_4)
	v_fma_mix_f32 v11, v21, v23, v11 op_sel:[0,1,0] op_sel_hi:[1,1,0]
	v_fma_mix_f32 v12, v21, v23, v12 op_sel:[1,1,0] op_sel_hi:[1,1,0]
	s_delay_alu instid0(VALU_DEP_4) | instskip(NEXT) | instid1(VALU_DEP_4)
	v_fma_mix_f32 v19, v22, v23, v19 op_sel:[0,1,0] op_sel_hi:[1,1,0]
	v_fma_mix_f32 v20, v22, v23, v20 op_sel:[1,1,0] op_sel_hi:[1,1,0]
	s_wait_loadcnt 0x0
	v_fma_mix_f32 v11, v28, v24, v11 op_sel_hi:[1,1,0]
	v_fma_mix_f32 v21, v28, v24, v12 op_sel:[1,0,0] op_sel_hi:[1,1,0]
	v_fma_mix_f32 v19, v29, v24, v19 op_sel_hi:[1,1,0]
	v_fma_mix_f32 v20, v29, v24, v20 op_sel:[1,0,0] op_sel_hi:[1,1,0]
	s_delay_alu instid0(VALU_DEP_4) | instskip(NEXT) | instid1(VALU_DEP_4)
	v_fma_mix_f32 v12, v30, v24, v11 op_sel:[0,1,0] op_sel_hi:[1,1,0]
	v_fma_mix_f32 v27, v30, v24, v21 op_sel:[1,1,0] op_sel_hi:[1,1,0]
	s_delay_alu instid0(VALU_DEP_4) | instskip(NEXT) | instid1(VALU_DEP_4)
	v_fma_mix_f32 v26, v31, v24, v19 op_sel:[0,1,0] op_sel_hi:[1,1,0]
	v_fma_mix_f32 v25, v31, v24, v20 op_sel:[1,1,0] op_sel_hi:[1,1,0]
	s_wait_alu 0xfffe
	s_and_not1_b32 exec_lo, exec_lo, s6
	s_cbranch_execnz .LBB103_31
; %bb.32:
	s_or_b32 exec_lo, exec_lo, s6
.LBB103_33:
	s_wait_alu 0xfffe
	s_or_b32 exec_lo, exec_lo, s2
	s_delay_alu instid0(SALU_CYCLE_1)
	s_mov_b32 s6, exec_lo
	v_cmpx_lt_u64_e32 0x5f, v[13:14]
	s_cbranch_execz .LBB103_37
; %bb.34:
	v_lshlrev_b64_e32 v[13:14], 3, v[5:6]
	s_mov_b32 s7, 0
	s_delay_alu instid0(VALU_DEP_1) | instskip(SKIP_1) | instid1(VALU_DEP_2)
	v_add_co_u32 v11, vcc_lo, s8, v13
	s_wait_alu 0xfffd
	v_add_co_ci_u32_e64 v14, null, s9, v14, vcc_lo
	s_delay_alu instid0(VALU_DEP_2) | instskip(SKIP_1) | instid1(VALU_DEP_2)
	v_add_co_u32 v13, vcc_lo, 0x200, v11
	s_wait_alu 0xfffd
	v_add_co_ci_u32_e64 v14, null, 0, v14, vcc_lo
.LBB103_35:                             ; =>This Inner Loop Header: Depth=1
	s_clause 0x3
	global_load_b64 v[23:24], v[13:14], off offset:-512
	global_load_b64 v[48:49], v[13:14], off offset:-256
	global_load_b64 v[50:51], v[13:14], off
	global_load_b64 v[52:53], v[13:14], off offset:256
	s_clause 0x6
	global_load_b128 v[15:18], v[9:10], off
	global_load_b128 v[19:22], v[9:10], off offset:16
	global_load_b128 v[28:31], v[9:10], off offset:1024
	;; [unrolled: 1-line block ×6, first 2 shown]
	s_wait_loadcnt 0xa
	v_sub_co_u32 v23, vcc_lo, v23, v1
	s_wait_alu 0xfffd
	v_sub_co_ci_u32_e64 v24, null, v24, v2, vcc_lo
	s_wait_loadcnt 0x9
	v_sub_co_u32 v48, vcc_lo, v48, v1
	s_wait_alu 0xfffd
	v_sub_co_ci_u32_e64 v49, null, v49, v2, vcc_lo
	v_lshlrev_b64_e32 v[23:24], 3, v[23:24]
	s_wait_loadcnt 0x8
	v_sub_co_u32 v50, vcc_lo, v50, v1
	s_delay_alu instid0(VALU_DEP_3)
	v_lshlrev_b64_e32 v[48:49], 3, v[48:49]
	s_wait_alu 0xfffd
	v_sub_co_ci_u32_e64 v51, null, v51, v2, vcc_lo
	s_wait_kmcnt 0x0
	v_add_co_u32 v23, s2, s4, v23
	s_wait_alu 0xf1ff
	v_add_co_ci_u32_e64 v24, null, s5, v24, s2
	v_add_co_u32 v48, vcc_lo, s4, v48
	s_wait_alu 0xfffd
	v_add_co_ci_u32_e64 v49, null, s5, v49, vcc_lo
	s_clause 0x1
	global_load_b64 v[23:24], v[23:24], off
	global_load_b64 v[54:55], v[48:49], off
	v_lshlrev_b64_e32 v[49:50], 3, v[50:51]
	s_wait_loadcnt 0x9
	v_sub_co_u32 v48, vcc_lo, v52, v1
	s_delay_alu instid0(VALU_DEP_2) | instskip(SKIP_1) | instid1(VALU_DEP_3)
	v_add_co_u32 v49, s2, s4, v49
	s_wait_alu 0xf1ff
	v_add_co_ci_u32_e64 v50, null, s5, v50, s2
	global_load_b64 v[56:57], v[49:50], off
	s_wait_alu 0xfffd
	v_sub_co_ci_u32_e64 v49, null, v53, v2, vcc_lo
	s_delay_alu instid0(VALU_DEP_1) | instskip(NEXT) | instid1(VALU_DEP_1)
	v_lshlrev_b64_e32 v[48:49], 3, v[48:49]
	v_add_co_u32 v48, vcc_lo, s4, v48
	s_wait_alu 0xfffd
	s_delay_alu instid0(VALU_DEP_2)
	v_add_co_ci_u32_e64 v49, null, s5, v49, vcc_lo
	global_load_b64 v[52:53], v[48:49], off
	global_load_b128 v[48:51], v[9:10], off offset:3088
	v_add_co_u32 v9, vcc_lo, 0x1000, v9
	s_wait_alu 0xfffd
	v_add_co_ci_u32_e64 v10, null, 0, v10, vcc_lo
	v_add_co_u32 v5, vcc_lo, 0x80, v5
	s_wait_alu 0xfffd
	v_add_co_ci_u32_e64 v6, null, 0, v6, vcc_lo
	;; [unrolled: 3-line block ×3, first 2 shown]
	s_delay_alu instid0(VALU_DEP_3)
	v_cmp_ge_i64_e32 vcc_lo, v[5:6], v[7:8]
	s_wait_alu 0xfffe
	s_or_b32 s7, vcc_lo, s7
	s_wait_loadcnt 0x4
	v_fma_mix_f32 v11, v15, v23, v12 op_sel_hi:[1,1,0]
	v_fma_mix_f32 v12, v15, v23, v27 op_sel:[1,0,0] op_sel_hi:[1,1,0]
	v_fma_mix_f32 v15, v16, v23, v26 op_sel_hi:[1,1,0]
	v_fma_mix_f32 v16, v16, v23, v25 op_sel:[1,0,0] op_sel_hi:[1,1,0]
	s_delay_alu instid0(VALU_DEP_4) | instskip(NEXT) | instid1(VALU_DEP_4)
	v_fma_mix_f32 v11, v17, v23, v11 op_sel:[0,1,0] op_sel_hi:[1,1,0]
	v_fma_mix_f32 v12, v17, v23, v12 op_sel:[1,1,0] op_sel_hi:[1,1,0]
	s_delay_alu instid0(VALU_DEP_4) | instskip(NEXT) | instid1(VALU_DEP_4)
	v_fma_mix_f32 v15, v18, v23, v15 op_sel:[0,1,0] op_sel_hi:[1,1,0]
	v_fma_mix_f32 v16, v18, v23, v16 op_sel:[1,1,0] op_sel_hi:[1,1,0]
	s_delay_alu instid0(VALU_DEP_4) | instskip(NEXT) | instid1(VALU_DEP_4)
	v_fma_mix_f32 v11, v19, v24, v11 op_sel_hi:[1,1,0]
	v_fma_mix_f32 v12, v19, v24, v12 op_sel:[1,0,0] op_sel_hi:[1,1,0]
	s_delay_alu instid0(VALU_DEP_4) | instskip(NEXT) | instid1(VALU_DEP_4)
	v_fma_mix_f32 v15, v20, v24, v15 op_sel_hi:[1,1,0]
	v_fma_mix_f32 v16, v20, v24, v16 op_sel:[1,0,0] op_sel_hi:[1,1,0]
	s_delay_alu instid0(VALU_DEP_4) | instskip(NEXT) | instid1(VALU_DEP_4)
	v_fma_mix_f32 v11, v21, v24, v11 op_sel:[0,1,0] op_sel_hi:[1,1,0]
	v_fma_mix_f32 v12, v21, v24, v12 op_sel:[1,1,0] op_sel_hi:[1,1,0]
	s_delay_alu instid0(VALU_DEP_4) | instskip(NEXT) | instid1(VALU_DEP_4)
	v_fma_mix_f32 v15, v22, v24, v15 op_sel:[0,1,0] op_sel_hi:[1,1,0]
	v_fma_mix_f32 v16, v22, v24, v16 op_sel:[1,1,0] op_sel_hi:[1,1,0]
	s_wait_loadcnt 0x3
	v_fma_mix_f32 v11, v28, v54, v11 op_sel_hi:[1,1,0]
	v_fma_mix_f32 v12, v28, v54, v12 op_sel:[1,0,0] op_sel_hi:[1,1,0]
	v_fma_mix_f32 v15, v29, v54, v15 op_sel_hi:[1,1,0]
	v_fma_mix_f32 v16, v29, v54, v16 op_sel:[1,0,0] op_sel_hi:[1,1,0]
	s_delay_alu instid0(VALU_DEP_4) | instskip(NEXT) | instid1(VALU_DEP_4)
	v_fma_mix_f32 v11, v30, v54, v11 op_sel:[0,1,0] op_sel_hi:[1,1,0]
	v_fma_mix_f32 v12, v30, v54, v12 op_sel:[1,1,0] op_sel_hi:[1,1,0]
	s_delay_alu instid0(VALU_DEP_4) | instskip(NEXT) | instid1(VALU_DEP_4)
	v_fma_mix_f32 v15, v31, v54, v15 op_sel:[0,1,0] op_sel_hi:[1,1,0]
	v_fma_mix_f32 v16, v31, v54, v16 op_sel:[1,1,0] op_sel_hi:[1,1,0]
	s_delay_alu instid0(VALU_DEP_4) | instskip(NEXT) | instid1(VALU_DEP_4)
	v_fma_mix_f32 v11, v32, v55, v11 op_sel_hi:[1,1,0]
	v_fma_mix_f32 v12, v32, v55, v12 op_sel:[1,0,0] op_sel_hi:[1,1,0]
	s_delay_alu instid0(VALU_DEP_4) | instskip(NEXT) | instid1(VALU_DEP_4)
	v_fma_mix_f32 v15, v33, v55, v15 op_sel_hi:[1,1,0]
	v_fma_mix_f32 v16, v33, v55, v16 op_sel:[1,0,0] op_sel_hi:[1,1,0]
	s_delay_alu instid0(VALU_DEP_4) | instskip(NEXT) | instid1(VALU_DEP_4)
	v_fma_mix_f32 v11, v34, v55, v11 op_sel:[0,1,0] op_sel_hi:[1,1,0]
	v_fma_mix_f32 v12, v34, v55, v12 op_sel:[1,1,0] op_sel_hi:[1,1,0]
	s_delay_alu instid0(VALU_DEP_4) | instskip(NEXT) | instid1(VALU_DEP_4)
	v_fma_mix_f32 v15, v35, v55, v15 op_sel:[0,1,0] op_sel_hi:[1,1,0]
	v_fma_mix_f32 v16, v35, v55, v16 op_sel:[1,1,0] op_sel_hi:[1,1,0]
	;; [unrolled: 23-line block ×3, first 2 shown]
	s_wait_loadcnt 0x1
	v_fma_mix_f32 v11, v44, v52, v11 op_sel_hi:[1,1,0]
	v_fma_mix_f32 v12, v44, v52, v12 op_sel:[1,0,0] op_sel_hi:[1,1,0]
	v_fma_mix_f32 v15, v45, v52, v15 op_sel_hi:[1,1,0]
	v_fma_mix_f32 v16, v45, v52, v16 op_sel:[1,0,0] op_sel_hi:[1,1,0]
	s_delay_alu instid0(VALU_DEP_4) | instskip(NEXT) | instid1(VALU_DEP_4)
	v_fma_mix_f32 v11, v46, v52, v11 op_sel:[0,1,0] op_sel_hi:[1,1,0]
	v_fma_mix_f32 v12, v46, v52, v12 op_sel:[1,1,0] op_sel_hi:[1,1,0]
	s_delay_alu instid0(VALU_DEP_4) | instskip(NEXT) | instid1(VALU_DEP_4)
	v_fma_mix_f32 v15, v47, v52, v15 op_sel:[0,1,0] op_sel_hi:[1,1,0]
	v_fma_mix_f32 v16, v47, v52, v16 op_sel:[1,1,0] op_sel_hi:[1,1,0]
	s_wait_loadcnt 0x0
	v_fma_mix_f32 v11, v48, v53, v11 op_sel_hi:[1,1,0]
	v_fma_mix_f32 v17, v48, v53, v12 op_sel:[1,0,0] op_sel_hi:[1,1,0]
	v_fma_mix_f32 v15, v49, v53, v15 op_sel_hi:[1,1,0]
	v_fma_mix_f32 v16, v49, v53, v16 op_sel:[1,0,0] op_sel_hi:[1,1,0]
	s_delay_alu instid0(VALU_DEP_4) | instskip(NEXT) | instid1(VALU_DEP_4)
	v_fma_mix_f32 v12, v50, v53, v11 op_sel:[0,1,0] op_sel_hi:[1,1,0]
	v_fma_mix_f32 v27, v50, v53, v17 op_sel:[1,1,0] op_sel_hi:[1,1,0]
	s_delay_alu instid0(VALU_DEP_4) | instskip(NEXT) | instid1(VALU_DEP_4)
	v_fma_mix_f32 v26, v51, v53, v15 op_sel:[0,1,0] op_sel_hi:[1,1,0]
	v_fma_mix_f32 v25, v51, v53, v16 op_sel:[1,1,0] op_sel_hi:[1,1,0]
	s_wait_alu 0xfffe
	s_and_not1_b32 exec_lo, exec_lo, s7
	s_cbranch_execnz .LBB103_35
; %bb.36:
	s_or_b32 exec_lo, exec_lo, s7
.LBB103_37:
	s_wait_alu 0xfffe
	s_or_b32 exec_lo, exec_lo, s6
.LBB103_38:
	s_wait_alu 0xfffe
	s_or_b32 exec_lo, exec_lo, s3
.LBB103_39:
	v_mbcnt_lo_u32_b32 v1, -1, 0
	s_mov_b32 s2, -1
	s_delay_alu instid0(VALU_DEP_1) | instskip(SKIP_1) | instid1(VALU_DEP_2)
	v_xor_b32_e32 v2, 16, v1
	v_xor_b32_e32 v8, 8, v1
	v_cmp_gt_i32_e32 vcc_lo, 32, v2
	s_wait_alu 0xfffd
	v_cndmask_b32_e32 v2, v1, v2, vcc_lo
	s_delay_alu instid0(VALU_DEP_3) | instskip(NEXT) | instid1(VALU_DEP_2)
	v_cmp_gt_i32_e32 vcc_lo, 32, v8
	v_lshlrev_b32_e32 v2, 2, v2
	ds_bpermute_b32 v7, v2, v26
	s_wait_dscnt 0x0
	v_add_f32_e32 v7, v26, v7
	ds_bpermute_b32 v5, v2, v12
	s_wait_alu 0xfffd
	v_cndmask_b32_e32 v8, v1, v8, vcc_lo
	ds_bpermute_b32 v6, v2, v27
	ds_bpermute_b32 v2, v2, v25
	s_wait_dscnt 0x2
	v_dual_add_f32 v5, v12, v5 :: v_dual_lshlrev_b32 v8, 2, v8
	v_xor_b32_e32 v12, 4, v1
	s_wait_dscnt 0x0
	v_add_f32_e32 v2, v25, v2
	ds_bpermute_b32 v9, v8, v5
	v_cmp_gt_i32_e32 vcc_lo, 32, v12
	s_wait_dscnt 0x0
	v_add_f32_e32 v5, v5, v9
	ds_bpermute_b32 v11, v8, v7
	v_add_f32_e32 v6, v27, v6
	ds_bpermute_b32 v10, v8, v6
	ds_bpermute_b32 v8, v8, v2
	s_wait_dscnt 0x2
	s_wait_alu 0xfffd
	v_dual_add_f32 v7, v7, v11 :: v_dual_cndmask_b32 v12, v1, v12
	s_delay_alu instid0(VALU_DEP_1)
	v_lshlrev_b32_e32 v12, 2, v12
	s_wait_dscnt 0x0
	v_add_f32_e32 v2, v2, v8
	ds_bpermute_b32 v8, v12, v5
	ds_bpermute_b32 v11, v12, v2
	s_wait_dscnt 0x1
	v_dual_add_f32 v5, v5, v8 :: v_dual_add_f32 v6, v6, v10
	ds_bpermute_b32 v10, v12, v7
	s_wait_dscnt 0x1
	v_add_f32_e32 v8, v2, v11
	ds_bpermute_b32 v9, v12, v6
	v_xor_b32_e32 v12, 2, v1
	s_delay_alu instid0(VALU_DEP_1) | instskip(SKIP_3) | instid1(VALU_DEP_1)
	v_cmp_gt_i32_e32 vcc_lo, 32, v12
	s_wait_alu 0xfffd
	v_cndmask_b32_e32 v12, v1, v12, vcc_lo
	s_wait_dscnt 0x1
	v_dual_add_f32 v7, v7, v10 :: v_dual_lshlrev_b32 v12, 2, v12
	s_wait_dscnt 0x0
	v_add_f32_e32 v6, v6, v9
	ds_bpermute_b32 v2, v12, v5
	ds_bpermute_b32 v10, v12, v7
	;; [unrolled: 1-line block ×4, first 2 shown]
	v_xor_b32_e32 v12, 1, v1
	s_delay_alu instid0(VALU_DEP_1) | instskip(SKIP_4) | instid1(VALU_DEP_2)
	v_cmp_gt_i32_e32 vcc_lo, 32, v12
	s_wait_alu 0xfffd
	v_cndmask_b32_e32 v1, v1, v12, vcc_lo
	v_cmp_eq_u32_e32 vcc_lo, 31, v0
	s_wait_dscnt 0x3
	v_dual_add_f32 v1, v5, v2 :: v_dual_lshlrev_b32 v12, 2, v1
	s_wait_dscnt 0x0
	v_dual_add_f32 v5, v7, v10 :: v_dual_add_f32 v2, v6, v9
	v_add_f32_e32 v6, v8, v11
	ds_bpermute_b32 v7, v12, v1
	ds_bpermute_b32 v9, v12, v5
	;; [unrolled: 1-line block ×4, first 2 shown]
	s_and_b32 exec_lo, exec_lo, vcc_lo
	s_cbranch_execz .LBB103_10
; %bb.40:
	s_load_b64 s[0:1], s[0:1], 0x58
	s_wait_dscnt 0x1
	v_dual_add_f32 v0, v1, v7 :: v_dual_add_f32 v1, v2, v8
	s_wait_dscnt 0x0
	v_add_f32_e32 v6, v6, v10
	s_cmp_eq_f32 s16, 0
	s_delay_alu instid0(VALU_DEP_2) | instskip(SKIP_3) | instid1(VALU_DEP_3)
	v_dual_mul_f32 v0, s12, v0 :: v_dual_mul_f32 v1, s12, v1
	v_add_f32_e32 v2, v5, v9
	v_lshlrev_b64_e32 v[4:5], 4, v[3:4]
	v_mul_f32_e32 v3, s12, v6
	v_mul_f32_e32 v2, s12, v2
	s_cbranch_scc0 .LBB103_42
; %bb.41:
	s_wait_kmcnt 0x0
	s_delay_alu instid0(VALU_DEP_3)
	v_add_co_u32 v6, vcc_lo, s0, v4
	s_wait_alu 0xfffd
	v_add_co_ci_u32_e64 v7, null, s1, v5, vcc_lo
	s_mov_b32 s2, 0
	global_store_b128 v[6:7], v[0:3], off
.LBB103_42:
	s_wait_alu 0xfffe
	s_and_not1_b32 vcc_lo, exec_lo, s2
	s_wait_alu 0xfffe
	s_cbranch_vccnz .LBB103_10
; %bb.43:
	s_wait_kmcnt 0x0
	v_add_co_u32 v8, vcc_lo, s0, v4
	s_wait_alu 0xfffd
	v_add_co_ci_u32_e64 v9, null, s1, v5, vcc_lo
	global_load_b128 v[4:7], v[8:9], off
	s_wait_loadcnt 0x0
	v_dual_fmac_f32 v0, s16, v4 :: v_dual_fmac_f32 v1, s16, v5
	v_dual_fmac_f32 v2, s16, v6 :: v_dual_fmac_f32 v3, s16, v7
	global_store_b128 v[8:9], v[0:3], off
	s_endpgm
	.section	.rodata,"a",@progbits
	.p2align	6, 0x0
	.amdhsa_kernel _ZN9rocsparseL18bsrxmvn_4x4_kernelILj128ELj32EfllDF16_DF16_fEEvT3_20rocsparse_direction_NS_24const_host_device_scalarIT1_EES1_PKS1_PKT2_SA_S7_PKT4_PKT5_S5_PT6_21rocsparse_index_base_b
		.amdhsa_group_segment_fixed_size 0
		.amdhsa_private_segment_fixed_size 0
		.amdhsa_kernarg_size 104
		.amdhsa_user_sgpr_count 2
		.amdhsa_user_sgpr_dispatch_ptr 0
		.amdhsa_user_sgpr_queue_ptr 0
		.amdhsa_user_sgpr_kernarg_segment_ptr 1
		.amdhsa_user_sgpr_dispatch_id 0
		.amdhsa_user_sgpr_private_segment_size 0
		.amdhsa_wavefront_size32 1
		.amdhsa_uses_dynamic_stack 0
		.amdhsa_enable_private_segment 0
		.amdhsa_system_sgpr_workgroup_id_x 1
		.amdhsa_system_sgpr_workgroup_id_y 0
		.amdhsa_system_sgpr_workgroup_id_z 0
		.amdhsa_system_sgpr_workgroup_info 0
		.amdhsa_system_vgpr_workitem_id 0
		.amdhsa_next_free_vgpr 64
		.amdhsa_next_free_sgpr 18
		.amdhsa_reserve_vcc 1
		.amdhsa_float_round_mode_32 0
		.amdhsa_float_round_mode_16_64 0
		.amdhsa_float_denorm_mode_32 3
		.amdhsa_float_denorm_mode_16_64 3
		.amdhsa_fp16_overflow 0
		.amdhsa_workgroup_processor_mode 1
		.amdhsa_memory_ordered 1
		.amdhsa_forward_progress 1
		.amdhsa_inst_pref_size 40
		.amdhsa_round_robin_scheduling 0
		.amdhsa_exception_fp_ieee_invalid_op 0
		.amdhsa_exception_fp_denorm_src 0
		.amdhsa_exception_fp_ieee_div_zero 0
		.amdhsa_exception_fp_ieee_overflow 0
		.amdhsa_exception_fp_ieee_underflow 0
		.amdhsa_exception_fp_ieee_inexact 0
		.amdhsa_exception_int_div_zero 0
	.end_amdhsa_kernel
	.section	.text._ZN9rocsparseL18bsrxmvn_4x4_kernelILj128ELj32EfllDF16_DF16_fEEvT3_20rocsparse_direction_NS_24const_host_device_scalarIT1_EES1_PKS1_PKT2_SA_S7_PKT4_PKT5_S5_PT6_21rocsparse_index_base_b,"axG",@progbits,_ZN9rocsparseL18bsrxmvn_4x4_kernelILj128ELj32EfllDF16_DF16_fEEvT3_20rocsparse_direction_NS_24const_host_device_scalarIT1_EES1_PKS1_PKT2_SA_S7_PKT4_PKT5_S5_PT6_21rocsparse_index_base_b,comdat
.Lfunc_end103:
	.size	_ZN9rocsparseL18bsrxmvn_4x4_kernelILj128ELj32EfllDF16_DF16_fEEvT3_20rocsparse_direction_NS_24const_host_device_scalarIT1_EES1_PKS1_PKT2_SA_S7_PKT4_PKT5_S5_PT6_21rocsparse_index_base_b, .Lfunc_end103-_ZN9rocsparseL18bsrxmvn_4x4_kernelILj128ELj32EfllDF16_DF16_fEEvT3_20rocsparse_direction_NS_24const_host_device_scalarIT1_EES1_PKS1_PKT2_SA_S7_PKT4_PKT5_S5_PT6_21rocsparse_index_base_b
                                        ; -- End function
	.set _ZN9rocsparseL18bsrxmvn_4x4_kernelILj128ELj32EfllDF16_DF16_fEEvT3_20rocsparse_direction_NS_24const_host_device_scalarIT1_EES1_PKS1_PKT2_SA_S7_PKT4_PKT5_S5_PT6_21rocsparse_index_base_b.num_vgpr, 64
	.set _ZN9rocsparseL18bsrxmvn_4x4_kernelILj128ELj32EfllDF16_DF16_fEEvT3_20rocsparse_direction_NS_24const_host_device_scalarIT1_EES1_PKS1_PKT2_SA_S7_PKT4_PKT5_S5_PT6_21rocsparse_index_base_b.num_agpr, 0
	.set _ZN9rocsparseL18bsrxmvn_4x4_kernelILj128ELj32EfllDF16_DF16_fEEvT3_20rocsparse_direction_NS_24const_host_device_scalarIT1_EES1_PKS1_PKT2_SA_S7_PKT4_PKT5_S5_PT6_21rocsparse_index_base_b.numbered_sgpr, 18
	.set _ZN9rocsparseL18bsrxmvn_4x4_kernelILj128ELj32EfllDF16_DF16_fEEvT3_20rocsparse_direction_NS_24const_host_device_scalarIT1_EES1_PKS1_PKT2_SA_S7_PKT4_PKT5_S5_PT6_21rocsparse_index_base_b.num_named_barrier, 0
	.set _ZN9rocsparseL18bsrxmvn_4x4_kernelILj128ELj32EfllDF16_DF16_fEEvT3_20rocsparse_direction_NS_24const_host_device_scalarIT1_EES1_PKS1_PKT2_SA_S7_PKT4_PKT5_S5_PT6_21rocsparse_index_base_b.private_seg_size, 0
	.set _ZN9rocsparseL18bsrxmvn_4x4_kernelILj128ELj32EfllDF16_DF16_fEEvT3_20rocsparse_direction_NS_24const_host_device_scalarIT1_EES1_PKS1_PKT2_SA_S7_PKT4_PKT5_S5_PT6_21rocsparse_index_base_b.uses_vcc, 1
	.set _ZN9rocsparseL18bsrxmvn_4x4_kernelILj128ELj32EfllDF16_DF16_fEEvT3_20rocsparse_direction_NS_24const_host_device_scalarIT1_EES1_PKS1_PKT2_SA_S7_PKT4_PKT5_S5_PT6_21rocsparse_index_base_b.uses_flat_scratch, 0
	.set _ZN9rocsparseL18bsrxmvn_4x4_kernelILj128ELj32EfllDF16_DF16_fEEvT3_20rocsparse_direction_NS_24const_host_device_scalarIT1_EES1_PKS1_PKT2_SA_S7_PKT4_PKT5_S5_PT6_21rocsparse_index_base_b.has_dyn_sized_stack, 0
	.set _ZN9rocsparseL18bsrxmvn_4x4_kernelILj128ELj32EfllDF16_DF16_fEEvT3_20rocsparse_direction_NS_24const_host_device_scalarIT1_EES1_PKS1_PKT2_SA_S7_PKT4_PKT5_S5_PT6_21rocsparse_index_base_b.has_recursion, 0
	.set _ZN9rocsparseL18bsrxmvn_4x4_kernelILj128ELj32EfllDF16_DF16_fEEvT3_20rocsparse_direction_NS_24const_host_device_scalarIT1_EES1_PKS1_PKT2_SA_S7_PKT4_PKT5_S5_PT6_21rocsparse_index_base_b.has_indirect_call, 0
	.section	.AMDGPU.csdata,"",@progbits
; Kernel info:
; codeLenInByte = 5108
; TotalNumSgprs: 20
; NumVgprs: 64
; ScratchSize: 0
; MemoryBound: 0
; FloatMode: 240
; IeeeMode: 1
; LDSByteSize: 0 bytes/workgroup (compile time only)
; SGPRBlocks: 0
; VGPRBlocks: 7
; NumSGPRsForWavesPerEU: 20
; NumVGPRsForWavesPerEU: 64
; Occupancy: 16
; WaveLimiterHint : 1
; COMPUTE_PGM_RSRC2:SCRATCH_EN: 0
; COMPUTE_PGM_RSRC2:USER_SGPR: 2
; COMPUTE_PGM_RSRC2:TRAP_HANDLER: 0
; COMPUTE_PGM_RSRC2:TGID_X_EN: 1
; COMPUTE_PGM_RSRC2:TGID_Y_EN: 0
; COMPUTE_PGM_RSRC2:TGID_Z_EN: 0
; COMPUTE_PGM_RSRC2:TIDIG_COMP_CNT: 0
	.section	.text._ZN9rocsparseL18bsrxmvn_4x4_kernelILj128ELj64EfllDF16_DF16_fEEvT3_20rocsparse_direction_NS_24const_host_device_scalarIT1_EES1_PKS1_PKT2_SA_S7_PKT4_PKT5_S5_PT6_21rocsparse_index_base_b,"axG",@progbits,_ZN9rocsparseL18bsrxmvn_4x4_kernelILj128ELj64EfllDF16_DF16_fEEvT3_20rocsparse_direction_NS_24const_host_device_scalarIT1_EES1_PKS1_PKT2_SA_S7_PKT4_PKT5_S5_PT6_21rocsparse_index_base_b,comdat
	.globl	_ZN9rocsparseL18bsrxmvn_4x4_kernelILj128ELj64EfllDF16_DF16_fEEvT3_20rocsparse_direction_NS_24const_host_device_scalarIT1_EES1_PKS1_PKT2_SA_S7_PKT4_PKT5_S5_PT6_21rocsparse_index_base_b ; -- Begin function _ZN9rocsparseL18bsrxmvn_4x4_kernelILj128ELj64EfllDF16_DF16_fEEvT3_20rocsparse_direction_NS_24const_host_device_scalarIT1_EES1_PKS1_PKT2_SA_S7_PKT4_PKT5_S5_PT6_21rocsparse_index_base_b
	.p2align	8
	.type	_ZN9rocsparseL18bsrxmvn_4x4_kernelILj128ELj64EfllDF16_DF16_fEEvT3_20rocsparse_direction_NS_24const_host_device_scalarIT1_EES1_PKS1_PKT2_SA_S7_PKT4_PKT5_S5_PT6_21rocsparse_index_base_b,@function
_ZN9rocsparseL18bsrxmvn_4x4_kernelILj128ELj64EfllDF16_DF16_fEEvT3_20rocsparse_direction_NS_24const_host_device_scalarIT1_EES1_PKS1_PKT2_SA_S7_PKT4_PKT5_S5_PT6_21rocsparse_index_base_b: ; @_ZN9rocsparseL18bsrxmvn_4x4_kernelILj128ELj64EfllDF16_DF16_fEEvT3_20rocsparse_direction_NS_24const_host_device_scalarIT1_EES1_PKS1_PKT2_SA_S7_PKT4_PKT5_S5_PT6_21rocsparse_index_base_b
; %bb.0:
	s_clause 0x2
	s_load_b64 s[2:3], s[0:1], 0x60
	s_load_b128 s[12:15], s[0:1], 0x10
	s_load_b64 s[16:17], s[0:1], 0x50
	s_wait_kmcnt 0x0
	s_bitcmp1_b32 s3, 0
	s_cselect_b32 s3, -1, 0
	s_delay_alu instid0(SALU_CYCLE_1)
	s_and_b32 vcc_lo, exec_lo, s3
	s_xor_b32 s3, s3, -1
	s_cbranch_vccnz .LBB104_2
; %bb.1:
	s_load_b32 s12, s[12:13], 0x0
.LBB104_2:
	s_and_not1_b32 vcc_lo, exec_lo, s3
	s_cbranch_vccnz .LBB104_4
; %bb.3:
	s_load_b32 s16, s[16:17], 0x0
.LBB104_4:
	s_wait_kmcnt 0x0
	s_cmp_neq_f32 s12, 0
	s_mov_b32 s6, 0
	s_cselect_b32 s3, -1, 0
	s_cmp_neq_f32 s16, 1.0
	s_cselect_b32 s4, -1, 0
	s_delay_alu instid0(SALU_CYCLE_1) | instskip(NEXT) | instid1(SALU_CYCLE_1)
	s_or_b32 s3, s3, s4
	s_and_not1_b32 vcc_lo, exec_lo, s3
	s_cbranch_vccnz .LBB104_10
; %bb.5:
	s_load_b64 s[4:5], s[0:1], 0x20
	v_lshrrev_b32_e32 v1, 6, v0
	v_mov_b32_e32 v6, 0
	s_delay_alu instid0(VALU_DEP_2)
	v_lshl_or_b32 v5, ttmp9, 1, v1
	s_wait_kmcnt 0x0
	s_cmp_lg_u64 s[4:5], 0
	s_cbranch_scc0 .LBB104_11
; %bb.6:
	s_mov_b32 s7, 0
                                        ; implicit-def: $vgpr3_vgpr4
                                        ; implicit-def: $vgpr1_vgpr2
	s_mov_b32 s3, exec_lo
	v_cmpx_gt_i64_e64 s[14:15], v[5:6]
	s_xor_b32 s8, exec_lo, s3
	s_cbranch_execz .LBB104_8
; %bb.7:
	v_lshlrev_b64_e32 v[1:2], 3, v[5:6]
	s_mov_b32 s3, 0
	s_mov_b32 s6, exec_lo
	s_delay_alu instid0(VALU_DEP_1) | instskip(NEXT) | instid1(VALU_DEP_1)
	v_add_co_u32 v1, vcc_lo, s4, v1
	v_add_co_ci_u32_e64 v2, null, s5, v2, vcc_lo
	global_load_b64 v[1:2], v[1:2], off
	s_wait_loadcnt 0x0
	v_sub_co_u32 v3, vcc_lo, v1, s2
	s_wait_alu 0xfffd
	v_subrev_co_ci_u32_e64 v4, null, 0, v2, vcc_lo
	v_dual_mov_b32 v1, s2 :: v_dual_mov_b32 v2, s3
.LBB104_8:
	s_or_b32 exec_lo, exec_lo, s8
	s_delay_alu instid0(SALU_CYCLE_1)
	s_and_b32 vcc_lo, exec_lo, s7
	s_wait_alu 0xfffe
	s_cbranch_vccnz .LBB104_12
.LBB104_9:
	s_and_saveexec_b32 s2, s6
	s_cbranch_execnz .LBB104_15
.LBB104_10:
	s_endpgm
.LBB104_11:
                                        ; implicit-def: $vgpr3_vgpr4
                                        ; implicit-def: $vgpr1_vgpr2
	s_cbranch_execz .LBB104_9
.LBB104_12:
	s_load_b64 s[4:5], s[0:1], 0x0
	s_wait_kmcnt 0x0
	v_cmp_gt_i64_e32 vcc_lo, s[4:5], v[5:6]
	s_and_saveexec_b32 s4, vcc_lo
; %bb.13:
	s_mov_b32 s3, 0
	s_or_b32 s6, s6, exec_lo
; %bb.14:
	s_wait_alu 0xfffe
	s_or_b32 exec_lo, exec_lo, s4
	v_dual_mov_b32 v1, s2 :: v_dual_mov_b32 v2, s3
	v_dual_mov_b32 v3, v5 :: v_dual_mov_b32 v4, v6
	s_and_saveexec_b32 s2, s6
	s_cbranch_execz .LBB104_10
.LBB104_15:
	s_load_b256 s[4:11], s[0:1], 0x28
	s_delay_alu instid0(VALU_DEP_1) | instskip(SKIP_3) | instid1(VALU_DEP_2)
	v_lshlrev_b64_e32 v[5:6], 3, v[3:4]
	v_dual_mov_b32 v25, 0 :: v_dual_and_b32 v0, 63, v0
	s_load_b32 s3, s[0:1], 0x8
	s_wait_kmcnt 0x0
	v_add_co_u32 v7, vcc_lo, s4, v5
	s_wait_alu 0xfffd
	v_add_co_ci_u32_e64 v8, null, s5, v6, vcc_lo
	v_add_co_u32 v5, vcc_lo, s6, v5
	s_wait_alu 0xfffd
	v_add_co_ci_u32_e64 v6, null, s7, v6, vcc_lo
	v_add_co_u32 v9, vcc_lo, v7, 8
	global_load_b64 v[13:14], v[7:8], off
	s_wait_alu 0xfffd
	v_add_co_ci_u32_e64 v10, null, 0, v8, vcc_lo
	s_cmp_eq_u64 s[6:7], 0
	s_load_b64 s[4:5], s[0:1], 0x48
	s_cselect_b32 vcc_lo, -1, 0
	s_cmp_eq_u32 s3, 1
	s_wait_alu 0xfffe
	v_dual_cndmask_b32 v6, v6, v10 :: v_dual_cndmask_b32 v5, v5, v9
	global_load_b64 v[7:8], v[5:6], off
	s_wait_loadcnt 0x1
	v_sub_co_u32 v5, vcc_lo, v13, v1
	s_wait_alu 0xfffd
	v_sub_co_ci_u32_e64 v6, null, v14, v2, vcc_lo
	s_delay_alu instid0(VALU_DEP_2) | instskip(SKIP_1) | instid1(VALU_DEP_2)
	v_add_co_u32 v5, vcc_lo, v5, v0
	s_wait_alu 0xfffd
	v_add_co_ci_u32_e64 v6, null, 0, v6, vcc_lo
	s_delay_alu instid0(VALU_DEP_1) | instskip(SKIP_4) | instid1(VALU_DEP_3)
	v_lshlrev_b64_e32 v[9:10], 5, v[5:6]
	s_wait_loadcnt 0x0
	v_sub_co_u32 v7, vcc_lo, v7, v1
	s_wait_alu 0xfffd
	v_sub_co_ci_u32_e64 v8, null, v8, v2, vcc_lo
	v_add_co_u32 v9, vcc_lo, s10, v9
	s_delay_alu instid0(VALU_DEP_2)
	v_cmp_lt_i64_e64 s2, v[5:6], v[7:8]
	s_wait_alu 0xfffd
	v_add_co_ci_u32_e64 v10, null, s11, v10, vcc_lo
	s_cbranch_scc1 .LBB104_27
; %bb.16:
	v_dual_mov_b32 v26, 0 :: v_dual_mov_b32 v27, 0
	v_mov_b32_e32 v12, 0
	s_and_saveexec_b32 s6, s2
	s_cbranch_execz .LBB104_26
; %bb.17:
	v_or_b32_e32 v11, 64, v0
	v_not_b32_e32 v16, v13
	v_sub_co_u32 v17, s3, v1, v0
	v_not_b32_e32 v15, v14
	s_delay_alu instid0(VALU_DEP_4)
	v_sub_co_u32 v11, vcc_lo, v11, v1
	s_wait_alu 0xfffd
	v_sub_co_ci_u32_e64 v12, null, 0, v2, vcc_lo
	s_wait_alu 0xf1ff
	v_subrev_co_ci_u32_e64 v18, null, 0, v2, s3
	v_add_co_u32 v11, vcc_lo, v11, v13
	s_wait_alu 0xfffd
	v_add_co_ci_u32_e64 v12, null, v12, v14, vcc_lo
	s_mov_b32 s3, exec_lo
	v_cmp_gt_i64_e32 vcc_lo, v[11:12], v[7:8]
	s_wait_alu 0xfffd
	v_dual_cndmask_b32 v20, v8, v12 :: v_dual_cndmask_b32 v11, v7, v11
	v_add_co_u32 v12, vcc_lo, v17, v16
	s_wait_alu 0xfffd
	v_add_co_ci_u32_e64 v15, null, v18, v15, vcc_lo
	v_mov_b32_e32 v18, v10
	s_delay_alu instid0(VALU_DEP_3) | instskip(SKIP_3) | instid1(VALU_DEP_3)
	v_add_co_u32 v19, vcc_lo, v12, v11
	v_mov_b32_e32 v12, 0
	s_wait_alu 0xfffd
	v_add_co_ci_u32_e64 v20, null, v15, v20, vcc_lo
	v_dual_mov_b32 v16, v6 :: v_dual_and_b32 v11, 0xc0, v19
	s_delay_alu instid0(VALU_DEP_3)
	v_mov_b32_e32 v25, v12
	v_mov_b32_e32 v15, v5
	v_dual_mov_b32 v27, v12 :: v_dual_mov_b32 v26, v12
	v_mov_b32_e32 v17, v9
	v_cmpx_ne_u64_e32 0xc0, v[11:12]
	s_cbranch_execz .LBB104_21
; %bb.18:
	v_lshrrev_b32_e32 v11, 6, v19
	v_dual_mov_b32 v25, 0 :: v_dual_mov_b32 v18, v10
	v_dual_mov_b32 v17, v9 :: v_dual_mov_b32 v26, 0
	s_delay_alu instid0(VALU_DEP_3) | instskip(SKIP_3) | instid1(VALU_DEP_4)
	v_dual_mov_b32 v16, v6 :: v_dual_add_nc_u32 v21, 1, v11
	v_lshlrev_b64_e32 v[11:12], 3, v[5:6]
	v_mov_b32_e32 v15, v5
	v_mov_b32_e32 v27, 0
	v_and_b32_e32 v23, 3, v21
	s_delay_alu instid0(VALU_DEP_4) | instskip(NEXT) | instid1(VALU_DEP_2)
	v_add_co_u32 v21, vcc_lo, s8, v11
	v_sub_co_u32 v23, s7, 0, v23
	s_wait_alu 0xfffd
	v_add_co_ci_u32_e64 v22, null, s9, v12, vcc_lo
	s_wait_alu 0xf1ff
	v_sub_co_ci_u32_e64 v24, null, 0, 0, s7
	v_mov_b32_e32 v12, 0
	s_mov_b32 s7, 0
.LBB104_19:                             ; =>This Inner Loop Header: Depth=1
	global_load_b64 v[36:37], v[21:22], off
	s_clause 0x1
	global_load_b128 v[28:31], v[17:18], off
	global_load_b128 v[32:35], v[17:18], off offset:16
	s_wait_loadcnt 0x2
	v_sub_co_u32 v36, vcc_lo, v36, v1
	s_wait_alu 0xfffd
	v_sub_co_ci_u32_e64 v37, null, v37, v2, vcc_lo
	s_delay_alu instid0(VALU_DEP_1) | instskip(SKIP_1) | instid1(VALU_DEP_1)
	v_lshlrev_b64_e32 v[36:37], 3, v[36:37]
	s_wait_kmcnt 0x0
	v_add_co_u32 v36, vcc_lo, s4, v36
	s_wait_alu 0xfffd
	s_delay_alu instid0(VALU_DEP_2)
	v_add_co_ci_u32_e64 v37, null, s5, v37, vcc_lo
	v_add_co_u32 v17, vcc_lo, 0x800, v17
	s_wait_alu 0xfffd
	v_add_co_ci_u32_e64 v18, null, 0, v18, vcc_lo
	global_load_b64 v[36:37], v[36:37], off
	v_add_co_u32 v15, vcc_lo, v15, 64
	s_wait_alu 0xfffd
	v_add_co_ci_u32_e64 v16, null, 0, v16, vcc_lo
	v_add_co_u32 v21, vcc_lo, 0x200, v21
	s_wait_alu 0xfffd
	v_add_co_ci_u32_e64 v22, null, 0, v22, vcc_lo
	;; [unrolled: 3-line block ×3, first 2 shown]
	s_delay_alu instid0(VALU_DEP_1)
	v_cmp_eq_u64_e32 vcc_lo, 0, v[23:24]
	s_wait_alu 0xfffe
	s_or_b32 s7, vcc_lo, s7
	s_wait_loadcnt 0x0
	v_fma_mix_f32 v11, v28, v36, v12 op_sel_hi:[1,1,0]
	v_fma_mix_f32 v12, v30, v36, v27 op_sel_hi:[1,1,0]
	v_fma_mix_f32 v26, v32, v36, v26 op_sel_hi:[1,1,0]
	v_fma_mix_f32 v25, v34, v36, v25 op_sel_hi:[1,1,0]
	s_delay_alu instid0(VALU_DEP_4) | instskip(NEXT) | instid1(VALU_DEP_4)
	v_fma_mix_f32 v11, v28, v36, v11 op_sel:[1,1,0] op_sel_hi:[1,1,0]
	v_fma_mix_f32 v12, v30, v36, v12 op_sel:[1,1,0] op_sel_hi:[1,1,0]
	s_delay_alu instid0(VALU_DEP_4) | instskip(NEXT) | instid1(VALU_DEP_4)
	v_fma_mix_f32 v26, v32, v36, v26 op_sel:[1,1,0] op_sel_hi:[1,1,0]
	v_fma_mix_f32 v25, v34, v36, v25 op_sel:[1,1,0] op_sel_hi:[1,1,0]
	s_delay_alu instid0(VALU_DEP_4) | instskip(NEXT) | instid1(VALU_DEP_4)
	v_fma_mix_f32 v11, v29, v37, v11 op_sel_hi:[1,1,0]
	v_fma_mix_f32 v27, v31, v37, v12 op_sel_hi:[1,1,0]
	s_delay_alu instid0(VALU_DEP_4) | instskip(NEXT) | instid1(VALU_DEP_4)
	v_fma_mix_f32 v26, v33, v37, v26 op_sel_hi:[1,1,0]
	v_fma_mix_f32 v25, v35, v37, v25 op_sel_hi:[1,1,0]
	s_delay_alu instid0(VALU_DEP_4) | instskip(NEXT) | instid1(VALU_DEP_4)
	v_fma_mix_f32 v12, v29, v37, v11 op_sel:[1,1,0] op_sel_hi:[1,1,0]
	v_fma_mix_f32 v27, v31, v37, v27 op_sel:[1,1,0] op_sel_hi:[1,1,0]
	s_delay_alu instid0(VALU_DEP_4) | instskip(NEXT) | instid1(VALU_DEP_4)
	v_fma_mix_f32 v26, v33, v37, v26 op_sel:[1,1,0] op_sel_hi:[1,1,0]
	v_fma_mix_f32 v25, v35, v37, v25 op_sel:[1,1,0] op_sel_hi:[1,1,0]
	s_wait_alu 0xfffe
	s_and_not1_b32 exec_lo, exec_lo, s7
	s_cbranch_execnz .LBB104_19
; %bb.20:
	s_or_b32 exec_lo, exec_lo, s7
.LBB104_21:
	s_wait_alu 0xfffe
	s_or_b32 exec_lo, exec_lo, s3
	s_delay_alu instid0(SALU_CYCLE_1)
	s_mov_b32 s7, exec_lo
	v_cmpx_lt_u64_e32 0xbf, v[19:20]
	s_cbranch_execz .LBB104_25
; %bb.22:
	v_lshlrev_b64_e32 v[19:20], 3, v[15:16]
	s_mov_b32 s10, 0
	s_delay_alu instid0(VALU_DEP_1) | instskip(SKIP_1) | instid1(VALU_DEP_2)
	v_add_co_u32 v11, vcc_lo, s8, v19
	s_wait_alu 0xfffd
	v_add_co_ci_u32_e64 v20, null, s9, v20, vcc_lo
	s_delay_alu instid0(VALU_DEP_2) | instskip(SKIP_1) | instid1(VALU_DEP_2)
	v_add_co_u32 v19, vcc_lo, 0x400, v11
	s_wait_alu 0xfffd
	v_add_co_ci_u32_e64 v20, null, 0, v20, vcc_lo
.LBB104_23:                             ; =>This Inner Loop Header: Depth=1
	s_clause 0x3
	global_load_b64 v[56:57], v[19:20], off offset:-1024
	global_load_b64 v[58:59], v[19:20], off offset:-512
	global_load_b64 v[60:61], v[19:20], off
	global_load_b64 v[62:63], v[19:20], off offset:512
	s_clause 0x7
	global_load_b128 v[21:24], v[17:18], off
	global_load_b128 v[28:31], v[17:18], off offset:16
	global_load_b128 v[32:35], v[17:18], off offset:2048
	global_load_b128 v[36:39], v[17:18], off offset:2064
	global_load_b128 v[40:43], v[17:18], off offset:4096
	global_load_b128 v[44:47], v[17:18], off offset:4112
	global_load_b128 v[48:51], v[17:18], off offset:6144
	global_load_b128 v[52:55], v[17:18], off offset:6160
	s_wait_loadcnt 0xb
	v_sub_co_u32 v56, vcc_lo, v56, v1
	s_wait_alu 0xfffd
	v_sub_co_ci_u32_e64 v57, null, v57, v2, vcc_lo
	s_wait_loadcnt 0xa
	v_sub_co_u32 v58, vcc_lo, v58, v1
	s_wait_alu 0xfffd
	v_sub_co_ci_u32_e64 v59, null, v59, v2, vcc_lo
	v_lshlrev_b64_e32 v[56:57], 3, v[56:57]
	s_wait_loadcnt 0x9
	v_sub_co_u32 v60, vcc_lo, v60, v1
	s_delay_alu instid0(VALU_DEP_3)
	v_lshlrev_b64_e32 v[58:59], 3, v[58:59]
	s_wait_alu 0xfffd
	v_sub_co_ci_u32_e64 v61, null, v61, v2, vcc_lo
	s_wait_kmcnt 0x0
	v_add_co_u32 v56, s3, s4, v56
	s_wait_alu 0xf1ff
	v_add_co_ci_u32_e64 v57, null, s5, v57, s3
	v_add_co_u32 v58, vcc_lo, s4, v58
	s_wait_alu 0xfffd
	v_add_co_ci_u32_e64 v59, null, s5, v59, vcc_lo
	global_load_b64 v[56:57], v[56:57], off
	v_lshlrev_b64_e32 v[60:61], 3, v[60:61]
	s_wait_loadcnt 0x9
	v_sub_co_u32 v62, vcc_lo, v62, v1
	global_load_b64 v[58:59], v[58:59], off
	s_wait_alu 0xfffd
	v_sub_co_ci_u32_e64 v63, null, v63, v2, vcc_lo
	v_add_co_u32 v60, s3, s4, v60
	s_wait_alu 0xf1ff
	v_add_co_ci_u32_e64 v61, null, s5, v61, s3
	s_delay_alu instid0(VALU_DEP_3)
	v_lshlrev_b64_e32 v[62:63], 3, v[62:63]
	global_load_b64 v[60:61], v[60:61], off
	v_add_co_u32 v62, vcc_lo, s4, v62
	s_wait_alu 0xfffd
	v_add_co_ci_u32_e64 v63, null, s5, v63, vcc_lo
	v_add_co_u32 v17, vcc_lo, 0x2000, v17
	s_wait_alu 0xfffd
	v_add_co_ci_u32_e64 v18, null, 0, v18, vcc_lo
	global_load_b64 v[62:63], v[62:63], off
	v_add_co_u32 v15, vcc_lo, 0x100, v15
	s_wait_alu 0xfffd
	v_add_co_ci_u32_e64 v16, null, 0, v16, vcc_lo
	v_add_co_u32 v19, vcc_lo, 0x800, v19
	s_wait_alu 0xfffd
	v_add_co_ci_u32_e64 v20, null, 0, v20, vcc_lo
	s_delay_alu instid0(VALU_DEP_3)
	v_cmp_ge_i64_e32 vcc_lo, v[15:16], v[7:8]
	s_wait_alu 0xfffe
	s_or_b32 s10, vcc_lo, s10
	s_wait_loadcnt 0x3
	v_fma_mix_f32 v11, v21, v56, v12 op_sel_hi:[1,1,0]
	v_fma_mix_f32 v12, v23, v56, v27 op_sel_hi:[1,1,0]
	v_fma_mix_f32 v26, v28, v56, v26 op_sel_hi:[1,1,0]
	v_fma_mix_f32 v25, v30, v56, v25 op_sel_hi:[1,1,0]
	s_delay_alu instid0(VALU_DEP_4) | instskip(NEXT) | instid1(VALU_DEP_4)
	v_fma_mix_f32 v11, v21, v56, v11 op_sel:[1,1,0] op_sel_hi:[1,1,0]
	v_fma_mix_f32 v12, v23, v56, v12 op_sel:[1,1,0] op_sel_hi:[1,1,0]
	s_delay_alu instid0(VALU_DEP_4) | instskip(NEXT) | instid1(VALU_DEP_4)
	v_fma_mix_f32 v21, v28, v56, v26 op_sel:[1,1,0] op_sel_hi:[1,1,0]
	v_fma_mix_f32 v23, v30, v56, v25 op_sel:[1,1,0] op_sel_hi:[1,1,0]
	s_delay_alu instid0(VALU_DEP_4) | instskip(NEXT) | instid1(VALU_DEP_4)
	v_fma_mix_f32 v11, v22, v57, v11 op_sel_hi:[1,1,0]
	v_fma_mix_f32 v12, v24, v57, v12 op_sel_hi:[1,1,0]
	s_delay_alu instid0(VALU_DEP_4) | instskip(NEXT) | instid1(VALU_DEP_4)
	v_fma_mix_f32 v21, v29, v57, v21 op_sel_hi:[1,1,0]
	v_fma_mix_f32 v23, v31, v57, v23 op_sel_hi:[1,1,0]
	s_delay_alu instid0(VALU_DEP_4) | instskip(NEXT) | instid1(VALU_DEP_4)
	v_fma_mix_f32 v11, v22, v57, v11 op_sel:[1,1,0] op_sel_hi:[1,1,0]
	v_fma_mix_f32 v12, v24, v57, v12 op_sel:[1,1,0] op_sel_hi:[1,1,0]
	s_delay_alu instid0(VALU_DEP_4) | instskip(NEXT) | instid1(VALU_DEP_4)
	v_fma_mix_f32 v21, v29, v57, v21 op_sel:[1,1,0] op_sel_hi:[1,1,0]
	v_fma_mix_f32 v22, v31, v57, v23 op_sel:[1,1,0] op_sel_hi:[1,1,0]
	s_wait_loadcnt 0x2
	v_fma_mix_f32 v11, v32, v58, v11 op_sel_hi:[1,1,0]
	v_fma_mix_f32 v12, v34, v58, v12 op_sel_hi:[1,1,0]
	v_fma_mix_f32 v21, v36, v58, v21 op_sel_hi:[1,1,0]
	v_fma_mix_f32 v22, v38, v58, v22 op_sel_hi:[1,1,0]
	s_delay_alu instid0(VALU_DEP_4) | instskip(NEXT) | instid1(VALU_DEP_4)
	v_fma_mix_f32 v11, v32, v58, v11 op_sel:[1,1,0] op_sel_hi:[1,1,0]
	v_fma_mix_f32 v12, v34, v58, v12 op_sel:[1,1,0] op_sel_hi:[1,1,0]
	s_delay_alu instid0(VALU_DEP_4) | instskip(NEXT) | instid1(VALU_DEP_4)
	v_fma_mix_f32 v21, v36, v58, v21 op_sel:[1,1,0] op_sel_hi:[1,1,0]
	v_fma_mix_f32 v22, v38, v58, v22 op_sel:[1,1,0] op_sel_hi:[1,1,0]
	s_delay_alu instid0(VALU_DEP_4) | instskip(NEXT) | instid1(VALU_DEP_4)
	v_fma_mix_f32 v11, v33, v59, v11 op_sel_hi:[1,1,0]
	v_fma_mix_f32 v12, v35, v59, v12 op_sel_hi:[1,1,0]
	s_delay_alu instid0(VALU_DEP_4) | instskip(NEXT) | instid1(VALU_DEP_4)
	v_fma_mix_f32 v21, v37, v59, v21 op_sel_hi:[1,1,0]
	v_fma_mix_f32 v22, v39, v59, v22 op_sel_hi:[1,1,0]
	s_delay_alu instid0(VALU_DEP_4) | instskip(NEXT) | instid1(VALU_DEP_4)
	v_fma_mix_f32 v11, v33, v59, v11 op_sel:[1,1,0] op_sel_hi:[1,1,0]
	v_fma_mix_f32 v12, v35, v59, v12 op_sel:[1,1,0] op_sel_hi:[1,1,0]
	s_delay_alu instid0(VALU_DEP_4) | instskip(NEXT) | instid1(VALU_DEP_4)
	v_fma_mix_f32 v21, v37, v59, v21 op_sel:[1,1,0] op_sel_hi:[1,1,0]
	v_fma_mix_f32 v22, v39, v59, v22 op_sel:[1,1,0] op_sel_hi:[1,1,0]
	;; [unrolled: 23-line block ×4, first 2 shown]
	s_wait_alu 0xfffe
	s_and_not1_b32 exec_lo, exec_lo, s10
	s_cbranch_execnz .LBB104_23
; %bb.24:
	s_or_b32 exec_lo, exec_lo, s10
.LBB104_25:
	s_wait_alu 0xfffe
	s_or_b32 exec_lo, exec_lo, s7
.LBB104_26:
	s_wait_alu 0xfffe
	s_or_b32 exec_lo, exec_lo, s6
	s_cbranch_execz .LBB104_28
	s_branch .LBB104_39
.LBB104_27:
                                        ; implicit-def: $vgpr25
                                        ; implicit-def: $vgpr26
                                        ; implicit-def: $vgpr27
                                        ; implicit-def: $vgpr12
.LBB104_28:
	v_dual_mov_b32 v25, 0 :: v_dual_mov_b32 v26, 0
	v_dual_mov_b32 v27, 0 :: v_dual_mov_b32 v12, 0
	s_and_saveexec_b32 s3, s2
	s_cbranch_execz .LBB104_38
; %bb.29:
	v_or_b32_e32 v11, 64, v0
	v_sub_co_u32 v15, s2, v1, v0
	s_wait_alu 0xf1ff
	v_subrev_co_ci_u32_e64 v16, null, 0, v2, s2
	s_delay_alu instid0(VALU_DEP_3)
	v_sub_co_u32 v11, vcc_lo, v11, v1
	s_wait_alu 0xfffd
	v_sub_co_ci_u32_e64 v12, null, 0, v2, vcc_lo
	s_mov_b32 s2, exec_lo
	v_add_co_u32 v11, vcc_lo, v11, v13
	s_wait_alu 0xfffd
	v_add_co_ci_u32_e64 v12, null, v12, v14, vcc_lo
	v_not_b32_e32 v13, v13
	v_not_b32_e32 v14, v14
	s_delay_alu instid0(VALU_DEP_3)
	v_cmp_gt_i64_e32 vcc_lo, v[11:12], v[7:8]
	s_wait_alu 0xfffd
	v_cndmask_b32_e32 v17, v8, v12, vcc_lo
	v_cndmask_b32_e32 v11, v7, v11, vcc_lo
	v_add_co_u32 v12, vcc_lo, v15, v13
	s_wait_alu 0xfffd
	v_add_co_ci_u32_e64 v14, null, v16, v14, vcc_lo
	s_delay_alu instid0(VALU_DEP_2) | instskip(SKIP_2) | instid1(VALU_DEP_3)
	v_add_co_u32 v13, vcc_lo, v12, v11
	v_mov_b32_e32 v12, 0
	s_wait_alu 0xfffd
	v_add_co_ci_u32_e64 v14, null, v14, v17, vcc_lo
	s_delay_alu instid0(VALU_DEP_3) | instskip(NEXT) | instid1(VALU_DEP_3)
	v_and_b32_e32 v11, 0xc0, v13
	v_dual_mov_b32 v27, v12 :: v_dual_mov_b32 v26, v12
	v_mov_b32_e32 v25, v12
	s_delay_alu instid0(VALU_DEP_3)
	v_cmpx_ne_u64_e32 0xc0, v[11:12]
	s_cbranch_execz .LBB104_33
; %bb.30:
	v_lshrrev_b32_e32 v11, 6, v13
	v_mov_b32_e32 v25, 0
	v_dual_mov_b32 v27, 0 :: v_dual_mov_b32 v26, 0
	s_delay_alu instid0(VALU_DEP_3) | instskip(SKIP_1) | instid1(VALU_DEP_2)
	v_add_nc_u32_e32 v15, 1, v11
	v_lshlrev_b64_e32 v[11:12], 3, v[5:6]
	v_and_b32_e32 v17, 3, v15
	s_delay_alu instid0(VALU_DEP_2) | instskip(SKIP_1) | instid1(VALU_DEP_3)
	v_add_co_u32 v15, vcc_lo, s8, v11
	s_wait_alu 0xfffd
	v_add_co_ci_u32_e64 v16, null, s9, v12, vcc_lo
	s_delay_alu instid0(VALU_DEP_3)
	v_sub_co_u32 v17, s6, 0, v17
	s_wait_alu 0xf1ff
	v_sub_co_ci_u32_e64 v18, null, 0, 0, s6
	v_mov_b32_e32 v12, 0
	s_mov_b32 s6, 0
.LBB104_31:                             ; =>This Inner Loop Header: Depth=1
	global_load_b64 v[23:24], v[15:16], off
	global_load_b128 v[19:22], v[9:10], off
	s_wait_loadcnt 0x1
	v_sub_co_u32 v23, vcc_lo, v23, v1
	s_wait_alu 0xfffd
	v_sub_co_ci_u32_e64 v24, null, v24, v2, vcc_lo
	s_delay_alu instid0(VALU_DEP_1) | instskip(SKIP_1) | instid1(VALU_DEP_1)
	v_lshlrev_b64_e32 v[23:24], 3, v[23:24]
	s_wait_kmcnt 0x0
	v_add_co_u32 v23, vcc_lo, s4, v23
	s_wait_alu 0xfffd
	s_delay_alu instid0(VALU_DEP_2)
	v_add_co_ci_u32_e64 v24, null, s5, v24, vcc_lo
	global_load_b64 v[23:24], v[23:24], off
	global_load_b128 v[28:31], v[9:10], off offset:16
	v_add_co_u32 v9, vcc_lo, 0x800, v9
	s_wait_alu 0xfffd
	v_add_co_ci_u32_e64 v10, null, 0, v10, vcc_lo
	v_add_co_u32 v5, vcc_lo, v5, 64
	s_wait_alu 0xfffd
	v_add_co_ci_u32_e64 v6, null, 0, v6, vcc_lo
	;; [unrolled: 3-line block ×4, first 2 shown]
	s_delay_alu instid0(VALU_DEP_1)
	v_cmp_eq_u64_e32 vcc_lo, 0, v[17:18]
	s_wait_alu 0xfffe
	s_or_b32 s6, vcc_lo, s6
	s_wait_loadcnt 0x1
	v_fma_mix_f32 v11, v19, v23, v12 op_sel_hi:[1,1,0]
	v_fma_mix_f32 v12, v19, v23, v27 op_sel:[1,0,0] op_sel_hi:[1,1,0]
	v_fma_mix_f32 v19, v20, v23, v26 op_sel_hi:[1,1,0]
	v_fma_mix_f32 v20, v20, v23, v25 op_sel:[1,0,0] op_sel_hi:[1,1,0]
	s_delay_alu instid0(VALU_DEP_4) | instskip(NEXT) | instid1(VALU_DEP_4)
	v_fma_mix_f32 v11, v21, v23, v11 op_sel:[0,1,0] op_sel_hi:[1,1,0]
	v_fma_mix_f32 v12, v21, v23, v12 op_sel:[1,1,0] op_sel_hi:[1,1,0]
	s_delay_alu instid0(VALU_DEP_4) | instskip(NEXT) | instid1(VALU_DEP_4)
	v_fma_mix_f32 v19, v22, v23, v19 op_sel:[0,1,0] op_sel_hi:[1,1,0]
	v_fma_mix_f32 v20, v22, v23, v20 op_sel:[1,1,0] op_sel_hi:[1,1,0]
	s_wait_loadcnt 0x0
	v_fma_mix_f32 v11, v28, v24, v11 op_sel_hi:[1,1,0]
	v_fma_mix_f32 v21, v28, v24, v12 op_sel:[1,0,0] op_sel_hi:[1,1,0]
	v_fma_mix_f32 v19, v29, v24, v19 op_sel_hi:[1,1,0]
	v_fma_mix_f32 v20, v29, v24, v20 op_sel:[1,0,0] op_sel_hi:[1,1,0]
	s_delay_alu instid0(VALU_DEP_4) | instskip(NEXT) | instid1(VALU_DEP_4)
	v_fma_mix_f32 v12, v30, v24, v11 op_sel:[0,1,0] op_sel_hi:[1,1,0]
	v_fma_mix_f32 v27, v30, v24, v21 op_sel:[1,1,0] op_sel_hi:[1,1,0]
	s_delay_alu instid0(VALU_DEP_4) | instskip(NEXT) | instid1(VALU_DEP_4)
	v_fma_mix_f32 v26, v31, v24, v19 op_sel:[0,1,0] op_sel_hi:[1,1,0]
	v_fma_mix_f32 v25, v31, v24, v20 op_sel:[1,1,0] op_sel_hi:[1,1,0]
	s_wait_alu 0xfffe
	s_and_not1_b32 exec_lo, exec_lo, s6
	s_cbranch_execnz .LBB104_31
; %bb.32:
	s_or_b32 exec_lo, exec_lo, s6
.LBB104_33:
	s_wait_alu 0xfffe
	s_or_b32 exec_lo, exec_lo, s2
	s_delay_alu instid0(SALU_CYCLE_1)
	s_mov_b32 s6, exec_lo
	v_cmpx_lt_u64_e32 0xbf, v[13:14]
	s_cbranch_execz .LBB104_37
; %bb.34:
	v_lshlrev_b64_e32 v[13:14], 3, v[5:6]
	s_mov_b32 s7, 0
	s_delay_alu instid0(VALU_DEP_1) | instskip(SKIP_1) | instid1(VALU_DEP_2)
	v_add_co_u32 v11, vcc_lo, s8, v13
	s_wait_alu 0xfffd
	v_add_co_ci_u32_e64 v14, null, s9, v14, vcc_lo
	s_delay_alu instid0(VALU_DEP_2) | instskip(SKIP_1) | instid1(VALU_DEP_2)
	v_add_co_u32 v13, vcc_lo, 0x400, v11
	s_wait_alu 0xfffd
	v_add_co_ci_u32_e64 v14, null, 0, v14, vcc_lo
.LBB104_35:                             ; =>This Inner Loop Header: Depth=1
	s_clause 0x3
	global_load_b64 v[23:24], v[13:14], off offset:-1024
	global_load_b64 v[48:49], v[13:14], off offset:-512
	global_load_b64 v[50:51], v[13:14], off
	global_load_b64 v[52:53], v[13:14], off offset:512
	s_clause 0x6
	global_load_b128 v[15:18], v[9:10], off
	global_load_b128 v[19:22], v[9:10], off offset:16
	global_load_b128 v[28:31], v[9:10], off offset:2048
	;; [unrolled: 1-line block ×6, first 2 shown]
	s_wait_loadcnt 0xa
	v_sub_co_u32 v23, vcc_lo, v23, v1
	s_wait_alu 0xfffd
	v_sub_co_ci_u32_e64 v24, null, v24, v2, vcc_lo
	s_wait_loadcnt 0x9
	v_sub_co_u32 v48, vcc_lo, v48, v1
	s_wait_alu 0xfffd
	v_sub_co_ci_u32_e64 v49, null, v49, v2, vcc_lo
	v_lshlrev_b64_e32 v[23:24], 3, v[23:24]
	s_wait_loadcnt 0x8
	v_sub_co_u32 v50, vcc_lo, v50, v1
	s_delay_alu instid0(VALU_DEP_3)
	v_lshlrev_b64_e32 v[48:49], 3, v[48:49]
	s_wait_alu 0xfffd
	v_sub_co_ci_u32_e64 v51, null, v51, v2, vcc_lo
	s_wait_kmcnt 0x0
	v_add_co_u32 v23, s2, s4, v23
	s_wait_alu 0xf1ff
	v_add_co_ci_u32_e64 v24, null, s5, v24, s2
	v_add_co_u32 v48, vcc_lo, s4, v48
	s_wait_alu 0xfffd
	v_add_co_ci_u32_e64 v49, null, s5, v49, vcc_lo
	s_clause 0x1
	global_load_b64 v[23:24], v[23:24], off
	global_load_b64 v[54:55], v[48:49], off
	v_lshlrev_b64_e32 v[49:50], 3, v[50:51]
	s_wait_loadcnt 0x9
	v_sub_co_u32 v48, vcc_lo, v52, v1
	s_delay_alu instid0(VALU_DEP_2) | instskip(SKIP_1) | instid1(VALU_DEP_3)
	v_add_co_u32 v49, s2, s4, v49
	s_wait_alu 0xf1ff
	v_add_co_ci_u32_e64 v50, null, s5, v50, s2
	global_load_b64 v[56:57], v[49:50], off
	s_wait_alu 0xfffd
	v_sub_co_ci_u32_e64 v49, null, v53, v2, vcc_lo
	s_delay_alu instid0(VALU_DEP_1) | instskip(NEXT) | instid1(VALU_DEP_1)
	v_lshlrev_b64_e32 v[48:49], 3, v[48:49]
	v_add_co_u32 v48, vcc_lo, s4, v48
	s_wait_alu 0xfffd
	s_delay_alu instid0(VALU_DEP_2)
	v_add_co_ci_u32_e64 v49, null, s5, v49, vcc_lo
	global_load_b64 v[52:53], v[48:49], off
	global_load_b128 v[48:51], v[9:10], off offset:6160
	v_add_co_u32 v9, vcc_lo, 0x2000, v9
	s_wait_alu 0xfffd
	v_add_co_ci_u32_e64 v10, null, 0, v10, vcc_lo
	v_add_co_u32 v5, vcc_lo, 0x100, v5
	s_wait_alu 0xfffd
	v_add_co_ci_u32_e64 v6, null, 0, v6, vcc_lo
	;; [unrolled: 3-line block ×3, first 2 shown]
	s_delay_alu instid0(VALU_DEP_3)
	v_cmp_ge_i64_e32 vcc_lo, v[5:6], v[7:8]
	s_wait_alu 0xfffe
	s_or_b32 s7, vcc_lo, s7
	s_wait_loadcnt 0x4
	v_fma_mix_f32 v11, v15, v23, v12 op_sel_hi:[1,1,0]
	v_fma_mix_f32 v12, v15, v23, v27 op_sel:[1,0,0] op_sel_hi:[1,1,0]
	v_fma_mix_f32 v15, v16, v23, v26 op_sel_hi:[1,1,0]
	v_fma_mix_f32 v16, v16, v23, v25 op_sel:[1,0,0] op_sel_hi:[1,1,0]
	s_delay_alu instid0(VALU_DEP_4) | instskip(NEXT) | instid1(VALU_DEP_4)
	v_fma_mix_f32 v11, v17, v23, v11 op_sel:[0,1,0] op_sel_hi:[1,1,0]
	v_fma_mix_f32 v12, v17, v23, v12 op_sel:[1,1,0] op_sel_hi:[1,1,0]
	s_delay_alu instid0(VALU_DEP_4) | instskip(NEXT) | instid1(VALU_DEP_4)
	v_fma_mix_f32 v15, v18, v23, v15 op_sel:[0,1,0] op_sel_hi:[1,1,0]
	v_fma_mix_f32 v16, v18, v23, v16 op_sel:[1,1,0] op_sel_hi:[1,1,0]
	s_delay_alu instid0(VALU_DEP_4) | instskip(NEXT) | instid1(VALU_DEP_4)
	v_fma_mix_f32 v11, v19, v24, v11 op_sel_hi:[1,1,0]
	v_fma_mix_f32 v12, v19, v24, v12 op_sel:[1,0,0] op_sel_hi:[1,1,0]
	s_delay_alu instid0(VALU_DEP_4) | instskip(NEXT) | instid1(VALU_DEP_4)
	v_fma_mix_f32 v15, v20, v24, v15 op_sel_hi:[1,1,0]
	v_fma_mix_f32 v16, v20, v24, v16 op_sel:[1,0,0] op_sel_hi:[1,1,0]
	s_delay_alu instid0(VALU_DEP_4) | instskip(NEXT) | instid1(VALU_DEP_4)
	v_fma_mix_f32 v11, v21, v24, v11 op_sel:[0,1,0] op_sel_hi:[1,1,0]
	v_fma_mix_f32 v12, v21, v24, v12 op_sel:[1,1,0] op_sel_hi:[1,1,0]
	s_delay_alu instid0(VALU_DEP_4) | instskip(NEXT) | instid1(VALU_DEP_4)
	v_fma_mix_f32 v15, v22, v24, v15 op_sel:[0,1,0] op_sel_hi:[1,1,0]
	v_fma_mix_f32 v16, v22, v24, v16 op_sel:[1,1,0] op_sel_hi:[1,1,0]
	s_wait_loadcnt 0x3
	v_fma_mix_f32 v11, v28, v54, v11 op_sel_hi:[1,1,0]
	v_fma_mix_f32 v12, v28, v54, v12 op_sel:[1,0,0] op_sel_hi:[1,1,0]
	v_fma_mix_f32 v15, v29, v54, v15 op_sel_hi:[1,1,0]
	v_fma_mix_f32 v16, v29, v54, v16 op_sel:[1,0,0] op_sel_hi:[1,1,0]
	s_delay_alu instid0(VALU_DEP_4) | instskip(NEXT) | instid1(VALU_DEP_4)
	v_fma_mix_f32 v11, v30, v54, v11 op_sel:[0,1,0] op_sel_hi:[1,1,0]
	v_fma_mix_f32 v12, v30, v54, v12 op_sel:[1,1,0] op_sel_hi:[1,1,0]
	s_delay_alu instid0(VALU_DEP_4) | instskip(NEXT) | instid1(VALU_DEP_4)
	v_fma_mix_f32 v15, v31, v54, v15 op_sel:[0,1,0] op_sel_hi:[1,1,0]
	v_fma_mix_f32 v16, v31, v54, v16 op_sel:[1,1,0] op_sel_hi:[1,1,0]
	s_delay_alu instid0(VALU_DEP_4) | instskip(NEXT) | instid1(VALU_DEP_4)
	v_fma_mix_f32 v11, v32, v55, v11 op_sel_hi:[1,1,0]
	v_fma_mix_f32 v12, v32, v55, v12 op_sel:[1,0,0] op_sel_hi:[1,1,0]
	s_delay_alu instid0(VALU_DEP_4) | instskip(NEXT) | instid1(VALU_DEP_4)
	v_fma_mix_f32 v15, v33, v55, v15 op_sel_hi:[1,1,0]
	v_fma_mix_f32 v16, v33, v55, v16 op_sel:[1,0,0] op_sel_hi:[1,1,0]
	s_delay_alu instid0(VALU_DEP_4) | instskip(NEXT) | instid1(VALU_DEP_4)
	v_fma_mix_f32 v11, v34, v55, v11 op_sel:[0,1,0] op_sel_hi:[1,1,0]
	v_fma_mix_f32 v12, v34, v55, v12 op_sel:[1,1,0] op_sel_hi:[1,1,0]
	s_delay_alu instid0(VALU_DEP_4) | instskip(NEXT) | instid1(VALU_DEP_4)
	v_fma_mix_f32 v15, v35, v55, v15 op_sel:[0,1,0] op_sel_hi:[1,1,0]
	v_fma_mix_f32 v16, v35, v55, v16 op_sel:[1,1,0] op_sel_hi:[1,1,0]
	;; [unrolled: 23-line block ×3, first 2 shown]
	s_wait_loadcnt 0x1
	v_fma_mix_f32 v11, v44, v52, v11 op_sel_hi:[1,1,0]
	v_fma_mix_f32 v12, v44, v52, v12 op_sel:[1,0,0] op_sel_hi:[1,1,0]
	v_fma_mix_f32 v15, v45, v52, v15 op_sel_hi:[1,1,0]
	v_fma_mix_f32 v16, v45, v52, v16 op_sel:[1,0,0] op_sel_hi:[1,1,0]
	s_delay_alu instid0(VALU_DEP_4) | instskip(NEXT) | instid1(VALU_DEP_4)
	v_fma_mix_f32 v11, v46, v52, v11 op_sel:[0,1,0] op_sel_hi:[1,1,0]
	v_fma_mix_f32 v12, v46, v52, v12 op_sel:[1,1,0] op_sel_hi:[1,1,0]
	s_delay_alu instid0(VALU_DEP_4) | instskip(NEXT) | instid1(VALU_DEP_4)
	v_fma_mix_f32 v15, v47, v52, v15 op_sel:[0,1,0] op_sel_hi:[1,1,0]
	v_fma_mix_f32 v16, v47, v52, v16 op_sel:[1,1,0] op_sel_hi:[1,1,0]
	s_wait_loadcnt 0x0
	v_fma_mix_f32 v11, v48, v53, v11 op_sel_hi:[1,1,0]
	v_fma_mix_f32 v17, v48, v53, v12 op_sel:[1,0,0] op_sel_hi:[1,1,0]
	v_fma_mix_f32 v15, v49, v53, v15 op_sel_hi:[1,1,0]
	v_fma_mix_f32 v16, v49, v53, v16 op_sel:[1,0,0] op_sel_hi:[1,1,0]
	s_delay_alu instid0(VALU_DEP_4) | instskip(NEXT) | instid1(VALU_DEP_4)
	v_fma_mix_f32 v12, v50, v53, v11 op_sel:[0,1,0] op_sel_hi:[1,1,0]
	v_fma_mix_f32 v27, v50, v53, v17 op_sel:[1,1,0] op_sel_hi:[1,1,0]
	s_delay_alu instid0(VALU_DEP_4) | instskip(NEXT) | instid1(VALU_DEP_4)
	v_fma_mix_f32 v26, v51, v53, v15 op_sel:[0,1,0] op_sel_hi:[1,1,0]
	v_fma_mix_f32 v25, v51, v53, v16 op_sel:[1,1,0] op_sel_hi:[1,1,0]
	s_wait_alu 0xfffe
	s_and_not1_b32 exec_lo, exec_lo, s7
	s_cbranch_execnz .LBB104_35
; %bb.36:
	s_or_b32 exec_lo, exec_lo, s7
.LBB104_37:
	s_wait_alu 0xfffe
	s_or_b32 exec_lo, exec_lo, s6
.LBB104_38:
	s_wait_alu 0xfffe
	s_or_b32 exec_lo, exec_lo, s3
.LBB104_39:
	v_mbcnt_lo_u32_b32 v1, -1, 0
	s_mov_b32 s2, -1
	s_delay_alu instid0(VALU_DEP_1) | instskip(SKIP_1) | instid1(VALU_DEP_2)
	v_or_b32_e32 v2, 32, v1
	v_xor_b32_e32 v8, 16, v1
	v_cmp_gt_i32_e32 vcc_lo, 32, v2
	s_wait_alu 0xfffd
	v_cndmask_b32_e32 v2, v1, v2, vcc_lo
	s_delay_alu instid0(VALU_DEP_3) | instskip(NEXT) | instid1(VALU_DEP_2)
	v_cmp_gt_i32_e32 vcc_lo, 32, v8
	v_lshlrev_b32_e32 v2, 2, v2
	ds_bpermute_b32 v7, v2, v26
	s_wait_dscnt 0x0
	v_add_f32_e32 v7, v26, v7
	ds_bpermute_b32 v5, v2, v12
	s_wait_alu 0xfffd
	v_cndmask_b32_e32 v8, v1, v8, vcc_lo
	ds_bpermute_b32 v6, v2, v27
	ds_bpermute_b32 v2, v2, v25
	s_wait_dscnt 0x2
	v_dual_add_f32 v5, v12, v5 :: v_dual_lshlrev_b32 v8, 2, v8
	v_xor_b32_e32 v12, 8, v1
	s_wait_dscnt 0x0
	v_add_f32_e32 v2, v25, v2
	ds_bpermute_b32 v9, v8, v5
	v_cmp_gt_i32_e32 vcc_lo, 32, v12
	s_wait_dscnt 0x0
	v_add_f32_e32 v5, v5, v9
	ds_bpermute_b32 v11, v8, v7
	v_add_f32_e32 v6, v27, v6
	ds_bpermute_b32 v10, v8, v6
	ds_bpermute_b32 v8, v8, v2
	s_wait_dscnt 0x2
	s_wait_alu 0xfffd
	v_dual_add_f32 v7, v7, v11 :: v_dual_cndmask_b32 v12, v1, v12
	s_delay_alu instid0(VALU_DEP_1)
	v_lshlrev_b32_e32 v12, 2, v12
	s_wait_dscnt 0x0
	v_add_f32_e32 v2, v2, v8
	ds_bpermute_b32 v8, v12, v5
	ds_bpermute_b32 v11, v12, v2
	s_wait_dscnt 0x1
	v_dual_add_f32 v5, v5, v8 :: v_dual_add_f32 v6, v6, v10
	ds_bpermute_b32 v10, v12, v7
	s_wait_dscnt 0x1
	v_add_f32_e32 v2, v2, v11
	ds_bpermute_b32 v9, v12, v6
	v_xor_b32_e32 v12, 4, v1
	s_delay_alu instid0(VALU_DEP_1) | instskip(SKIP_3) | instid1(VALU_DEP_1)
	v_cmp_gt_i32_e32 vcc_lo, 32, v12
	s_wait_alu 0xfffd
	v_cndmask_b32_e32 v12, v1, v12, vcc_lo
	s_wait_dscnt 0x1
	v_dual_add_f32 v7, v7, v10 :: v_dual_lshlrev_b32 v12, 2, v12
	ds_bpermute_b32 v8, v12, v5
	ds_bpermute_b32 v10, v12, v7
	;; [unrolled: 1-line block ×3, first 2 shown]
	s_wait_dscnt 0x2
	v_dual_add_f32 v5, v5, v8 :: v_dual_add_f32 v6, v6, v9
	s_wait_dscnt 0x0
	v_dual_add_f32 v7, v7, v10 :: v_dual_add_f32 v8, v2, v11
	ds_bpermute_b32 v9, v12, v6
	v_xor_b32_e32 v12, 2, v1
	s_delay_alu instid0(VALU_DEP_1) | instskip(SKIP_2) | instid1(VALU_DEP_1)
	v_cmp_gt_i32_e32 vcc_lo, 32, v12
	s_wait_alu 0xfffd
	v_cndmask_b32_e32 v12, v1, v12, vcc_lo
	v_lshlrev_b32_e32 v12, 2, v12
	s_wait_dscnt 0x0
	v_add_f32_e32 v6, v6, v9
	ds_bpermute_b32 v2, v12, v5
	ds_bpermute_b32 v10, v12, v7
	;; [unrolled: 1-line block ×4, first 2 shown]
	v_xor_b32_e32 v12, 1, v1
	s_delay_alu instid0(VALU_DEP_1) | instskip(SKIP_4) | instid1(VALU_DEP_2)
	v_cmp_gt_i32_e32 vcc_lo, 32, v12
	s_wait_alu 0xfffd
	v_cndmask_b32_e32 v1, v1, v12, vcc_lo
	v_cmp_eq_u32_e32 vcc_lo, 63, v0
	s_wait_dscnt 0x3
	v_dual_add_f32 v1, v5, v2 :: v_dual_lshlrev_b32 v12, 2, v1
	s_wait_dscnt 0x0
	v_dual_add_f32 v5, v7, v10 :: v_dual_add_f32 v2, v6, v9
	v_add_f32_e32 v6, v8, v11
	ds_bpermute_b32 v7, v12, v1
	ds_bpermute_b32 v9, v12, v5
	;; [unrolled: 1-line block ×4, first 2 shown]
	s_and_b32 exec_lo, exec_lo, vcc_lo
	s_cbranch_execz .LBB104_10
; %bb.40:
	s_load_b64 s[0:1], s[0:1], 0x58
	s_wait_dscnt 0x1
	v_dual_add_f32 v0, v1, v7 :: v_dual_add_f32 v1, v2, v8
	s_wait_dscnt 0x0
	v_add_f32_e32 v6, v6, v10
	s_cmp_eq_f32 s16, 0
	s_delay_alu instid0(VALU_DEP_2) | instskip(SKIP_3) | instid1(VALU_DEP_3)
	v_dual_mul_f32 v0, s12, v0 :: v_dual_mul_f32 v1, s12, v1
	v_add_f32_e32 v2, v5, v9
	v_lshlrev_b64_e32 v[4:5], 4, v[3:4]
	v_mul_f32_e32 v3, s12, v6
	v_mul_f32_e32 v2, s12, v2
	s_cbranch_scc0 .LBB104_42
; %bb.41:
	s_wait_kmcnt 0x0
	s_delay_alu instid0(VALU_DEP_3)
	v_add_co_u32 v6, vcc_lo, s0, v4
	s_wait_alu 0xfffd
	v_add_co_ci_u32_e64 v7, null, s1, v5, vcc_lo
	s_mov_b32 s2, 0
	global_store_b128 v[6:7], v[0:3], off
.LBB104_42:
	s_wait_alu 0xfffe
	s_and_not1_b32 vcc_lo, exec_lo, s2
	s_wait_alu 0xfffe
	s_cbranch_vccnz .LBB104_10
; %bb.43:
	s_wait_kmcnt 0x0
	v_add_co_u32 v8, vcc_lo, s0, v4
	s_wait_alu 0xfffd
	v_add_co_ci_u32_e64 v9, null, s1, v5, vcc_lo
	global_load_b128 v[4:7], v[8:9], off
	s_wait_loadcnt 0x0
	v_dual_fmac_f32 v0, s16, v4 :: v_dual_fmac_f32 v1, s16, v5
	v_dual_fmac_f32 v2, s16, v6 :: v_dual_fmac_f32 v3, s16, v7
	global_store_b128 v[8:9], v[0:3], off
	s_endpgm
	.section	.rodata,"a",@progbits
	.p2align	6, 0x0
	.amdhsa_kernel _ZN9rocsparseL18bsrxmvn_4x4_kernelILj128ELj64EfllDF16_DF16_fEEvT3_20rocsparse_direction_NS_24const_host_device_scalarIT1_EES1_PKS1_PKT2_SA_S7_PKT4_PKT5_S5_PT6_21rocsparse_index_base_b
		.amdhsa_group_segment_fixed_size 0
		.amdhsa_private_segment_fixed_size 0
		.amdhsa_kernarg_size 104
		.amdhsa_user_sgpr_count 2
		.amdhsa_user_sgpr_dispatch_ptr 0
		.amdhsa_user_sgpr_queue_ptr 0
		.amdhsa_user_sgpr_kernarg_segment_ptr 1
		.amdhsa_user_sgpr_dispatch_id 0
		.amdhsa_user_sgpr_private_segment_size 0
		.amdhsa_wavefront_size32 1
		.amdhsa_uses_dynamic_stack 0
		.amdhsa_enable_private_segment 0
		.amdhsa_system_sgpr_workgroup_id_x 1
		.amdhsa_system_sgpr_workgroup_id_y 0
		.amdhsa_system_sgpr_workgroup_id_z 0
		.amdhsa_system_sgpr_workgroup_info 0
		.amdhsa_system_vgpr_workitem_id 0
		.amdhsa_next_free_vgpr 64
		.amdhsa_next_free_sgpr 18
		.amdhsa_reserve_vcc 1
		.amdhsa_float_round_mode_32 0
		.amdhsa_float_round_mode_16_64 0
		.amdhsa_float_denorm_mode_32 3
		.amdhsa_float_denorm_mode_16_64 3
		.amdhsa_fp16_overflow 0
		.amdhsa_workgroup_processor_mode 1
		.amdhsa_memory_ordered 1
		.amdhsa_forward_progress 1
		.amdhsa_inst_pref_size 41
		.amdhsa_round_robin_scheduling 0
		.amdhsa_exception_fp_ieee_invalid_op 0
		.amdhsa_exception_fp_denorm_src 0
		.amdhsa_exception_fp_ieee_div_zero 0
		.amdhsa_exception_fp_ieee_overflow 0
		.amdhsa_exception_fp_ieee_underflow 0
		.amdhsa_exception_fp_ieee_inexact 0
		.amdhsa_exception_int_div_zero 0
	.end_amdhsa_kernel
	.section	.text._ZN9rocsparseL18bsrxmvn_4x4_kernelILj128ELj64EfllDF16_DF16_fEEvT3_20rocsparse_direction_NS_24const_host_device_scalarIT1_EES1_PKS1_PKT2_SA_S7_PKT4_PKT5_S5_PT6_21rocsparse_index_base_b,"axG",@progbits,_ZN9rocsparseL18bsrxmvn_4x4_kernelILj128ELj64EfllDF16_DF16_fEEvT3_20rocsparse_direction_NS_24const_host_device_scalarIT1_EES1_PKS1_PKT2_SA_S7_PKT4_PKT5_S5_PT6_21rocsparse_index_base_b,comdat
.Lfunc_end104:
	.size	_ZN9rocsparseL18bsrxmvn_4x4_kernelILj128ELj64EfllDF16_DF16_fEEvT3_20rocsparse_direction_NS_24const_host_device_scalarIT1_EES1_PKS1_PKT2_SA_S7_PKT4_PKT5_S5_PT6_21rocsparse_index_base_b, .Lfunc_end104-_ZN9rocsparseL18bsrxmvn_4x4_kernelILj128ELj64EfllDF16_DF16_fEEvT3_20rocsparse_direction_NS_24const_host_device_scalarIT1_EES1_PKS1_PKT2_SA_S7_PKT4_PKT5_S5_PT6_21rocsparse_index_base_b
                                        ; -- End function
	.set _ZN9rocsparseL18bsrxmvn_4x4_kernelILj128ELj64EfllDF16_DF16_fEEvT3_20rocsparse_direction_NS_24const_host_device_scalarIT1_EES1_PKS1_PKT2_SA_S7_PKT4_PKT5_S5_PT6_21rocsparse_index_base_b.num_vgpr, 64
	.set _ZN9rocsparseL18bsrxmvn_4x4_kernelILj128ELj64EfllDF16_DF16_fEEvT3_20rocsparse_direction_NS_24const_host_device_scalarIT1_EES1_PKS1_PKT2_SA_S7_PKT4_PKT5_S5_PT6_21rocsparse_index_base_b.num_agpr, 0
	.set _ZN9rocsparseL18bsrxmvn_4x4_kernelILj128ELj64EfllDF16_DF16_fEEvT3_20rocsparse_direction_NS_24const_host_device_scalarIT1_EES1_PKS1_PKT2_SA_S7_PKT4_PKT5_S5_PT6_21rocsparse_index_base_b.numbered_sgpr, 18
	.set _ZN9rocsparseL18bsrxmvn_4x4_kernelILj128ELj64EfllDF16_DF16_fEEvT3_20rocsparse_direction_NS_24const_host_device_scalarIT1_EES1_PKS1_PKT2_SA_S7_PKT4_PKT5_S5_PT6_21rocsparse_index_base_b.num_named_barrier, 0
	.set _ZN9rocsparseL18bsrxmvn_4x4_kernelILj128ELj64EfllDF16_DF16_fEEvT3_20rocsparse_direction_NS_24const_host_device_scalarIT1_EES1_PKS1_PKT2_SA_S7_PKT4_PKT5_S5_PT6_21rocsparse_index_base_b.private_seg_size, 0
	.set _ZN9rocsparseL18bsrxmvn_4x4_kernelILj128ELj64EfllDF16_DF16_fEEvT3_20rocsparse_direction_NS_24const_host_device_scalarIT1_EES1_PKS1_PKT2_SA_S7_PKT4_PKT5_S5_PT6_21rocsparse_index_base_b.uses_vcc, 1
	.set _ZN9rocsparseL18bsrxmvn_4x4_kernelILj128ELj64EfllDF16_DF16_fEEvT3_20rocsparse_direction_NS_24const_host_device_scalarIT1_EES1_PKS1_PKT2_SA_S7_PKT4_PKT5_S5_PT6_21rocsparse_index_base_b.uses_flat_scratch, 0
	.set _ZN9rocsparseL18bsrxmvn_4x4_kernelILj128ELj64EfllDF16_DF16_fEEvT3_20rocsparse_direction_NS_24const_host_device_scalarIT1_EES1_PKS1_PKT2_SA_S7_PKT4_PKT5_S5_PT6_21rocsparse_index_base_b.has_dyn_sized_stack, 0
	.set _ZN9rocsparseL18bsrxmvn_4x4_kernelILj128ELj64EfllDF16_DF16_fEEvT3_20rocsparse_direction_NS_24const_host_device_scalarIT1_EES1_PKS1_PKT2_SA_S7_PKT4_PKT5_S5_PT6_21rocsparse_index_base_b.has_recursion, 0
	.set _ZN9rocsparseL18bsrxmvn_4x4_kernelILj128ELj64EfllDF16_DF16_fEEvT3_20rocsparse_direction_NS_24const_host_device_scalarIT1_EES1_PKS1_PKT2_SA_S7_PKT4_PKT5_S5_PT6_21rocsparse_index_base_b.has_indirect_call, 0
	.section	.AMDGPU.csdata,"",@progbits
; Kernel info:
; codeLenInByte = 5188
; TotalNumSgprs: 20
; NumVgprs: 64
; ScratchSize: 0
; MemoryBound: 0
; FloatMode: 240
; IeeeMode: 1
; LDSByteSize: 0 bytes/workgroup (compile time only)
; SGPRBlocks: 0
; VGPRBlocks: 7
; NumSGPRsForWavesPerEU: 20
; NumVGPRsForWavesPerEU: 64
; Occupancy: 16
; WaveLimiterHint : 1
; COMPUTE_PGM_RSRC2:SCRATCH_EN: 0
; COMPUTE_PGM_RSRC2:USER_SGPR: 2
; COMPUTE_PGM_RSRC2:TRAP_HANDLER: 0
; COMPUTE_PGM_RSRC2:TGID_X_EN: 1
; COMPUTE_PGM_RSRC2:TGID_Y_EN: 0
; COMPUTE_PGM_RSRC2:TGID_Z_EN: 0
; COMPUTE_PGM_RSRC2:TIDIG_COMP_CNT: 0
	.section	.text._ZN9rocsparseL18bsrxmvn_4x4_kernelILj128ELj4Efii18rocsparse_bfloat16S1_fEEvT3_20rocsparse_direction_NS_24const_host_device_scalarIT1_EES2_PKS2_PKT2_SB_S8_PKT4_PKT5_S6_PT6_21rocsparse_index_base_b,"axG",@progbits,_ZN9rocsparseL18bsrxmvn_4x4_kernelILj128ELj4Efii18rocsparse_bfloat16S1_fEEvT3_20rocsparse_direction_NS_24const_host_device_scalarIT1_EES2_PKS2_PKT2_SB_S8_PKT4_PKT5_S6_PT6_21rocsparse_index_base_b,comdat
	.globl	_ZN9rocsparseL18bsrxmvn_4x4_kernelILj128ELj4Efii18rocsparse_bfloat16S1_fEEvT3_20rocsparse_direction_NS_24const_host_device_scalarIT1_EES2_PKS2_PKT2_SB_S8_PKT4_PKT5_S6_PT6_21rocsparse_index_base_b ; -- Begin function _ZN9rocsparseL18bsrxmvn_4x4_kernelILj128ELj4Efii18rocsparse_bfloat16S1_fEEvT3_20rocsparse_direction_NS_24const_host_device_scalarIT1_EES2_PKS2_PKT2_SB_S8_PKT4_PKT5_S6_PT6_21rocsparse_index_base_b
	.p2align	8
	.type	_ZN9rocsparseL18bsrxmvn_4x4_kernelILj128ELj4Efii18rocsparse_bfloat16S1_fEEvT3_20rocsparse_direction_NS_24const_host_device_scalarIT1_EES2_PKS2_PKT2_SB_S8_PKT4_PKT5_S6_PT6_21rocsparse_index_base_b,@function
_ZN9rocsparseL18bsrxmvn_4x4_kernelILj128ELj4Efii18rocsparse_bfloat16S1_fEEvT3_20rocsparse_direction_NS_24const_host_device_scalarIT1_EES2_PKS2_PKT2_SB_S8_PKT4_PKT5_S6_PT6_21rocsparse_index_base_b: ; @_ZN9rocsparseL18bsrxmvn_4x4_kernelILj128ELj4Efii18rocsparse_bfloat16S1_fEEvT3_20rocsparse_direction_NS_24const_host_device_scalarIT1_EES2_PKS2_PKT2_SB_S8_PKT4_PKT5_S6_PT6_21rocsparse_index_base_b
; %bb.0:
	s_clause 0x2
	s_load_b64 s[16:17], s[0:1], 0x58
	s_load_b64 s[14:15], s[0:1], 0x8
	;; [unrolled: 1-line block ×3, first 2 shown]
	s_wait_kmcnt 0x0
	s_bitcmp1_b32 s17, 0
	s_cselect_b32 s2, -1, 0
	s_delay_alu instid0(SALU_CYCLE_1)
	s_and_b32 vcc_lo, exec_lo, s2
	s_xor_b32 s2, s2, -1
	s_cbranch_vccnz .LBB105_2
; %bb.1:
	s_load_b32 s14, s[14:15], 0x0
.LBB105_2:
	s_and_not1_b32 vcc_lo, exec_lo, s2
	s_cbranch_vccnz .LBB105_4
; %bb.3:
	s_load_b32 s12, s[12:13], 0x0
.LBB105_4:
	s_wait_kmcnt 0x0
	s_cmp_neq_f32 s14, 0
	s_mov_b32 s6, 0
	s_cselect_b32 s2, -1, 0
	s_cmp_neq_f32 s12, 1.0
	s_cselect_b32 s3, -1, 0
	s_delay_alu instid0(SALU_CYCLE_1) | instskip(NEXT) | instid1(SALU_CYCLE_1)
	s_or_b32 s2, s2, s3
	s_and_not1_b32 vcc_lo, exec_lo, s2
	s_cbranch_vccnz .LBB105_10
; %bb.5:
	s_clause 0x1
	s_load_b64 s[4:5], s[0:1], 0x18
	s_load_b64 s[2:3], s[0:1], 0x0
	v_lshrrev_b32_e32 v1, 2, v0
	s_delay_alu instid0(VALU_DEP_1)
	v_lshl_or_b32 v4, ttmp9, 5, v1
	s_wait_kmcnt 0x0
	s_cmp_lg_u64 s[4:5], 0
	s_cbranch_scc0 .LBB105_11
; %bb.6:
	s_load_b32 s6, s[0:1], 0x10
	s_mov_b32 s7, 0
                                        ; implicit-def: $vgpr1
	s_wait_kmcnt 0x0
	v_cmp_gt_i32_e32 vcc_lo, s6, v4
	s_mov_b32 s6, 0
	s_and_saveexec_b32 s8, vcc_lo
	s_delay_alu instid0(SALU_CYCLE_1)
	s_xor_b32 s8, exec_lo, s8
	s_cbranch_execz .LBB105_8
; %bb.7:
	v_ashrrev_i32_e32 v5, 31, v4
	s_mov_b32 s6, exec_lo
	s_delay_alu instid0(VALU_DEP_1) | instskip(NEXT) | instid1(VALU_DEP_1)
	v_lshlrev_b64_e32 v[1:2], 2, v[4:5]
	v_add_co_u32 v1, vcc_lo, s4, v1
	s_delay_alu instid0(VALU_DEP_1)
	v_add_co_ci_u32_e64 v2, null, s5, v2, vcc_lo
	global_load_b32 v1, v[1:2], off
	s_wait_loadcnt 0x0
	v_subrev_nc_u32_e32 v1, s16, v1
.LBB105_8:
	s_or_b32 exec_lo, exec_lo, s8
	s_delay_alu instid0(SALU_CYCLE_1)
	s_and_b32 vcc_lo, exec_lo, s7
	s_wait_alu 0xfffe
	s_cbranch_vccz .LBB105_12
.LBB105_9:
	v_cmp_gt_i32_e32 vcc_lo, s2, v4
	s_and_not1_b32 s2, s6, exec_lo
	s_and_b32 s4, vcc_lo, exec_lo
	s_wait_alu 0xfffe
	s_or_b32 s6, s2, s4
	s_wait_alu 0xfffe
	s_and_saveexec_b32 s2, s6
	s_cbranch_execnz .LBB105_13
.LBB105_10:
	s_endpgm
.LBB105_11:
                                        ; implicit-def: $vgpr1
	s_cbranch_execnz .LBB105_9
.LBB105_12:
	v_mov_b32_e32 v4, v1
	s_and_saveexec_b32 s2, s6
	s_cbranch_execz .LBB105_10
.LBB105_13:
	s_load_b256 s[4:11], s[0:1], 0x20
	s_delay_alu instid0(VALU_DEP_1) | instskip(SKIP_1) | instid1(VALU_DEP_2)
	v_ashrrev_i32_e32 v5, 31, v4
	v_and_b32_e32 v9, 3, v0
	v_lshlrev_b64_e32 v[1:2], 2, v[4:5]
	s_wait_kmcnt 0x0
	s_delay_alu instid0(VALU_DEP_1) | instskip(SKIP_1) | instid1(VALU_DEP_2)
	v_add_co_u32 v5, vcc_lo, s4, v1
	s_wait_alu 0xfffd
	v_add_co_ci_u32_e64 v6, null, s5, v2, vcc_lo
	v_add_co_u32 v1, vcc_lo, s6, v1
	s_wait_alu 0xfffd
	v_add_co_ci_u32_e64 v2, null, s7, v2, vcc_lo
	global_load_b32 v15, v[5:6], off
	v_add_co_u32 v3, vcc_lo, v5, 4
	s_wait_alu 0xfffd
	v_add_co_ci_u32_e64 v5, null, 0, v6, vcc_lo
	s_cmp_eq_u64 s[6:7], 0
	s_load_b64 s[4:5], s[0:1], 0x40
	s_cselect_b32 vcc_lo, -1, 0
	s_cmp_eq_u32 s3, 1
	s_wait_alu 0xfffe
	v_dual_cndmask_b32 v2, v2, v5 :: v_dual_cndmask_b32 v1, v1, v3
	global_load_b32 v5, v[1:2], off
	s_wait_loadcnt 0x1
	v_subrev_nc_u32_e32 v0, s16, v15
	s_delay_alu instid0(VALU_DEP_1) | instskip(NEXT) | instid1(VALU_DEP_1)
	v_add_nc_u32_e32 v0, v0, v9
	v_ashrrev_i32_e32 v1, 31, v0
	s_wait_loadcnt 0x0
	v_subrev_nc_u32_e32 v10, s16, v5
	s_delay_alu instid0(VALU_DEP_2) | instskip(NEXT) | instid1(VALU_DEP_2)
	v_lshlrev_b64_e32 v[2:3], 5, v[0:1]
	v_cmp_lt_i32_e64 s2, v0, v10
	s_delay_alu instid0(VALU_DEP_2) | instskip(SKIP_1) | instid1(VALU_DEP_3)
	v_add_co_u32 v2, vcc_lo, s10, v2
	s_wait_alu 0xfffd
	v_add_co_ci_u32_e64 v3, null, s11, v3, vcc_lo
	s_cbranch_scc1 .LBB105_25
; %bb.14:
	v_dual_mov_b32 v11, 0 :: v_dual_mov_b32 v14, 0
	v_dual_mov_b32 v13, 0 :: v_dual_mov_b32 v12, 0
	s_and_saveexec_b32 s3, s2
	s_cbranch_execz .LBB105_24
; %bb.15:
	v_dual_mov_b32 v12, 0 :: v_dual_add_nc_u32 v1, v15, v9
	v_not_b32_e32 v5, v15
	v_dual_mov_b32 v11, 0 :: v_dual_mov_b32 v8, v3
	s_delay_alu instid0(VALU_DEP_3) | instskip(SKIP_3) | instid1(VALU_DEP_3)
	v_subrev_nc_u32_e32 v1, s16, v1
	v_mov_b32_e32 v7, v2
	s_mov_b32 s6, exec_lo
	v_dual_mov_b32 v14, 0 :: v_dual_mov_b32 v13, 0
	v_add_nc_u32_e32 v1, 4, v1
	s_delay_alu instid0(VALU_DEP_1) | instskip(NEXT) | instid1(VALU_DEP_1)
	v_max_i32_e32 v1, v1, v10
	v_add3_u32 v1, s16, v1, v5
	v_mov_b32_e32 v5, v0
	s_delay_alu instid0(VALU_DEP_2) | instskip(NEXT) | instid1(VALU_DEP_1)
	v_sub_nc_u32_e32 v1, v1, v9
	v_and_b32_e32 v6, 12, v1
	s_delay_alu instid0(VALU_DEP_1)
	v_cmpx_ne_u32_e32 12, v6
	s_cbranch_execz .LBB105_19
; %bb.16:
	v_lshrrev_b32_e32 v5, 2, v1
	v_mov_b32_e32 v13, 0
	s_mov_b32 s7, 0
	v_dual_mov_b32 v8, v3 :: v_dual_mov_b32 v7, v2
	s_delay_alu instid0(VALU_DEP_3) | instskip(SKIP_1) | instid1(VALU_DEP_2)
	v_dual_mov_b32 v14, 0 :: v_dual_add_nc_u32 v5, 1, v5
	v_dual_mov_b32 v11, 0 :: v_dual_mov_b32 v12, 0
	v_dual_mov_b32 v5, v0 :: v_dual_and_b32 v6, 3, v5
	s_delay_alu instid0(VALU_DEP_1)
	v_sub_nc_u32_e32 v16, 0, v6
.LBB105_17:                             ; =>This Inner Loop Header: Depth=1
	s_delay_alu instid0(VALU_DEP_2) | instskip(NEXT) | instid1(VALU_DEP_2)
	v_ashrrev_i32_e32 v6, 31, v5
	v_add_co_u32 v16, s10, v16, 1
	s_wait_alu 0xfffe
	s_or_b32 s7, s10, s7
	s_delay_alu instid0(VALU_DEP_2) | instskip(SKIP_1) | instid1(VALU_DEP_2)
	v_lshlrev_b64_e32 v[17:18], 2, v[5:6]
	v_add_nc_u32_e32 v5, 4, v5
	v_add_co_u32 v17, vcc_lo, s8, v17
	s_wait_alu 0xfffd
	s_delay_alu instid0(VALU_DEP_3) | instskip(SKIP_4) | instid1(VALU_DEP_1)
	v_add_co_ci_u32_e64 v18, null, s9, v18, vcc_lo
	global_load_b32 v6, v[17:18], off
	global_load_b128 v[17:20], v[7:8], off
	s_wait_loadcnt 0x1
	v_subrev_nc_u32_e32 v6, s16, v6
	v_lshlrev_b32_e32 v21, 2, v6
	s_delay_alu instid0(VALU_DEP_1) | instskip(NEXT) | instid1(VALU_DEP_1)
	v_ashrrev_i32_e32 v22, 31, v21
	v_lshlrev_b64_e32 v[21:22], 1, v[21:22]
	s_wait_kmcnt 0x0
	s_delay_alu instid0(VALU_DEP_1) | instskip(SKIP_1) | instid1(VALU_DEP_2)
	v_add_co_u32 v25, vcc_lo, s4, v21
	s_wait_alu 0xfffd
	v_add_co_ci_u32_e64 v26, null, s5, v22, vcc_lo
	global_load_b128 v[21:24], v[7:8], off offset:16
	global_load_b64 v[25:26], v[25:26], off
	v_add_co_u32 v7, vcc_lo, 0x80, v7
	s_wait_alu 0xfffd
	v_add_co_ci_u32_e64 v8, null, 0, v8, vcc_lo
	s_wait_loadcnt 0x1
	v_lshlrev_b32_e32 v31, 16, v22
	v_lshlrev_b32_e32 v30, 16, v21
	s_wait_loadcnt 0x0
	v_lshlrev_b32_e32 v34, 16, v25
	v_lshlrev_b32_e32 v6, 16, v17
	;; [unrolled: 1-line block ×3, first 2 shown]
	v_and_b32_e32 v25, 0xffff0000, v25
	s_delay_alu instid0(VALU_DEP_4) | instskip(NEXT) | instid1(VALU_DEP_4)
	v_fmac_f32_e32 v13, v30, v34
	v_dual_fmac_f32 v12, v6, v34 :: v_dual_and_b32 v17, 0xffff0000, v17
	v_lshlrev_b32_e32 v6, 16, v26
	v_lshlrev_b32_e32 v32, 16, v23
	;; [unrolled: 1-line block ×3, first 2 shown]
	s_delay_alu instid0(VALU_DEP_4) | instskip(NEXT) | instid1(VALU_DEP_3)
	v_dual_fmac_f32 v12, v17, v25 :: v_dual_and_b32 v17, 0xffff0000, v26
	v_fmac_f32_e32 v11, v32, v34
	s_delay_alu instid0(VALU_DEP_3) | instskip(NEXT) | instid1(VALU_DEP_1)
	v_dual_fmac_f32 v14, v28, v34 :: v_dual_and_b32 v19, 0xffff0000, v19
	v_dual_fmac_f32 v14, v19, v25 :: v_dual_lshlrev_b32 v27, 16, v18
	s_delay_alu instid0(VALU_DEP_1) | instskip(NEXT) | instid1(VALU_DEP_1)
	v_dual_fmac_f32 v12, v27, v6 :: v_dual_lshlrev_b32 v29, 16, v20
	v_dual_fmac_f32 v14, v29, v6 :: v_dual_and_b32 v21, 0xffff0000, v21
	v_and_b32_e32 v23, 0xffff0000, v23
	s_delay_alu instid0(VALU_DEP_2) | instskip(NEXT) | instid1(VALU_DEP_2)
	v_dual_fmac_f32 v13, v21, v25 :: v_dual_and_b32 v18, 0xffff0000, v18
	v_dual_fmac_f32 v11, v23, v25 :: v_dual_and_b32 v20, 0xffff0000, v20
	s_delay_alu instid0(VALU_DEP_2) | instskip(SKIP_1) | instid1(VALU_DEP_3)
	v_dual_fmac_f32 v12, v18, v17 :: v_dual_fmac_f32 v13, v31, v6
	v_and_b32_e32 v24, 0xffff0000, v24
	v_dual_fmac_f32 v14, v20, v17 :: v_dual_fmac_f32 v11, v33, v6
	s_delay_alu instid0(VALU_DEP_1) | instskip(NEXT) | instid1(VALU_DEP_1)
	v_dual_fmac_f32 v11, v24, v17 :: v_dual_and_b32 v22, 0xffff0000, v22
	v_fmac_f32_e32 v13, v22, v17
	s_wait_alu 0xfffe
	s_and_not1_b32 exec_lo, exec_lo, s7
	s_cbranch_execnz .LBB105_17
; %bb.18:
	s_or_b32 exec_lo, exec_lo, s7
.LBB105_19:
	s_wait_alu 0xfffe
	s_or_b32 exec_lo, exec_lo, s6
	s_delay_alu instid0(SALU_CYCLE_1)
	s_mov_b32 s6, exec_lo
	v_cmpx_lt_u32_e32 11, v1
	s_cbranch_execz .LBB105_23
; %bb.20:
	s_mov_b32 s7, 0
.LBB105_21:                             ; =>This Inner Loop Header: Depth=1
	v_ashrrev_i32_e32 v6, 31, v5
	s_delay_alu instid0(VALU_DEP_1) | instskip(NEXT) | instid1(VALU_DEP_1)
	v_lshlrev_b64_e32 v[16:17], 2, v[5:6]
	v_add_co_u32 v16, vcc_lo, s8, v16
	s_wait_alu 0xfffd
	s_delay_alu instid0(VALU_DEP_2)
	v_add_co_ci_u32_e64 v17, null, s9, v17, vcc_lo
	s_clause 0x3
	global_load_b32 v1, v[16:17], off
	global_load_b32 v6, v[16:17], off offset:16
	global_load_b32 v48, v[16:17], off offset:32
	;; [unrolled: 1-line block ×3, first 2 shown]
	s_clause 0x7
	global_load_b128 v[16:19], v[7:8], off
	global_load_b128 v[20:23], v[7:8], off offset:16
	global_load_b128 v[24:27], v[7:8], off offset:128
	;; [unrolled: 1-line block ×7, first 2 shown]
	s_wait_loadcnt 0xb
	v_subrev_nc_u32_e32 v1, s16, v1
	s_wait_loadcnt 0xa
	v_subrev_nc_u32_e32 v6, s16, v6
	;; [unrolled: 2-line block ×4, first 2 shown]
	s_wait_loadcnt 0x6
	v_lshlrev_b32_e32 v61, 16, v23
	v_lshlrev_b32_e32 v59, 16, v21
	s_wait_loadcnt 0x4
	v_lshlrev_b32_e32 v67, 16, v29
	v_and_b32_e32 v29, 0xffff0000, v29
	v_lshlrev_b32_e32 v66, 16, v28
	v_lshlrev_b32_e32 v69, 16, v31
	s_wait_loadcnt 0x2
	v_lshlrev_b32_e32 v75, 16, v37
	v_and_b32_e32 v37, 0xffff0000, v37
	;; [unrolled: 5-line block ×3, first 2 shown]
	v_lshlrev_b32_e32 v82, 16, v44
	v_lshlrev_b32_e32 v85, 16, v47
	v_and_b32_e32 v47, 0xffff0000, v47
	v_and_b32_e32 v44, 0xffff0000, v44
	v_lshlrev_b32_e32 v78, 16, v40
	v_and_b32_e32 v39, 0xffff0000, v39
	v_and_b32_e32 v36, 0xffff0000, v36
	;; [unrolled: 3-line block ×3, first 2 shown]
	v_lshlrev_b32_e32 v62, 16, v24
	v_and_b32_e32 v23, 0xffff0000, v23
	v_lshlrev_b32_e32 v58, 16, v20
	v_lshlrev_b32_e32 v48, 2, v1
	;; [unrolled: 1-line block ×3, first 2 shown]
	v_and_b32_e32 v20, 0xffff0000, v20
	v_lshlrev_b32_e32 v50, 2, v6
	v_lshlrev_b32_e32 v60, 16, v22
	v_ashrrev_i32_e32 v49, 31, v48
	v_lshlrev_b32_e32 v52, 2, v51
	v_and_b32_e32 v22, 0xffff0000, v22
	v_ashrrev_i32_e32 v51, 31, v50
	v_lshlrev_b32_e32 v54, 2, v53
	v_lshlrev_b64_e32 v[48:49], 1, v[48:49]
	v_ashrrev_i32_e32 v53, 31, v52
	v_lshlrev_b32_e32 v64, 16, v26
	v_lshlrev_b64_e32 v[50:51], 1, v[50:51]
	v_ashrrev_i32_e32 v55, 31, v54
	v_and_b32_e32 v30, 0xffff0000, v30
	s_wait_kmcnt 0x0
	v_add_co_u32 v48, vcc_lo, s4, v48
	s_wait_alu 0xfffd
	v_add_co_ci_u32_e64 v49, null, s5, v49, vcc_lo
	v_add_co_u32 v50, vcc_lo, s4, v50
	s_wait_alu 0xfffd
	v_add_co_ci_u32_e64 v51, null, s5, v51, vcc_lo
	global_load_b64 v[48:49], v[48:49], off
	v_lshlrev_b64_e32 v[52:53], 1, v[52:53]
	v_lshlrev_b64_e32 v[54:55], 1, v[54:55]
	global_load_b64 v[50:51], v[50:51], off
	v_lshlrev_b32_e32 v76, 16, v38
	v_and_b32_e32 v26, 0xffff0000, v26
	v_lshlrev_b32_e32 v72, 16, v34
	v_add_co_u32 v52, vcc_lo, s4, v52
	s_wait_alu 0xfffd
	v_add_co_ci_u32_e64 v53, null, s5, v53, vcc_lo
	v_add_co_u32 v54, vcc_lo, s4, v54
	s_wait_alu 0xfffd
	v_add_co_ci_u32_e64 v55, null, s5, v55, vcc_lo
	global_load_b64 v[52:53], v[52:53], off
	v_and_b32_e32 v38, 0xffff0000, v38
	v_lshlrev_b32_e32 v84, 16, v46
	global_load_b64 v[54:55], v[54:55], off
	v_and_b32_e32 v34, 0xffff0000, v34
	v_lshlrev_b32_e32 v80, 16, v42
	v_and_b32_e32 v46, 0xffff0000, v46
	v_and_b32_e32 v42, 0xffff0000, v42
	v_add_co_u32 v7, vcc_lo, 0x200, v7
	s_wait_alu 0xfffd
	v_add_co_ci_u32_e64 v8, null, 0, v8, vcc_lo
	s_wait_loadcnt 0x3
	v_lshlrev_b32_e32 v86, 16, v48
	s_delay_alu instid0(VALU_DEP_1) | instskip(SKIP_1) | instid1(VALU_DEP_2)
	v_dual_fmac_f32 v11, v60, v86 :: v_dual_and_b32 v48, 0xffff0000, v48
	v_fmac_f32_e32 v13, v58, v86
	v_dual_fmac_f32 v11, v22, v48 :: v_dual_lshlrev_b32 v56, 16, v18
	v_lshlrev_b32_e32 v1, 16, v16
	s_delay_alu instid0(VALU_DEP_3) | instskip(NEXT) | instid1(VALU_DEP_3)
	v_fmac_f32_e32 v13, v20, v48
	v_dual_fmac_f32 v14, v56, v86 :: v_dual_add_nc_u32 v5, 16, v5
	s_delay_alu instid0(VALU_DEP_3) | instskip(SKIP_1) | instid1(VALU_DEP_3)
	v_dual_fmac_f32 v12, v1, v86 :: v_dual_lshlrev_b32 v1, 16, v49
	v_and_b32_e32 v6, 0xffff0000, v16
	v_cmp_ge_i32_e32 vcc_lo, v5, v10
	s_delay_alu instid0(VALU_DEP_3) | instskip(NEXT) | instid1(VALU_DEP_3)
	v_fmac_f32_e32 v13, v59, v1
	v_dual_fmac_f32 v12, v6, v48 :: v_dual_lshlrev_b32 v57, 16, v19
	v_and_b32_e32 v6, 0xffff0000, v49
	v_and_b32_e32 v21, 0xffff0000, v21
	v_lshlrev_b32_e32 v16, 16, v17
	s_wait_alu 0xfffe
	s_or_b32 s7, vcc_lo, s7
	s_delay_alu instid0(VALU_DEP_2) | instskip(SKIP_3) | instid1(VALU_DEP_3)
	v_fmac_f32_e32 v13, v21, v6
	v_and_b32_e32 v18, 0xffff0000, v18
	v_and_b32_e32 v17, 0xffff0000, v17
	v_dual_fmac_f32 v12, v16, v1 :: v_dual_and_b32 v19, 0xffff0000, v19
	v_fmac_f32_e32 v14, v18, v48
	s_delay_alu instid0(VALU_DEP_2) | instskip(NEXT) | instid1(VALU_DEP_2)
	v_fmac_f32_e32 v12, v17, v6
	v_fmac_f32_e32 v14, v57, v1
	v_fmac_f32_e32 v11, v61, v1
	s_wait_loadcnt 0x2
	v_lshlrev_b32_e32 v1, 16, v50
	s_delay_alu instid0(VALU_DEP_3) | instskip(NEXT) | instid1(VALU_DEP_2)
	v_dual_fmac_f32 v14, v19, v6 :: v_dual_lshlrev_b32 v65, 16, v27
	v_dual_fmac_f32 v12, v62, v1 :: v_dual_fmac_f32 v11, v23, v6
	v_and_b32_e32 v6, 0xffff0000, v50
	s_delay_alu instid0(VALU_DEP_3) | instskip(SKIP_1) | instid1(VALU_DEP_4)
	v_fmac_f32_e32 v14, v64, v1
	v_fmac_f32_e32 v13, v66, v1
	v_dual_fmac_f32 v11, v68, v1 :: v_dual_and_b32 v24, 0xffff0000, v24
	s_delay_alu instid0(VALU_DEP_3) | instskip(NEXT) | instid1(VALU_DEP_3)
	v_dual_fmac_f32 v14, v26, v6 :: v_dual_lshlrev_b32 v1, 16, v51
	v_fmac_f32_e32 v13, v28, v6
	s_delay_alu instid0(VALU_DEP_3) | instskip(NEXT) | instid1(VALU_DEP_4)
	v_fmac_f32_e32 v11, v30, v6
	v_dual_fmac_f32 v12, v24, v6 :: v_dual_lshlrev_b32 v63, 16, v25
	v_and_b32_e32 v25, 0xffff0000, v25
	v_and_b32_e32 v27, 0xffff0000, v27
	;; [unrolled: 1-line block ×3, first 2 shown]
	v_fmac_f32_e32 v14, v65, v1
	v_fmac_f32_e32 v12, v63, v1
	s_delay_alu instid0(VALU_DEP_2) | instskip(NEXT) | instid1(VALU_DEP_2)
	v_dual_fmac_f32 v11, v69, v1 :: v_dual_fmac_f32 v14, v27, v6
	v_dual_fmac_f32 v12, v25, v6 :: v_dual_fmac_f32 v13, v67, v1
	s_wait_loadcnt 0x1
	v_lshlrev_b32_e32 v1, 16, v52
	v_lshlrev_b32_e32 v73, 16, v35
	s_delay_alu instid0(VALU_DEP_2) | instskip(SKIP_2) | instid1(VALU_DEP_3)
	v_dual_fmac_f32 v13, v29, v6 :: v_dual_fmac_f32 v12, v70, v1
	v_dual_fmac_f32 v11, v31, v6 :: v_dual_and_b32 v6, 0xffff0000, v52
	v_fmac_f32_e32 v14, v72, v1
	v_fmac_f32_e32 v13, v74, v1
	s_delay_alu instid0(VALU_DEP_3) | instskip(NEXT) | instid1(VALU_DEP_3)
	v_dual_fmac_f32 v11, v76, v1 :: v_dual_and_b32 v32, 0xffff0000, v32
	v_dual_fmac_f32 v14, v34, v6 :: v_dual_lshlrev_b32 v1, 16, v53
	s_delay_alu instid0(VALU_DEP_3) | instskip(NEXT) | instid1(VALU_DEP_3)
	v_fmac_f32_e32 v13, v36, v6
	v_fmac_f32_e32 v11, v38, v6
	s_delay_alu instid0(VALU_DEP_4)
	v_dual_fmac_f32 v12, v32, v6 :: v_dual_lshlrev_b32 v71, 16, v33
	v_and_b32_e32 v33, 0xffff0000, v33
	v_and_b32_e32 v35, 0xffff0000, v35
	;; [unrolled: 1-line block ×3, first 2 shown]
	v_fmac_f32_e32 v14, v73, v1
	v_fmac_f32_e32 v12, v71, v1
	s_delay_alu instid0(VALU_DEP_2) | instskip(NEXT) | instid1(VALU_DEP_2)
	v_dual_fmac_f32 v11, v77, v1 :: v_dual_fmac_f32 v14, v35, v6
	v_dual_fmac_f32 v12, v33, v6 :: v_dual_fmac_f32 v13, v75, v1
	s_wait_loadcnt 0x0
	v_lshlrev_b32_e32 v1, 16, v54
	v_lshlrev_b32_e32 v81, 16, v43
	s_delay_alu instid0(VALU_DEP_2) | instskip(SKIP_3) | instid1(VALU_DEP_4)
	v_dual_fmac_f32 v13, v37, v6 :: v_dual_fmac_f32 v12, v78, v1
	v_fmac_f32_e32 v11, v39, v6
	v_and_b32_e32 v6, 0xffff0000, v54
	v_fmac_f32_e32 v14, v80, v1
	v_fmac_f32_e32 v13, v82, v1
	s_delay_alu instid0(VALU_DEP_4) | instskip(NEXT) | instid1(VALU_DEP_3)
	v_dual_fmac_f32 v11, v84, v1 :: v_dual_and_b32 v40, 0xffff0000, v40
	v_dual_fmac_f32 v14, v42, v6 :: v_dual_lshlrev_b32 v1, 16, v55
	s_delay_alu instid0(VALU_DEP_3) | instskip(NEXT) | instid1(VALU_DEP_3)
	v_fmac_f32_e32 v13, v44, v6
	v_fmac_f32_e32 v11, v46, v6
	s_delay_alu instid0(VALU_DEP_4)
	v_dual_fmac_f32 v12, v40, v6 :: v_dual_lshlrev_b32 v79, 16, v41
	v_and_b32_e32 v41, 0xffff0000, v41
	v_and_b32_e32 v43, 0xffff0000, v43
	v_and_b32_e32 v6, 0xffff0000, v55
	v_fmac_f32_e32 v14, v81, v1
	v_fmac_f32_e32 v12, v79, v1
	s_delay_alu instid0(VALU_DEP_2) | instskip(NEXT) | instid1(VALU_DEP_2)
	v_dual_fmac_f32 v11, v85, v1 :: v_dual_fmac_f32 v14, v43, v6
	v_dual_fmac_f32 v12, v41, v6 :: v_dual_fmac_f32 v13, v83, v1
	s_delay_alu instid0(VALU_DEP_2) | instskip(NEXT) | instid1(VALU_DEP_2)
	v_fmac_f32_e32 v11, v47, v6
	v_fmac_f32_e32 v13, v45, v6
	s_wait_alu 0xfffe
	s_and_not1_b32 exec_lo, exec_lo, s7
	s_cbranch_execnz .LBB105_21
; %bb.22:
	s_or_b32 exec_lo, exec_lo, s7
.LBB105_23:
	s_wait_alu 0xfffe
	s_or_b32 exec_lo, exec_lo, s6
.LBB105_24:
	s_wait_alu 0xfffe
	s_or_b32 exec_lo, exec_lo, s3
	s_cbranch_execz .LBB105_26
	s_branch .LBB105_37
.LBB105_25:
                                        ; implicit-def: $vgpr11
                                        ; implicit-def: $vgpr13
                                        ; implicit-def: $vgpr14
                                        ; implicit-def: $vgpr12
.LBB105_26:
	v_dual_mov_b32 v11, 0 :: v_dual_mov_b32 v14, 0
	v_dual_mov_b32 v13, 0 :: v_dual_mov_b32 v12, 0
	s_and_saveexec_b32 s3, s2
	s_cbranch_execz .LBB105_36
; %bb.27:
	v_dual_mov_b32 v12, 0 :: v_dual_add_nc_u32 v1, v15, v9
	v_not_b32_e32 v5, v15
	v_mov_b32_e32 v13, 0
	v_mov_b32_e32 v11, 0
	s_delay_alu instid0(VALU_DEP_4) | instskip(SKIP_1) | instid1(VALU_DEP_1)
	v_subrev_nc_u32_e32 v1, s16, v1
	s_mov_b32 s2, exec_lo
	v_dual_mov_b32 v14, 0 :: v_dual_add_nc_u32 v1, 4, v1
	s_delay_alu instid0(VALU_DEP_1) | instskip(NEXT) | instid1(VALU_DEP_1)
	v_max_i32_e32 v1, v1, v10
	v_add3_u32 v1, s16, v1, v5
	s_delay_alu instid0(VALU_DEP_1) | instskip(NEXT) | instid1(VALU_DEP_1)
	v_sub_nc_u32_e32 v5, v1, v9
	v_and_b32_e32 v1, 12, v5
	s_delay_alu instid0(VALU_DEP_1)
	v_cmpx_ne_u32_e32 12, v1
	s_cbranch_execz .LBB105_31
; %bb.28:
	v_lshrrev_b32_e32 v1, 2, v5
	v_mov_b32_e32 v11, 0
	v_mov_b32_e32 v13, 0
	s_mov_b32 s6, 0
	s_delay_alu instid0(VALU_DEP_3) | instskip(NEXT) | instid1(VALU_DEP_1)
	v_dual_mov_b32 v14, 0 :: v_dual_add_nc_u32 v1, 1, v1
	v_dual_mov_b32 v12, 0 :: v_dual_and_b32 v1, 3, v1
	s_delay_alu instid0(VALU_DEP_1)
	v_sub_nc_u32_e32 v6, 0, v1
.LBB105_29:                             ; =>This Inner Loop Header: Depth=1
	v_ashrrev_i32_e32 v1, 31, v0
	s_delay_alu instid0(VALU_DEP_2) | instskip(SKIP_2) | instid1(VALU_DEP_2)
	v_add_co_u32 v6, s7, v6, 1
	s_wait_alu 0xfffe
	s_or_b32 s6, s7, s6
	v_lshlrev_b64_e32 v[7:8], 2, v[0:1]
	s_delay_alu instid0(VALU_DEP_1) | instskip(SKIP_1) | instid1(VALU_DEP_2)
	v_add_co_u32 v7, vcc_lo, s8, v7
	s_wait_alu 0xfffd
	v_add_co_ci_u32_e64 v8, null, s9, v8, vcc_lo
	global_load_b32 v1, v[7:8], off
	global_load_b128 v[15:18], v[2:3], off
	s_wait_loadcnt 0x1
	v_subrev_nc_u32_e32 v1, s16, v1
	s_delay_alu instid0(VALU_DEP_1) | instskip(NEXT) | instid1(VALU_DEP_1)
	v_lshlrev_b32_e32 v7, 2, v1
	v_ashrrev_i32_e32 v8, 31, v7
	s_delay_alu instid0(VALU_DEP_1) | instskip(SKIP_1) | instid1(VALU_DEP_1)
	v_lshlrev_b64_e32 v[7:8], 1, v[7:8]
	s_wait_kmcnt 0x0
	v_add_co_u32 v7, vcc_lo, s4, v7
	s_wait_alu 0xfffd
	s_delay_alu instid0(VALU_DEP_2)
	v_add_co_ci_u32_e64 v8, null, s5, v8, vcc_lo
	global_load_b64 v[7:8], v[7:8], off
	global_load_b128 v[19:22], v[2:3], off offset:16
	v_add_co_u32 v2, vcc_lo, 0x80, v2
	s_wait_alu 0xfffd
	v_add_co_ci_u32_e64 v3, null, 0, v3, vcc_lo
	s_wait_loadcnt 0x1
	v_lshlrev_b32_e32 v30, 16, v7
	v_lshlrev_b32_e32 v1, 16, v15
	s_wait_loadcnt 0x0
	v_lshlrev_b32_e32 v27, 16, v20
	v_lshlrev_b32_e32 v26, 16, v19
	v_and_b32_e32 v15, 0xffff0000, v15
	v_lshlrev_b32_e32 v24, 16, v17
	v_and_b32_e32 v7, 0xffff0000, v7
	v_lshlrev_b32_e32 v29, 16, v22
	v_lshlrev_b32_e32 v28, 16, v21
	v_fmac_f32_e32 v14, v15, v30
	v_dual_fmac_f32 v12, v1, v30 :: v_dual_lshlrev_b32 v23, 16, v16
	v_lshlrev_b32_e32 v1, 16, v8
	v_and_b32_e32 v19, 0xffff0000, v19
	s_delay_alu instid0(VALU_DEP_3) | instskip(NEXT) | instid1(VALU_DEP_4)
	v_dual_fmac_f32 v12, v24, v7 :: v_dual_and_b32 v21, 0xffff0000, v21
	v_dual_fmac_f32 v13, v23, v30 :: v_dual_and_b32 v16, 0xffff0000, v16
	s_delay_alu instid0(VALU_DEP_2) | instskip(SKIP_2) | instid1(VALU_DEP_2)
	v_fmac_f32_e32 v12, v26, v1
	v_and_b32_e32 v17, 0xffff0000, v17
	v_lshlrev_b32_e32 v25, 16, v18
	v_dual_fmac_f32 v11, v16, v30 :: v_dual_fmac_f32 v14, v17, v7
	s_delay_alu instid0(VALU_DEP_2) | instskip(SKIP_1) | instid1(VALU_DEP_2)
	v_dual_fmac_f32 v13, v25, v7 :: v_dual_and_b32 v18, 0xffff0000, v18
	v_and_b32_e32 v20, 0xffff0000, v20
	v_dual_fmac_f32 v14, v19, v1 :: v_dual_fmac_f32 v11, v18, v7
	v_and_b32_e32 v22, 0xffff0000, v22
	v_and_b32_e32 v7, 0xffff0000, v8
	v_fmac_f32_e32 v13, v27, v1
	s_delay_alu instid0(VALU_DEP_4) | instskip(NEXT) | instid1(VALU_DEP_3)
	v_dual_fmac_f32 v11, v20, v1 :: v_dual_add_nc_u32 v0, 4, v0
	v_fmac_f32_e32 v14, v21, v7
	s_delay_alu instid0(VALU_DEP_3) | instskip(SKIP_1) | instid1(VALU_DEP_4)
	v_fmac_f32_e32 v13, v29, v7
	v_fmac_f32_e32 v12, v28, v7
	v_fmac_f32_e32 v11, v22, v7
	s_wait_alu 0xfffe
	s_and_not1_b32 exec_lo, exec_lo, s6
	s_cbranch_execnz .LBB105_29
; %bb.30:
	s_or_b32 exec_lo, exec_lo, s6
.LBB105_31:
	s_wait_alu 0xfffe
	s_or_b32 exec_lo, exec_lo, s2
	s_delay_alu instid0(SALU_CYCLE_1)
	s_mov_b32 s2, exec_lo
	v_cmpx_lt_u32_e32 11, v5
	s_cbranch_execz .LBB105_35
; %bb.32:
	s_mov_b32 s6, 0
.LBB105_33:                             ; =>This Inner Loop Header: Depth=1
	v_ashrrev_i32_e32 v1, 31, v0
	s_delay_alu instid0(VALU_DEP_1) | instskip(NEXT) | instid1(VALU_DEP_1)
	v_lshlrev_b64_e32 v[5:6], 2, v[0:1]
	v_add_co_u32 v5, vcc_lo, s8, v5
	s_wait_alu 0xfffd
	s_delay_alu instid0(VALU_DEP_2)
	v_add_co_ci_u32_e64 v6, null, s9, v6, vcc_lo
	s_clause 0x3
	global_load_b32 v1, v[5:6], off
	global_load_b32 v39, v[5:6], off offset:16
	global_load_b32 v40, v[5:6], off offset:32
	;; [unrolled: 1-line block ×3, first 2 shown]
	s_clause 0x6
	global_load_b128 v[5:8], v[2:3], off
	global_load_b128 v[15:18], v[2:3], off offset:16
	global_load_b128 v[19:22], v[2:3], off offset:128
	;; [unrolled: 1-line block ×6, first 2 shown]
	s_wait_loadcnt 0xa
	v_subrev_nc_u32_e32 v1, s16, v1
	s_wait_loadcnt 0x9
	v_subrev_nc_u32_e32 v42, s16, v39
	;; [unrolled: 2-line block ×4, first 2 shown]
	s_wait_loadcnt 0x6
	v_lshlrev_b32_e32 v52, 16, v7
	v_lshlrev_b32_e32 v39, 2, v1
	;; [unrolled: 1-line block ×4, first 2 shown]
	v_and_b32_e32 v5, 0xffff0000, v5
	v_lshlrev_b32_e32 v43, 2, v40
	v_ashrrev_i32_e32 v40, 31, v39
	s_wait_loadcnt 0x5
	v_lshlrev_b32_e32 v56, 16, v17
	v_and_b32_e32 v17, 0xffff0000, v17
	s_wait_loadcnt 0x4
	v_lshlrev_b32_e32 v58, 16, v19
	v_lshlrev_b32_e32 v55, 16, v16
	v_and_b32_e32 v16, 0xffff0000, v16
	v_lshlrev_b32_e32 v54, 16, v15
	v_and_b32_e32 v15, 0xffff0000, v15
	v_and_b32_e32 v7, 0xffff0000, v7
	v_lshlrev_b32_e32 v45, 2, v44
	v_ashrrev_i32_e32 v42, 31, v41
	v_ashrrev_i32_e32 v44, 31, v43
	v_lshlrev_b64_e32 v[39:40], 1, v[39:40]
	v_lshlrev_b32_e32 v60, 16, v21
	v_ashrrev_i32_e32 v46, 31, v45
	v_lshlrev_b64_e32 v[41:42], 1, v[41:42]
	v_lshlrev_b64_e32 v[43:44], 1, v[43:44]
	v_and_b32_e32 v19, 0xffff0000, v19
	s_wait_kmcnt 0x0
	v_add_co_u32 v39, vcc_lo, s4, v39
	v_lshlrev_b64_e32 v[45:46], 1, v[45:46]
	s_wait_alu 0xfffd
	v_add_co_ci_u32_e64 v40, null, s5, v40, vcc_lo
	v_add_co_u32 v41, vcc_lo, s4, v41
	s_wait_alu 0xfffd
	v_add_co_ci_u32_e64 v42, null, s5, v42, vcc_lo
	v_add_co_u32 v43, vcc_lo, s4, v43
	;; [unrolled: 3-line block ×3, first 2 shown]
	s_wait_alu 0xfffd
	v_add_co_ci_u32_e64 v46, null, s5, v46, vcc_lo
	s_clause 0x3
	global_load_b64 v[47:48], v[39:40], off
	global_load_b64 v[49:50], v[41:42], off
	;; [unrolled: 1-line block ×4, first 2 shown]
	global_load_b128 v[39:42], v[2:3], off offset:400
	v_and_b32_e32 v21, 0xffff0000, v21
	s_wait_loadcnt 0x8
	v_lshlrev_b32_e32 v64, 16, v25
	v_and_b32_e32 v25, 0xffff0000, v25
	s_wait_loadcnt 0x7
	v_lshlrev_b32_e32 v68, 16, v29
	;; [unrolled: 3-line block ×4, first 2 shown]
	v_and_b32_e32 v37, 0xffff0000, v37
	v_add_co_u32 v2, vcc_lo, 0x200, v2
	s_wait_alu 0xfffd
	v_add_co_ci_u32_e64 v3, null, 0, v3, vcc_lo
	s_wait_loadcnt 0x4
	v_lshlrev_b32_e32 v82, 16, v47
	v_and_b32_e32 v47, 0xffff0000, v47
	s_wait_loadcnt 0x0
	v_lshlrev_b32_e32 v80, 16, v41
	s_delay_alu instid0(VALU_DEP_3) | instskip(SKIP_1) | instid1(VALU_DEP_2)
	v_dual_fmac_f32 v12, v1, v82 :: v_dual_lshlrev_b32 v1, 16, v48
	v_dual_fmac_f32 v14, v5, v82 :: v_dual_and_b32 v5, 0xffff0000, v48
	v_dual_fmac_f32 v12, v52, v47 :: v_dual_and_b32 v41, 0xffff0000, v41
	s_delay_alu instid0(VALU_DEP_2) | instskip(NEXT) | instid1(VALU_DEP_2)
	v_dual_fmac_f32 v14, v7, v47 :: v_dual_lshlrev_b32 v51, 16, v6
	v_fmac_f32_e32 v12, v54, v1
	s_delay_alu instid0(VALU_DEP_2) | instskip(NEXT) | instid1(VALU_DEP_3)
	v_dual_fmac_f32 v13, v51, v82 :: v_dual_add_nc_u32 v0, 16, v0
	v_dual_fmac_f32 v14, v15, v1 :: v_dual_lshlrev_b32 v53, 16, v8
	s_delay_alu instid0(VALU_DEP_3) | instskip(SKIP_1) | instid1(VALU_DEP_4)
	v_fmac_f32_e32 v12, v56, v5
	v_and_b32_e32 v6, 0xffff0000, v6
	v_cmp_ge_i32_e32 vcc_lo, v0, v10
	s_delay_alu instid0(VALU_DEP_4) | instskip(NEXT) | instid1(VALU_DEP_3)
	v_dual_fmac_f32 v13, v53, v47 :: v_dual_and_b32 v8, 0xffff0000, v8
	v_dual_fmac_f32 v14, v17, v5 :: v_dual_fmac_f32 v11, v6, v82
	s_wait_alu 0xfffe
	s_or_b32 s6, vcc_lo, s6
	s_delay_alu instid0(VALU_DEP_2) | instskip(NEXT) | instid1(VALU_DEP_2)
	v_fmac_f32_e32 v13, v55, v1
	v_fmac_f32_e32 v11, v8, v47
	s_delay_alu instid0(VALU_DEP_1) | instskip(SKIP_1) | instid1(VALU_DEP_1)
	v_fmac_f32_e32 v11, v16, v1
	v_lshlrev_b32_e32 v1, 16, v49
	v_dual_fmac_f32 v14, v19, v1 :: v_dual_lshlrev_b32 v57, 16, v18
	s_delay_alu instid0(VALU_DEP_1) | instskip(NEXT) | instid1(VALU_DEP_1)
	v_dual_fmac_f32 v13, v57, v5 :: v_dual_and_b32 v18, 0xffff0000, v18
	v_fmac_f32_e32 v11, v18, v5
	v_and_b32_e32 v5, 0xffff0000, v49
	v_dual_fmac_f32 v12, v58, v1 :: v_dual_lshlrev_b32 v59, 16, v20
	s_delay_alu instid0(VALU_DEP_2) | instskip(NEXT) | instid1(VALU_DEP_2)
	v_fmac_f32_e32 v14, v21, v5
	v_dual_fmac_f32 v13, v59, v1 :: v_dual_and_b32 v20, 0xffff0000, v20
	v_lshlrev_b32_e32 v62, 16, v23
	s_delay_alu instid0(VALU_DEP_4) | instskip(NEXT) | instid1(VALU_DEP_3)
	v_fmac_f32_e32 v12, v60, v5
	v_fmac_f32_e32 v11, v20, v1
	v_lshlrev_b32_e32 v1, 16, v50
	s_delay_alu instid0(VALU_DEP_1) | instskip(NEXT) | instid1(VALU_DEP_1)
	v_dual_fmac_f32 v12, v62, v1 :: v_dual_lshlrev_b32 v61, 16, v22
	v_dual_fmac_f32 v13, v61, v5 :: v_dual_and_b32 v22, 0xffff0000, v22
	s_delay_alu instid0(VALU_DEP_1) | instskip(SKIP_1) | instid1(VALU_DEP_1)
	v_dual_fmac_f32 v11, v22, v5 :: v_dual_lshlrev_b32 v66, 16, v27
	v_and_b32_e32 v5, 0xffff0000, v50
	v_dual_fmac_f32 v12, v64, v5 :: v_dual_and_b32 v23, 0xffff0000, v23
	s_delay_alu instid0(VALU_DEP_1) | instskip(SKIP_2) | instid1(VALU_DEP_3)
	v_dual_fmac_f32 v14, v23, v1 :: v_dual_lshlrev_b32 v63, 16, v24
	v_and_b32_e32 v24, 0xffff0000, v24
	v_lshlrev_b32_e32 v65, 16, v26
	v_dual_fmac_f32 v13, v63, v1 :: v_dual_and_b32 v26, 0xffff0000, v26
	s_delay_alu instid0(VALU_DEP_3)
	v_fmac_f32_e32 v11, v24, v1
	v_lshlrev_b32_e32 v1, 16, v43
	v_and_b32_e32 v27, 0xffff0000, v27
	v_lshlrev_b32_e32 v70, 16, v31
	v_fmac_f32_e32 v14, v25, v5
	v_fmac_f32_e32 v13, v65, v5
	;; [unrolled: 1-line block ×3, first 2 shown]
	v_dual_fmac_f32 v12, v66, v1 :: v_dual_lshlrev_b32 v67, 16, v28
	s_delay_alu instid0(VALU_DEP_4)
	v_fmac_f32_e32 v14, v27, v1
	v_and_b32_e32 v28, 0xffff0000, v28
	v_lshlrev_b32_e32 v74, 16, v35
	v_and_b32_e32 v5, 0xffff0000, v43
	v_lshlrev_b32_e32 v69, 16, v30
	v_dual_fmac_f32 v13, v67, v1 :: v_dual_and_b32 v30, 0xffff0000, v30
	v_fmac_f32_e32 v11, v28, v1
	s_delay_alu instid0(VALU_DEP_4) | instskip(SKIP_2) | instid1(VALU_DEP_4)
	v_dual_fmac_f32 v14, v29, v5 :: v_dual_and_b32 v31, 0xffff0000, v31
	v_lshlrev_b32_e32 v1, 16, v44
	v_lshlrev_b32_e32 v73, 16, v34
	v_dual_fmac_f32 v11, v30, v5 :: v_dual_and_b32 v34, 0xffff0000, v34
	v_dual_fmac_f32 v12, v68, v5 :: v_dual_lshlrev_b32 v71, 16, v32
	v_dual_fmac_f32 v13, v69, v5 :: v_dual_and_b32 v32, 0xffff0000, v32
	v_lshlrev_b32_e32 v78, 16, v39
	s_delay_alu instid0(VALU_DEP_3) | instskip(SKIP_1) | instid1(VALU_DEP_4)
	v_dual_fmac_f32 v12, v70, v1 :: v_dual_and_b32 v5, 0xffff0000, v44
	v_dual_fmac_f32 v14, v31, v1 :: v_dual_lshlrev_b32 v75, 16, v36
	v_dual_fmac_f32 v13, v71, v1 :: v_dual_and_b32 v36, 0xffff0000, v36
	v_fmac_f32_e32 v11, v32, v1
	s_delay_alu instid0(VALU_DEP_4)
	v_dual_fmac_f32 v12, v72, v5 :: v_dual_and_b32 v35, 0xffff0000, v35
	v_lshlrev_b32_e32 v1, 16, v45
	v_lshlrev_b32_e32 v77, 16, v38
	v_dual_fmac_f32 v13, v73, v5 :: v_dual_and_b32 v38, 0xffff0000, v38
	v_fmac_f32_e32 v14, v33, v5
	v_fmac_f32_e32 v11, v34, v5
	v_and_b32_e32 v39, 0xffff0000, v39
	v_and_b32_e32 v5, 0xffff0000, v45
	v_dual_fmac_f32 v12, v74, v1 :: v_dual_lshlrev_b32 v79, 16, v40
	v_dual_fmac_f32 v13, v75, v1 :: v_dual_and_b32 v40, 0xffff0000, v40
	v_dual_fmac_f32 v14, v35, v1 :: v_dual_lshlrev_b32 v81, 16, v42
	v_dual_fmac_f32 v11, v36, v1 :: v_dual_and_b32 v42, 0xffff0000, v42
	s_delay_alu instid0(VALU_DEP_4) | instskip(NEXT) | instid1(VALU_DEP_3)
	v_dual_fmac_f32 v12, v76, v5 :: v_dual_lshlrev_b32 v1, 16, v46
	v_fmac_f32_e32 v14, v37, v5
	v_fmac_f32_e32 v13, v77, v5
	s_delay_alu instid0(VALU_DEP_4) | instskip(NEXT) | instid1(VALU_DEP_4)
	v_fmac_f32_e32 v11, v38, v5
	v_dual_fmac_f32 v12, v78, v1 :: v_dual_and_b32 v5, 0xffff0000, v46
	s_delay_alu instid0(VALU_DEP_4) | instskip(NEXT) | instid1(VALU_DEP_4)
	v_fmac_f32_e32 v14, v39, v1
	v_fmac_f32_e32 v13, v79, v1
	s_delay_alu instid0(VALU_DEP_4) | instskip(NEXT) | instid1(VALU_DEP_4)
	v_fmac_f32_e32 v11, v40, v1
	v_fmac_f32_e32 v12, v80, v5
	s_delay_alu instid0(VALU_DEP_4) | instskip(NEXT) | instid1(VALU_DEP_4)
	v_fmac_f32_e32 v14, v41, v5
	v_fmac_f32_e32 v13, v81, v5
	s_delay_alu instid0(VALU_DEP_4)
	v_fmac_f32_e32 v11, v42, v5
	s_wait_alu 0xfffe
	s_and_not1_b32 exec_lo, exec_lo, s6
	s_cbranch_execnz .LBB105_33
; %bb.34:
	s_or_b32 exec_lo, exec_lo, s6
.LBB105_35:
	s_wait_alu 0xfffe
	s_or_b32 exec_lo, exec_lo, s2
.LBB105_36:
	s_wait_alu 0xfffe
	s_or_b32 exec_lo, exec_lo, s3
.LBB105_37:
	v_mbcnt_lo_u32_b32 v0, -1, 0
	s_mov_b32 s2, -1
	s_delay_alu instid0(VALU_DEP_1) | instskip(NEXT) | instid1(VALU_DEP_1)
	v_xor_b32_e32 v1, 2, v0
	v_cmp_gt_i32_e32 vcc_lo, 32, v1
	s_wait_alu 0xfffd
	v_cndmask_b32_e32 v1, v0, v1, vcc_lo
	s_delay_alu instid0(VALU_DEP_1)
	v_lshlrev_b32_e32 v1, 2, v1
	ds_bpermute_b32 v2, v1, v12
	ds_bpermute_b32 v3, v1, v14
	;; [unrolled: 1-line block ×4, first 2 shown]
	v_xor_b32_e32 v1, 1, v0
	s_delay_alu instid0(VALU_DEP_1) | instskip(SKIP_4) | instid1(VALU_DEP_2)
	v_cmp_gt_i32_e32 vcc_lo, 32, v1
	s_wait_alu 0xfffd
	v_cndmask_b32_e32 v0, v0, v1, vcc_lo
	v_cmp_eq_u32_e32 vcc_lo, 3, v9
	s_wait_dscnt 0x2
	v_dual_add_f32 v1, v14, v3 :: v_dual_lshlrev_b32 v8, 2, v0
	v_add_f32_e32 v0, v12, v2
	s_wait_dscnt 0x0
	v_dual_add_f32 v2, v13, v5 :: v_dual_add_f32 v3, v11, v6
	ds_bpermute_b32 v6, v8, v1
	ds_bpermute_b32 v5, v8, v0
	;; [unrolled: 1-line block ×4, first 2 shown]
	s_and_b32 exec_lo, exec_lo, vcc_lo
	s_cbranch_execz .LBB105_10
; %bb.38:
	s_load_b64 s[0:1], s[0:1], 0x50
	s_wait_dscnt 0x2
	v_dual_add_f32 v0, v0, v5 :: v_dual_add_f32 v1, v1, v6
	s_wait_dscnt 0x0
	v_dual_add_f32 v2, v2, v7 :: v_dual_add_f32 v3, v3, v8
	v_lshlrev_b32_e32 v4, 2, v4
	s_delay_alu instid0(VALU_DEP_3) | instskip(NEXT) | instid1(VALU_DEP_3)
	v_dual_mul_f32 v0, s14, v0 :: v_dual_mul_f32 v1, s14, v1
	v_dual_mul_f32 v2, s14, v2 :: v_dual_mul_f32 v3, s14, v3
	s_cmp_eq_f32 s12, 0
	s_cbranch_scc0 .LBB105_40
; %bb.39:
	v_ashrrev_i32_e32 v5, 31, v4
	s_mov_b32 s2, 0
	s_delay_alu instid0(VALU_DEP_1) | instskip(SKIP_1) | instid1(VALU_DEP_1)
	v_lshlrev_b64_e32 v[5:6], 2, v[4:5]
	s_wait_kmcnt 0x0
	v_add_co_u32 v5, vcc_lo, s0, v5
	s_wait_alu 0xfffd
	s_delay_alu instid0(VALU_DEP_2)
	v_add_co_ci_u32_e64 v6, null, s1, v6, vcc_lo
	global_store_b128 v[5:6], v[0:3], off
.LBB105_40:
	s_wait_alu 0xfffe
	s_and_not1_b32 vcc_lo, exec_lo, s2
	s_wait_alu 0xfffe
	s_cbranch_vccnz .LBB105_10
; %bb.41:
	v_ashrrev_i32_e32 v5, 31, v4
	s_delay_alu instid0(VALU_DEP_1) | instskip(SKIP_1) | instid1(VALU_DEP_1)
	v_lshlrev_b64_e32 v[4:5], 2, v[4:5]
	s_wait_kmcnt 0x0
	v_add_co_u32 v8, vcc_lo, s0, v4
	s_wait_alu 0xfffd
	s_delay_alu instid0(VALU_DEP_2)
	v_add_co_ci_u32_e64 v9, null, s1, v5, vcc_lo
	global_load_b128 v[4:7], v[8:9], off
	s_wait_loadcnt 0x0
	v_dual_fmac_f32 v0, s12, v4 :: v_dual_fmac_f32 v1, s12, v5
	v_dual_fmac_f32 v2, s12, v6 :: v_dual_fmac_f32 v3, s12, v7
	global_store_b128 v[8:9], v[0:3], off
	s_endpgm
	.section	.rodata,"a",@progbits
	.p2align	6, 0x0
	.amdhsa_kernel _ZN9rocsparseL18bsrxmvn_4x4_kernelILj128ELj4Efii18rocsparse_bfloat16S1_fEEvT3_20rocsparse_direction_NS_24const_host_device_scalarIT1_EES2_PKS2_PKT2_SB_S8_PKT4_PKT5_S6_PT6_21rocsparse_index_base_b
		.amdhsa_group_segment_fixed_size 0
		.amdhsa_private_segment_fixed_size 0
		.amdhsa_kernarg_size 96
		.amdhsa_user_sgpr_count 2
		.amdhsa_user_sgpr_dispatch_ptr 0
		.amdhsa_user_sgpr_queue_ptr 0
		.amdhsa_user_sgpr_kernarg_segment_ptr 1
		.amdhsa_user_sgpr_dispatch_id 0
		.amdhsa_user_sgpr_private_segment_size 0
		.amdhsa_wavefront_size32 1
		.amdhsa_uses_dynamic_stack 0
		.amdhsa_enable_private_segment 0
		.amdhsa_system_sgpr_workgroup_id_x 1
		.amdhsa_system_sgpr_workgroup_id_y 0
		.amdhsa_system_sgpr_workgroup_id_z 0
		.amdhsa_system_sgpr_workgroup_info 0
		.amdhsa_system_vgpr_workitem_id 0
		.amdhsa_next_free_vgpr 87
		.amdhsa_next_free_sgpr 18
		.amdhsa_reserve_vcc 1
		.amdhsa_float_round_mode_32 0
		.amdhsa_float_round_mode_16_64 0
		.amdhsa_float_denorm_mode_32 3
		.amdhsa_float_denorm_mode_16_64 3
		.amdhsa_fp16_overflow 0
		.amdhsa_workgroup_processor_mode 1
		.amdhsa_memory_ordered 1
		.amdhsa_forward_progress 1
		.amdhsa_inst_pref_size 38
		.amdhsa_round_robin_scheduling 0
		.amdhsa_exception_fp_ieee_invalid_op 0
		.amdhsa_exception_fp_denorm_src 0
		.amdhsa_exception_fp_ieee_div_zero 0
		.amdhsa_exception_fp_ieee_overflow 0
		.amdhsa_exception_fp_ieee_underflow 0
		.amdhsa_exception_fp_ieee_inexact 0
		.amdhsa_exception_int_div_zero 0
	.end_amdhsa_kernel
	.section	.text._ZN9rocsparseL18bsrxmvn_4x4_kernelILj128ELj4Efii18rocsparse_bfloat16S1_fEEvT3_20rocsparse_direction_NS_24const_host_device_scalarIT1_EES2_PKS2_PKT2_SB_S8_PKT4_PKT5_S6_PT6_21rocsparse_index_base_b,"axG",@progbits,_ZN9rocsparseL18bsrxmvn_4x4_kernelILj128ELj4Efii18rocsparse_bfloat16S1_fEEvT3_20rocsparse_direction_NS_24const_host_device_scalarIT1_EES2_PKS2_PKT2_SB_S8_PKT4_PKT5_S6_PT6_21rocsparse_index_base_b,comdat
.Lfunc_end105:
	.size	_ZN9rocsparseL18bsrxmvn_4x4_kernelILj128ELj4Efii18rocsparse_bfloat16S1_fEEvT3_20rocsparse_direction_NS_24const_host_device_scalarIT1_EES2_PKS2_PKT2_SB_S8_PKT4_PKT5_S6_PT6_21rocsparse_index_base_b, .Lfunc_end105-_ZN9rocsparseL18bsrxmvn_4x4_kernelILj128ELj4Efii18rocsparse_bfloat16S1_fEEvT3_20rocsparse_direction_NS_24const_host_device_scalarIT1_EES2_PKS2_PKT2_SB_S8_PKT4_PKT5_S6_PT6_21rocsparse_index_base_b
                                        ; -- End function
	.set _ZN9rocsparseL18bsrxmvn_4x4_kernelILj128ELj4Efii18rocsparse_bfloat16S1_fEEvT3_20rocsparse_direction_NS_24const_host_device_scalarIT1_EES2_PKS2_PKT2_SB_S8_PKT4_PKT5_S6_PT6_21rocsparse_index_base_b.num_vgpr, 87
	.set _ZN9rocsparseL18bsrxmvn_4x4_kernelILj128ELj4Efii18rocsparse_bfloat16S1_fEEvT3_20rocsparse_direction_NS_24const_host_device_scalarIT1_EES2_PKS2_PKT2_SB_S8_PKT4_PKT5_S6_PT6_21rocsparse_index_base_b.num_agpr, 0
	.set _ZN9rocsparseL18bsrxmvn_4x4_kernelILj128ELj4Efii18rocsparse_bfloat16S1_fEEvT3_20rocsparse_direction_NS_24const_host_device_scalarIT1_EES2_PKS2_PKT2_SB_S8_PKT4_PKT5_S6_PT6_21rocsparse_index_base_b.numbered_sgpr, 18
	.set _ZN9rocsparseL18bsrxmvn_4x4_kernelILj128ELj4Efii18rocsparse_bfloat16S1_fEEvT3_20rocsparse_direction_NS_24const_host_device_scalarIT1_EES2_PKS2_PKT2_SB_S8_PKT4_PKT5_S6_PT6_21rocsparse_index_base_b.num_named_barrier, 0
	.set _ZN9rocsparseL18bsrxmvn_4x4_kernelILj128ELj4Efii18rocsparse_bfloat16S1_fEEvT3_20rocsparse_direction_NS_24const_host_device_scalarIT1_EES2_PKS2_PKT2_SB_S8_PKT4_PKT5_S6_PT6_21rocsparse_index_base_b.private_seg_size, 0
	.set _ZN9rocsparseL18bsrxmvn_4x4_kernelILj128ELj4Efii18rocsparse_bfloat16S1_fEEvT3_20rocsparse_direction_NS_24const_host_device_scalarIT1_EES2_PKS2_PKT2_SB_S8_PKT4_PKT5_S6_PT6_21rocsparse_index_base_b.uses_vcc, 1
	.set _ZN9rocsparseL18bsrxmvn_4x4_kernelILj128ELj4Efii18rocsparse_bfloat16S1_fEEvT3_20rocsparse_direction_NS_24const_host_device_scalarIT1_EES2_PKS2_PKT2_SB_S8_PKT4_PKT5_S6_PT6_21rocsparse_index_base_b.uses_flat_scratch, 0
	.set _ZN9rocsparseL18bsrxmvn_4x4_kernelILj128ELj4Efii18rocsparse_bfloat16S1_fEEvT3_20rocsparse_direction_NS_24const_host_device_scalarIT1_EES2_PKS2_PKT2_SB_S8_PKT4_PKT5_S6_PT6_21rocsparse_index_base_b.has_dyn_sized_stack, 0
	.set _ZN9rocsparseL18bsrxmvn_4x4_kernelILj128ELj4Efii18rocsparse_bfloat16S1_fEEvT3_20rocsparse_direction_NS_24const_host_device_scalarIT1_EES2_PKS2_PKT2_SB_S8_PKT4_PKT5_S6_PT6_21rocsparse_index_base_b.has_recursion, 0
	.set _ZN9rocsparseL18bsrxmvn_4x4_kernelILj128ELj4Efii18rocsparse_bfloat16S1_fEEvT3_20rocsparse_direction_NS_24const_host_device_scalarIT1_EES2_PKS2_PKT2_SB_S8_PKT4_PKT5_S6_PT6_21rocsparse_index_base_b.has_indirect_call, 0
	.section	.AMDGPU.csdata,"",@progbits
; Kernel info:
; codeLenInByte = 4832
; TotalNumSgprs: 20
; NumVgprs: 87
; ScratchSize: 0
; MemoryBound: 0
; FloatMode: 240
; IeeeMode: 1
; LDSByteSize: 0 bytes/workgroup (compile time only)
; SGPRBlocks: 0
; VGPRBlocks: 10
; NumSGPRsForWavesPerEU: 20
; NumVGPRsForWavesPerEU: 87
; Occupancy: 16
; WaveLimiterHint : 1
; COMPUTE_PGM_RSRC2:SCRATCH_EN: 0
; COMPUTE_PGM_RSRC2:USER_SGPR: 2
; COMPUTE_PGM_RSRC2:TRAP_HANDLER: 0
; COMPUTE_PGM_RSRC2:TGID_X_EN: 1
; COMPUTE_PGM_RSRC2:TGID_Y_EN: 0
; COMPUTE_PGM_RSRC2:TGID_Z_EN: 0
; COMPUTE_PGM_RSRC2:TIDIG_COMP_CNT: 0
	.section	.text._ZN9rocsparseL18bsrxmvn_4x4_kernelILj128ELj8Efii18rocsparse_bfloat16S1_fEEvT3_20rocsparse_direction_NS_24const_host_device_scalarIT1_EES2_PKS2_PKT2_SB_S8_PKT4_PKT5_S6_PT6_21rocsparse_index_base_b,"axG",@progbits,_ZN9rocsparseL18bsrxmvn_4x4_kernelILj128ELj8Efii18rocsparse_bfloat16S1_fEEvT3_20rocsparse_direction_NS_24const_host_device_scalarIT1_EES2_PKS2_PKT2_SB_S8_PKT4_PKT5_S6_PT6_21rocsparse_index_base_b,comdat
	.globl	_ZN9rocsparseL18bsrxmvn_4x4_kernelILj128ELj8Efii18rocsparse_bfloat16S1_fEEvT3_20rocsparse_direction_NS_24const_host_device_scalarIT1_EES2_PKS2_PKT2_SB_S8_PKT4_PKT5_S6_PT6_21rocsparse_index_base_b ; -- Begin function _ZN9rocsparseL18bsrxmvn_4x4_kernelILj128ELj8Efii18rocsparse_bfloat16S1_fEEvT3_20rocsparse_direction_NS_24const_host_device_scalarIT1_EES2_PKS2_PKT2_SB_S8_PKT4_PKT5_S6_PT6_21rocsparse_index_base_b
	.p2align	8
	.type	_ZN9rocsparseL18bsrxmvn_4x4_kernelILj128ELj8Efii18rocsparse_bfloat16S1_fEEvT3_20rocsparse_direction_NS_24const_host_device_scalarIT1_EES2_PKS2_PKT2_SB_S8_PKT4_PKT5_S6_PT6_21rocsparse_index_base_b,@function
_ZN9rocsparseL18bsrxmvn_4x4_kernelILj128ELj8Efii18rocsparse_bfloat16S1_fEEvT3_20rocsparse_direction_NS_24const_host_device_scalarIT1_EES2_PKS2_PKT2_SB_S8_PKT4_PKT5_S6_PT6_21rocsparse_index_base_b: ; @_ZN9rocsparseL18bsrxmvn_4x4_kernelILj128ELj8Efii18rocsparse_bfloat16S1_fEEvT3_20rocsparse_direction_NS_24const_host_device_scalarIT1_EES2_PKS2_PKT2_SB_S8_PKT4_PKT5_S6_PT6_21rocsparse_index_base_b
; %bb.0:
	s_clause 0x2
	s_load_b64 s[16:17], s[0:1], 0x58
	s_load_b64 s[14:15], s[0:1], 0x8
	;; [unrolled: 1-line block ×3, first 2 shown]
	s_wait_kmcnt 0x0
	s_bitcmp1_b32 s17, 0
	s_cselect_b32 s2, -1, 0
	s_delay_alu instid0(SALU_CYCLE_1)
	s_and_b32 vcc_lo, exec_lo, s2
	s_xor_b32 s2, s2, -1
	s_cbranch_vccnz .LBB106_2
; %bb.1:
	s_load_b32 s14, s[14:15], 0x0
.LBB106_2:
	s_and_not1_b32 vcc_lo, exec_lo, s2
	s_cbranch_vccnz .LBB106_4
; %bb.3:
	s_load_b32 s12, s[12:13], 0x0
.LBB106_4:
	s_wait_kmcnt 0x0
	s_cmp_neq_f32 s14, 0
	s_mov_b32 s6, 0
	s_cselect_b32 s2, -1, 0
	s_cmp_neq_f32 s12, 1.0
	s_cselect_b32 s3, -1, 0
	s_delay_alu instid0(SALU_CYCLE_1) | instskip(NEXT) | instid1(SALU_CYCLE_1)
	s_or_b32 s2, s2, s3
	s_and_not1_b32 vcc_lo, exec_lo, s2
	s_cbranch_vccnz .LBB106_10
; %bb.5:
	s_clause 0x1
	s_load_b64 s[4:5], s[0:1], 0x18
	s_load_b64 s[2:3], s[0:1], 0x0
	v_lshrrev_b32_e32 v1, 3, v0
	s_delay_alu instid0(VALU_DEP_1)
	v_lshl_or_b32 v4, ttmp9, 4, v1
	s_wait_kmcnt 0x0
	s_cmp_lg_u64 s[4:5], 0
	s_cbranch_scc0 .LBB106_11
; %bb.6:
	s_load_b32 s6, s[0:1], 0x10
	s_mov_b32 s7, 0
                                        ; implicit-def: $vgpr1
	s_wait_kmcnt 0x0
	v_cmp_gt_i32_e32 vcc_lo, s6, v4
	s_mov_b32 s6, 0
	s_and_saveexec_b32 s8, vcc_lo
	s_delay_alu instid0(SALU_CYCLE_1)
	s_xor_b32 s8, exec_lo, s8
	s_cbranch_execz .LBB106_8
; %bb.7:
	v_ashrrev_i32_e32 v5, 31, v4
	s_mov_b32 s6, exec_lo
	s_delay_alu instid0(VALU_DEP_1) | instskip(NEXT) | instid1(VALU_DEP_1)
	v_lshlrev_b64_e32 v[1:2], 2, v[4:5]
	v_add_co_u32 v1, vcc_lo, s4, v1
	s_delay_alu instid0(VALU_DEP_1)
	v_add_co_ci_u32_e64 v2, null, s5, v2, vcc_lo
	global_load_b32 v1, v[1:2], off
	s_wait_loadcnt 0x0
	v_subrev_nc_u32_e32 v1, s16, v1
.LBB106_8:
	s_or_b32 exec_lo, exec_lo, s8
	s_delay_alu instid0(SALU_CYCLE_1)
	s_and_b32 vcc_lo, exec_lo, s7
	s_wait_alu 0xfffe
	s_cbranch_vccz .LBB106_12
.LBB106_9:
	v_cmp_gt_i32_e32 vcc_lo, s2, v4
	s_and_not1_b32 s2, s6, exec_lo
	s_and_b32 s4, vcc_lo, exec_lo
	s_wait_alu 0xfffe
	s_or_b32 s6, s2, s4
	s_wait_alu 0xfffe
	s_and_saveexec_b32 s2, s6
	s_cbranch_execnz .LBB106_13
.LBB106_10:
	s_endpgm
.LBB106_11:
                                        ; implicit-def: $vgpr1
	s_cbranch_execnz .LBB106_9
.LBB106_12:
	v_mov_b32_e32 v4, v1
	s_and_saveexec_b32 s2, s6
	s_cbranch_execz .LBB106_10
.LBB106_13:
	s_load_b256 s[4:11], s[0:1], 0x20
	s_delay_alu instid0(VALU_DEP_1) | instskip(SKIP_1) | instid1(VALU_DEP_2)
	v_ashrrev_i32_e32 v5, 31, v4
	v_and_b32_e32 v9, 7, v0
	v_lshlrev_b64_e32 v[1:2], 2, v[4:5]
	s_wait_kmcnt 0x0
	s_delay_alu instid0(VALU_DEP_1) | instskip(SKIP_1) | instid1(VALU_DEP_2)
	v_add_co_u32 v5, vcc_lo, s4, v1
	s_wait_alu 0xfffd
	v_add_co_ci_u32_e64 v6, null, s5, v2, vcc_lo
	v_add_co_u32 v1, vcc_lo, s6, v1
	s_wait_alu 0xfffd
	v_add_co_ci_u32_e64 v2, null, s7, v2, vcc_lo
	global_load_b32 v15, v[5:6], off
	v_add_co_u32 v3, vcc_lo, v5, 4
	s_wait_alu 0xfffd
	v_add_co_ci_u32_e64 v5, null, 0, v6, vcc_lo
	s_cmp_eq_u64 s[6:7], 0
	s_load_b64 s[4:5], s[0:1], 0x40
	s_cselect_b32 vcc_lo, -1, 0
	s_cmp_eq_u32 s3, 1
	s_wait_alu 0xfffe
	v_dual_cndmask_b32 v2, v2, v5 :: v_dual_cndmask_b32 v1, v1, v3
	global_load_b32 v5, v[1:2], off
	s_wait_loadcnt 0x1
	v_subrev_nc_u32_e32 v0, s16, v15
	s_delay_alu instid0(VALU_DEP_1) | instskip(NEXT) | instid1(VALU_DEP_1)
	v_add_nc_u32_e32 v0, v0, v9
	v_ashrrev_i32_e32 v1, 31, v0
	s_wait_loadcnt 0x0
	v_subrev_nc_u32_e32 v11, s16, v5
	s_delay_alu instid0(VALU_DEP_2) | instskip(NEXT) | instid1(VALU_DEP_2)
	v_lshlrev_b64_e32 v[2:3], 5, v[0:1]
	v_cmp_lt_i32_e64 s2, v0, v11
	s_delay_alu instid0(VALU_DEP_2) | instskip(SKIP_1) | instid1(VALU_DEP_3)
	v_add_co_u32 v2, vcc_lo, s10, v2
	s_wait_alu 0xfffd
	v_add_co_ci_u32_e64 v3, null, s11, v3, vcc_lo
	s_cbranch_scc1 .LBB106_25
; %bb.14:
	v_dual_mov_b32 v10, 0 :: v_dual_mov_b32 v13, 0
	v_mov_b32_e32 v14, 0
	v_mov_b32_e32 v12, 0
	s_and_saveexec_b32 s3, s2
	s_cbranch_execz .LBB106_24
; %bb.15:
	v_dual_mov_b32 v12, 0 :: v_dual_add_nc_u32 v1, v15, v9
	v_not_b32_e32 v5, v15
	v_mov_b32_e32 v10, 0
	v_dual_mov_b32 v8, v3 :: v_dual_mov_b32 v7, v2
	s_delay_alu instid0(VALU_DEP_4) | instskip(SKIP_2) | instid1(VALU_DEP_2)
	v_subrev_nc_u32_e32 v1, s16, v1
	s_mov_b32 s6, exec_lo
	v_dual_mov_b32 v14, 0 :: v_dual_mov_b32 v13, 0
	v_add_nc_u32_e32 v1, 8, v1
	s_delay_alu instid0(VALU_DEP_1) | instskip(NEXT) | instid1(VALU_DEP_1)
	v_max_i32_e32 v1, v1, v11
	v_add3_u32 v1, s16, v1, v5
	v_mov_b32_e32 v5, v0
	s_delay_alu instid0(VALU_DEP_2) | instskip(NEXT) | instid1(VALU_DEP_1)
	v_sub_nc_u32_e32 v1, v1, v9
	v_and_b32_e32 v6, 24, v1
	s_delay_alu instid0(VALU_DEP_1)
	v_cmpx_ne_u32_e32 24, v6
	s_cbranch_execz .LBB106_19
; %bb.16:
	v_lshrrev_b32_e32 v5, 3, v1
	v_dual_mov_b32 v8, v3 :: v_dual_mov_b32 v13, 0
	v_mov_b32_e32 v14, 0
	s_delay_alu instid0(VALU_DEP_3) | instskip(SKIP_2) | instid1(VALU_DEP_2)
	v_dual_mov_b32 v12, 0 :: v_dual_add_nc_u32 v5, 1, v5
	v_mov_b32_e32 v10, 0
	s_mov_b32 s7, 0
	v_dual_mov_b32 v7, v2 :: v_dual_and_b32 v6, 3, v5
	v_mov_b32_e32 v5, v0
	s_delay_alu instid0(VALU_DEP_2)
	v_sub_nc_u32_e32 v16, 0, v6
.LBB106_17:                             ; =>This Inner Loop Header: Depth=1
	s_delay_alu instid0(VALU_DEP_2) | instskip(NEXT) | instid1(VALU_DEP_2)
	v_ashrrev_i32_e32 v6, 31, v5
	v_add_co_u32 v16, s10, v16, 1
	s_wait_alu 0xfffe
	s_or_b32 s7, s10, s7
	s_delay_alu instid0(VALU_DEP_2) | instskip(SKIP_1) | instid1(VALU_DEP_2)
	v_lshlrev_b64_e32 v[17:18], 2, v[5:6]
	v_add_nc_u32_e32 v5, 8, v5
	v_add_co_u32 v17, vcc_lo, s8, v17
	s_wait_alu 0xfffd
	s_delay_alu instid0(VALU_DEP_3) | instskip(SKIP_4) | instid1(VALU_DEP_1)
	v_add_co_ci_u32_e64 v18, null, s9, v18, vcc_lo
	global_load_b32 v6, v[17:18], off
	global_load_b128 v[17:20], v[7:8], off
	s_wait_loadcnt 0x1
	v_subrev_nc_u32_e32 v6, s16, v6
	v_lshlrev_b32_e32 v21, 2, v6
	s_delay_alu instid0(VALU_DEP_1) | instskip(NEXT) | instid1(VALU_DEP_1)
	v_ashrrev_i32_e32 v22, 31, v21
	v_lshlrev_b64_e32 v[21:22], 1, v[21:22]
	s_wait_kmcnt 0x0
	s_delay_alu instid0(VALU_DEP_1) | instskip(SKIP_1) | instid1(VALU_DEP_2)
	v_add_co_u32 v25, vcc_lo, s4, v21
	s_wait_alu 0xfffd
	v_add_co_ci_u32_e64 v26, null, s5, v22, vcc_lo
	global_load_b128 v[21:24], v[7:8], off offset:16
	global_load_b64 v[25:26], v[25:26], off
	v_add_co_u32 v7, vcc_lo, 0x100, v7
	s_wait_alu 0xfffd
	v_add_co_ci_u32_e64 v8, null, 0, v8, vcc_lo
	s_wait_loadcnt 0x1
	v_lshlrev_b32_e32 v30, 16, v21
	v_lshlrev_b32_e32 v32, 16, v23
	s_wait_loadcnt 0x0
	v_lshlrev_b32_e32 v34, 16, v25
	v_lshlrev_b32_e32 v6, 16, v17
	s_delay_alu instid0(VALU_DEP_2) | instskip(SKIP_1) | instid1(VALU_DEP_3)
	v_dual_fmac_f32 v10, v32, v34 :: v_dual_lshlrev_b32 v29, 16, v20
	v_fmac_f32_e32 v13, v30, v34
	v_dual_fmac_f32 v12, v6, v34 :: v_dual_and_b32 v17, 0xffff0000, v17
	v_lshlrev_b32_e32 v6, 16, v26
	v_and_b32_e32 v23, 0xffff0000, v23
	v_and_b32_e32 v25, 0xffff0000, v25
	v_lshlrev_b32_e32 v31, 16, v22
	v_and_b32_e32 v22, 0xffff0000, v22
	s_delay_alu instid0(VALU_DEP_3) | instskip(SKIP_3) | instid1(VALU_DEP_3)
	v_fmac_f32_e32 v10, v23, v25
	v_lshlrev_b32_e32 v28, 16, v19
	v_dual_fmac_f32 v12, v17, v25 :: v_dual_and_b32 v19, 0xffff0000, v19
	v_and_b32_e32 v17, 0xffff0000, v26
	v_fmac_f32_e32 v14, v28, v34
	s_delay_alu instid0(VALU_DEP_1) | instskip(NEXT) | instid1(VALU_DEP_1)
	v_dual_fmac_f32 v14, v19, v25 :: v_dual_lshlrev_b32 v27, 16, v18
	v_dual_fmac_f32 v12, v27, v6 :: v_dual_and_b32 v21, 0xffff0000, v21
	v_and_b32_e32 v18, 0xffff0000, v18
	s_delay_alu instid0(VALU_DEP_3) | instskip(NEXT) | instid1(VALU_DEP_3)
	v_fmac_f32_e32 v14, v29, v6
	v_fmac_f32_e32 v13, v21, v25
	s_delay_alu instid0(VALU_DEP_3) | instskip(NEXT) | instid1(VALU_DEP_2)
	v_dual_fmac_f32 v12, v18, v17 :: v_dual_lshlrev_b32 v33, 16, v24
	v_dual_fmac_f32 v13, v31, v6 :: v_dual_and_b32 v24, 0xffff0000, v24
	v_and_b32_e32 v20, 0xffff0000, v20
	s_delay_alu instid0(VALU_DEP_2) | instskip(NEXT) | instid1(VALU_DEP_2)
	v_dual_fmac_f32 v10, v33, v6 :: v_dual_fmac_f32 v13, v22, v17
	v_fmac_f32_e32 v14, v20, v17
	s_delay_alu instid0(VALU_DEP_2)
	v_fmac_f32_e32 v10, v24, v17
	s_wait_alu 0xfffe
	s_and_not1_b32 exec_lo, exec_lo, s7
	s_cbranch_execnz .LBB106_17
; %bb.18:
	s_or_b32 exec_lo, exec_lo, s7
.LBB106_19:
	s_wait_alu 0xfffe
	s_or_b32 exec_lo, exec_lo, s6
	s_delay_alu instid0(SALU_CYCLE_1)
	s_mov_b32 s6, exec_lo
	v_cmpx_lt_u32_e32 23, v1
	s_cbranch_execz .LBB106_23
; %bb.20:
	s_mov_b32 s7, 0
.LBB106_21:                             ; =>This Inner Loop Header: Depth=1
	v_ashrrev_i32_e32 v6, 31, v5
	s_delay_alu instid0(VALU_DEP_1) | instskip(NEXT) | instid1(VALU_DEP_1)
	v_lshlrev_b64_e32 v[16:17], 2, v[5:6]
	v_add_co_u32 v16, vcc_lo, s8, v16
	s_wait_alu 0xfffd
	s_delay_alu instid0(VALU_DEP_2)
	v_add_co_ci_u32_e64 v17, null, s9, v17, vcc_lo
	s_clause 0x3
	global_load_b32 v1, v[16:17], off
	global_load_b32 v6, v[16:17], off offset:32
	global_load_b32 v48, v[16:17], off offset:64
	;; [unrolled: 1-line block ×3, first 2 shown]
	s_clause 0x7
	global_load_b128 v[16:19], v[7:8], off
	global_load_b128 v[20:23], v[7:8], off offset:16
	global_load_b128 v[24:27], v[7:8], off offset:256
	;; [unrolled: 1-line block ×7, first 2 shown]
	s_wait_loadcnt 0xb
	v_subrev_nc_u32_e32 v1, s16, v1
	s_wait_loadcnt 0xa
	v_subrev_nc_u32_e32 v6, s16, v6
	;; [unrolled: 2-line block ×4, first 2 shown]
	s_wait_loadcnt 0x4
	v_lshlrev_b32_e32 v68, 16, v30
	v_and_b32_e32 v30, 0xffff0000, v30
	s_wait_loadcnt 0x2
	v_lshlrev_b32_e32 v75, 16, v37
	v_and_b32_e32 v37, 0xffff0000, v37
	v_lshlrev_b32_e32 v62, 16, v24
	v_lshlrev_b32_e32 v76, 16, v38
	v_and_b32_e32 v38, 0xffff0000, v38
	s_wait_loadcnt 0x0
	v_lshlrev_b32_e32 v82, 16, v44
	v_and_b32_e32 v44, 0xffff0000, v44
	v_and_b32_e32 v24, 0xffff0000, v24
	v_lshlrev_b32_e32 v67, 16, v29
	v_lshlrev_b32_e32 v83, 16, v45
	v_lshlrev_b32_e32 v64, 16, v26
	v_and_b32_e32 v26, 0xffff0000, v26
	v_and_b32_e32 v29, 0xffff0000, v29
	v_lshlrev_b32_e32 v58, 16, v20
	v_lshlrev_b32_e32 v48, 2, v1
	v_lshlrev_b32_e32 v74, 16, v36
	v_and_b32_e32 v36, 0xffff0000, v36
	v_and_b32_e32 v20, 0xffff0000, v20
	v_lshlrev_b32_e32 v50, 2, v6
	v_ashrrev_i32_e32 v49, 31, v48
	v_lshlrev_b32_e32 v60, 16, v22
	v_and_b32_e32 v22, 0xffff0000, v22
	v_lshlrev_b32_e32 v59, 16, v21
	v_lshlrev_b32_e32 v52, 2, v51
	v_lshlrev_b64_e32 v[48:49], 1, v[48:49]
	v_ashrrev_i32_e32 v51, 31, v50
	v_and_b32_e32 v21, 0xffff0000, v21
	v_lshlrev_b32_e32 v54, 2, v53
	v_ashrrev_i32_e32 v53, 31, v52
	v_lshlrev_b32_e32 v56, 16, v18
	s_wait_kmcnt 0x0
	v_add_co_u32 v48, vcc_lo, s4, v48
	s_wait_alu 0xfffd
	v_add_co_ci_u32_e64 v49, null, s5, v49, vcc_lo
	v_lshlrev_b64_e32 v[50:51], 1, v[50:51]
	v_lshlrev_b64_e32 v[52:53], 1, v[52:53]
	v_ashrrev_i32_e32 v55, 31, v54
	global_load_b64 v[48:49], v[48:49], off
	v_and_b32_e32 v18, 0xffff0000, v18
	v_and_b32_e32 v45, 0xffff0000, v45
	v_add_co_u32 v50, vcc_lo, s4, v50
	s_wait_alu 0xfffd
	v_add_co_ci_u32_e64 v51, null, s5, v51, vcc_lo
	v_add_co_u32 v52, vcc_lo, s4, v52
	s_wait_alu 0xfffd
	v_add_co_ci_u32_e64 v53, null, s5, v53, vcc_lo
	global_load_b64 v[50:51], v[50:51], off
	v_lshlrev_b64_e32 v[54:55], 1, v[54:55]
	v_lshlrev_b32_e32 v66, 16, v28
	global_load_b64 v[52:53], v[52:53], off
	v_and_b32_e32 v6, 0xffff0000, v16
	v_and_b32_e32 v28, 0xffff0000, v28
	v_lshlrev_b32_e32 v70, 16, v32
	v_add_co_u32 v54, vcc_lo, s4, v54
	s_wait_alu 0xfffd
	v_add_co_ci_u32_e64 v55, null, s5, v55, vcc_lo
	v_lshlrev_b32_e32 v72, 16, v34
	v_lshlrev_b32_e32 v78, 16, v40
	v_and_b32_e32 v40, 0xffff0000, v40
	global_load_b64 v[54:55], v[54:55], off
	v_and_b32_e32 v32, 0xffff0000, v32
	v_and_b32_e32 v34, 0xffff0000, v34
	v_lshlrev_b32_e32 v80, 16, v42
	v_and_b32_e32 v42, 0xffff0000, v42
	v_lshlrev_b32_e32 v84, 16, v46
	v_and_b32_e32 v46, 0xffff0000, v46
	v_add_co_u32 v7, vcc_lo, 0x400, v7
	s_wait_alu 0xfffd
	v_add_co_ci_u32_e64 v8, null, 0, v8, vcc_lo
	s_wait_loadcnt 0x3
	v_lshlrev_b32_e32 v86, 16, v48
	v_lshlrev_b32_e32 v1, 16, v16
	;; [unrolled: 1-line block ×3, first 2 shown]
	v_and_b32_e32 v17, 0xffff0000, v17
	v_and_b32_e32 v48, 0xffff0000, v48
	v_dual_fmac_f32 v14, v56, v86 :: v_dual_add_nc_u32 v5, 32, v5
	v_fmac_f32_e32 v12, v1, v86
	v_fmac_f32_e32 v13, v58, v86
	v_dual_fmac_f32 v10, v60, v86 :: v_dual_lshlrev_b32 v57, 16, v19
	s_delay_alu instid0(VALU_DEP_4) | instskip(NEXT) | instid1(VALU_DEP_4)
	v_dual_fmac_f32 v14, v18, v48 :: v_dual_and_b32 v19, 0xffff0000, v19
	v_dual_fmac_f32 v12, v6, v48 :: v_dual_lshlrev_b32 v1, 16, v49
	v_lshlrev_b32_e32 v61, 16, v23
	v_fmac_f32_e32 v13, v20, v48
	v_dual_fmac_f32 v10, v22, v48 :: v_dual_and_b32 v23, 0xffff0000, v23
	s_delay_alu instid0(VALU_DEP_4) | instskip(SKIP_2) | instid1(VALU_DEP_4)
	v_fmac_f32_e32 v14, v57, v1
	v_and_b32_e32 v6, 0xffff0000, v49
	v_dual_fmac_f32 v12, v16, v1 :: v_dual_lshlrev_b32 v65, 16, v27
	v_fmac_f32_e32 v10, v61, v1
	v_fmac_f32_e32 v13, v59, v1
	s_delay_alu instid0(VALU_DEP_4) | instskip(NEXT) | instid1(VALU_DEP_3)
	v_dual_fmac_f32 v14, v19, v6 :: v_dual_lshlrev_b32 v63, 16, v25
	v_dual_fmac_f32 v10, v23, v6 :: v_dual_and_b32 v25, 0xffff0000, v25
	s_wait_loadcnt 0x2
	v_lshlrev_b32_e32 v1, 16, v50
	v_fmac_f32_e32 v12, v17, v6
	v_fmac_f32_e32 v13, v21, v6
	v_and_b32_e32 v27, 0xffff0000, v27
	s_delay_alu instid0(VALU_DEP_4)
	v_dual_fmac_f32 v14, v64, v1 :: v_dual_lshlrev_b32 v69, 16, v31
	v_dual_fmac_f32 v10, v68, v1 :: v_dual_and_b32 v31, 0xffff0000, v31
	v_and_b32_e32 v6, 0xffff0000, v50
	v_fmac_f32_e32 v12, v62, v1
	v_fmac_f32_e32 v13, v66, v1
	v_lshlrev_b32_e32 v71, 16, v33
	s_delay_alu instid0(VALU_DEP_4) | instskip(NEXT) | instid1(VALU_DEP_4)
	v_dual_fmac_f32 v14, v26, v6 :: v_dual_lshlrev_b32 v1, 16, v51
	v_fmac_f32_e32 v12, v24, v6
	s_delay_alu instid0(VALU_DEP_4) | instskip(SKIP_1) | instid1(VALU_DEP_4)
	v_fmac_f32_e32 v13, v28, v6
	v_dual_fmac_f32 v10, v30, v6 :: v_dual_lshlrev_b32 v73, 16, v35
	v_dual_fmac_f32 v14, v65, v1 :: v_dual_and_b32 v35, 0xffff0000, v35
	s_delay_alu instid0(VALU_DEP_2)
	v_dual_fmac_f32 v10, v69, v1 :: v_dual_lshlrev_b32 v77, 16, v39
	v_and_b32_e32 v6, 0xffff0000, v51
	v_fmac_f32_e32 v12, v63, v1
	v_fmac_f32_e32 v13, v67, v1
	v_and_b32_e32 v33, 0xffff0000, v33
	s_wait_loadcnt 0x1
	v_dual_fmac_f32 v14, v27, v6 :: v_dual_lshlrev_b32 v1, 16, v52
	v_fmac_f32_e32 v12, v25, v6
	v_fmac_f32_e32 v13, v29, v6
	v_dual_fmac_f32 v10, v31, v6 :: v_dual_and_b32 v39, 0xffff0000, v39
	s_delay_alu instid0(VALU_DEP_4) | instskip(NEXT) | instid1(VALU_DEP_2)
	v_dual_fmac_f32 v14, v72, v1 :: v_dual_lshlrev_b32 v81, 16, v43
	v_dual_fmac_f32 v10, v76, v1 :: v_dual_and_b32 v43, 0xffff0000, v43
	v_and_b32_e32 v6, 0xffff0000, v52
	v_fmac_f32_e32 v12, v70, v1
	v_fmac_f32_e32 v13, v74, v1
	v_lshlrev_b32_e32 v79, 16, v41
	s_delay_alu instid0(VALU_DEP_4) | instskip(NEXT) | instid1(VALU_DEP_4)
	v_dual_fmac_f32 v14, v34, v6 :: v_dual_and_b32 v41, 0xffff0000, v41
	v_dual_fmac_f32 v12, v32, v6 :: v_dual_lshlrev_b32 v1, 16, v53
	s_delay_alu instid0(VALU_DEP_4) | instskip(SKIP_1) | instid1(VALU_DEP_3)
	v_fmac_f32_e32 v13, v36, v6
	v_dual_fmac_f32 v10, v38, v6 :: v_dual_lshlrev_b32 v85, 16, v47
	v_dual_fmac_f32 v14, v73, v1 :: v_dual_and_b32 v47, 0xffff0000, v47
	v_and_b32_e32 v6, 0xffff0000, v53
	v_fmac_f32_e32 v12, v71, v1
	v_fmac_f32_e32 v13, v75, v1
	s_wait_loadcnt 0x0
	v_dual_fmac_f32 v10, v77, v1 :: v_dual_lshlrev_b32 v1, 16, v54
	v_fmac_f32_e32 v14, v35, v6
	v_fmac_f32_e32 v12, v33, v6
	;; [unrolled: 1-line block ×3, first 2 shown]
	s_delay_alu instid0(VALU_DEP_4)
	v_fmac_f32_e32 v10, v39, v6
	v_and_b32_e32 v6, 0xffff0000, v54
	v_fmac_f32_e32 v14, v80, v1
	v_fmac_f32_e32 v12, v78, v1
	;; [unrolled: 1-line block ×3, first 2 shown]
	v_dual_fmac_f32 v10, v84, v1 :: v_dual_lshlrev_b32 v1, 16, v55
	s_delay_alu instid0(VALU_DEP_4) | instskip(NEXT) | instid1(VALU_DEP_4)
	v_fmac_f32_e32 v14, v42, v6
	v_fmac_f32_e32 v12, v40, v6
	s_delay_alu instid0(VALU_DEP_4) | instskip(NEXT) | instid1(VALU_DEP_4)
	v_fmac_f32_e32 v13, v44, v6
	v_fmac_f32_e32 v10, v46, v6
	v_and_b32_e32 v6, 0xffff0000, v55
	v_fmac_f32_e32 v14, v81, v1
	v_fmac_f32_e32 v12, v79, v1
	;; [unrolled: 1-line block ×4, first 2 shown]
	v_cmp_ge_i32_e32 vcc_lo, v5, v11
	v_fmac_f32_e32 v14, v43, v6
	v_fmac_f32_e32 v12, v41, v6
	;; [unrolled: 1-line block ×4, first 2 shown]
	s_wait_alu 0xfffe
	s_or_b32 s7, vcc_lo, s7
	s_wait_alu 0xfffe
	s_and_not1_b32 exec_lo, exec_lo, s7
	s_cbranch_execnz .LBB106_21
; %bb.22:
	s_or_b32 exec_lo, exec_lo, s7
.LBB106_23:
	s_wait_alu 0xfffe
	s_or_b32 exec_lo, exec_lo, s6
.LBB106_24:
	s_wait_alu 0xfffe
	s_or_b32 exec_lo, exec_lo, s3
	s_cbranch_execz .LBB106_26
	s_branch .LBB106_37
.LBB106_25:
                                        ; implicit-def: $vgpr10
                                        ; implicit-def: $vgpr13
                                        ; implicit-def: $vgpr14
                                        ; implicit-def: $vgpr12
.LBB106_26:
	v_dual_mov_b32 v10, 0 :: v_dual_mov_b32 v13, 0
	v_mov_b32_e32 v14, 0
	v_mov_b32_e32 v12, 0
	s_and_saveexec_b32 s3, s2
	s_cbranch_execz .LBB106_36
; %bb.27:
	v_dual_mov_b32 v12, 0 :: v_dual_add_nc_u32 v1, v15, v9
	v_not_b32_e32 v5, v15
	v_mov_b32_e32 v13, 0
	s_mov_b32 s2, exec_lo
	s_delay_alu instid0(VALU_DEP_3) | instskip(SKIP_1) | instid1(VALU_DEP_2)
	v_subrev_nc_u32_e32 v1, s16, v1
	v_mov_b32_e32 v14, 0
	v_dual_mov_b32 v10, 0 :: v_dual_add_nc_u32 v1, 8, v1
	s_delay_alu instid0(VALU_DEP_1) | instskip(NEXT) | instid1(VALU_DEP_1)
	v_max_i32_e32 v1, v1, v11
	v_add3_u32 v1, s16, v1, v5
	s_delay_alu instid0(VALU_DEP_1) | instskip(NEXT) | instid1(VALU_DEP_1)
	v_sub_nc_u32_e32 v5, v1, v9
	v_and_b32_e32 v1, 24, v5
	s_delay_alu instid0(VALU_DEP_1)
	v_cmpx_ne_u32_e32 24, v1
	s_cbranch_execz .LBB106_31
; %bb.28:
	v_lshrrev_b32_e32 v1, 3, v5
	v_dual_mov_b32 v13, 0 :: v_dual_mov_b32 v12, 0
	s_mov_b32 s6, 0
	s_delay_alu instid0(VALU_DEP_2) | instskip(NEXT) | instid1(VALU_DEP_1)
	v_dual_mov_b32 v10, 0 :: v_dual_add_nc_u32 v1, 1, v1
	v_dual_mov_b32 v14, 0 :: v_dual_and_b32 v1, 3, v1
	s_delay_alu instid0(VALU_DEP_1)
	v_sub_nc_u32_e32 v6, 0, v1
.LBB106_29:                             ; =>This Inner Loop Header: Depth=1
	v_ashrrev_i32_e32 v1, 31, v0
	s_delay_alu instid0(VALU_DEP_2) | instskip(SKIP_2) | instid1(VALU_DEP_2)
	v_add_co_u32 v6, s7, v6, 1
	s_wait_alu 0xfffe
	s_or_b32 s6, s7, s6
	v_lshlrev_b64_e32 v[7:8], 2, v[0:1]
	v_add_nc_u32_e32 v0, 8, v0
	s_delay_alu instid0(VALU_DEP_2) | instskip(SKIP_1) | instid1(VALU_DEP_3)
	v_add_co_u32 v7, vcc_lo, s8, v7
	s_wait_alu 0xfffd
	v_add_co_ci_u32_e64 v8, null, s9, v8, vcc_lo
	global_load_b32 v1, v[7:8], off
	global_load_b128 v[15:18], v[2:3], off
	s_wait_loadcnt 0x1
	v_subrev_nc_u32_e32 v1, s16, v1
	s_delay_alu instid0(VALU_DEP_1) | instskip(NEXT) | instid1(VALU_DEP_1)
	v_lshlrev_b32_e32 v7, 2, v1
	v_ashrrev_i32_e32 v8, 31, v7
	s_delay_alu instid0(VALU_DEP_1) | instskip(SKIP_1) | instid1(VALU_DEP_1)
	v_lshlrev_b64_e32 v[7:8], 1, v[7:8]
	s_wait_kmcnt 0x0
	v_add_co_u32 v7, vcc_lo, s4, v7
	s_wait_alu 0xfffd
	s_delay_alu instid0(VALU_DEP_2)
	v_add_co_ci_u32_e64 v8, null, s5, v8, vcc_lo
	global_load_b64 v[7:8], v[7:8], off
	global_load_b128 v[19:22], v[2:3], off offset:16
	v_add_co_u32 v2, vcc_lo, 0x100, v2
	s_wait_alu 0xfffd
	v_add_co_ci_u32_e64 v3, null, 0, v3, vcc_lo
	s_wait_loadcnt 0x1
	v_lshlrev_b32_e32 v30, 16, v7
	v_lshlrev_b32_e32 v1, 16, v15
	v_and_b32_e32 v7, 0xffff0000, v7
	v_lshlrev_b32_e32 v25, 16, v18
	v_lshlrev_b32_e32 v24, 16, v17
	;; [unrolled: 1-line block ×3, first 2 shown]
	v_and_b32_e32 v16, 0xffff0000, v16
	v_and_b32_e32 v15, 0xffff0000, v15
	s_wait_loadcnt 0x0
	v_lshlrev_b32_e32 v26, 16, v19
	v_lshlrev_b32_e32 v28, 16, v21
	v_fmac_f32_e32 v10, v16, v30
	v_fmac_f32_e32 v14, v15, v30
	v_dual_fmac_f32 v12, v1, v30 :: v_dual_lshlrev_b32 v1, 16, v8
	s_delay_alu instid0(VALU_DEP_1) | instskip(SKIP_1) | instid1(VALU_DEP_2)
	v_fmac_f32_e32 v12, v24, v7
	v_and_b32_e32 v19, 0xffff0000, v19
	v_dual_fmac_f32 v13, v23, v30 :: v_dual_fmac_f32 v12, v26, v1
	v_lshlrev_b32_e32 v27, 16, v20
	v_and_b32_e32 v18, 0xffff0000, v18
	s_delay_alu instid0(VALU_DEP_1) | instskip(NEXT) | instid1(VALU_DEP_1)
	v_dual_fmac_f32 v10, v18, v7 :: v_dual_and_b32 v17, 0xffff0000, v17
	v_fmac_f32_e32 v14, v17, v7
	v_fmac_f32_e32 v13, v25, v7
	v_and_b32_e32 v7, 0xffff0000, v8
	v_and_b32_e32 v21, 0xffff0000, v21
	s_delay_alu instid0(VALU_DEP_4) | instskip(NEXT) | instid1(VALU_DEP_3)
	v_fmac_f32_e32 v14, v19, v1
	v_fmac_f32_e32 v12, v28, v7
	s_delay_alu instid0(VALU_DEP_2) | instskip(SKIP_1) | instid1(VALU_DEP_1)
	v_dual_fmac_f32 v14, v21, v7 :: v_dual_lshlrev_b32 v29, 16, v22
	v_dual_fmac_f32 v13, v27, v1 :: v_dual_and_b32 v20, 0xffff0000, v20
	v_dual_fmac_f32 v13, v29, v7 :: v_dual_and_b32 v22, 0xffff0000, v22
	s_delay_alu instid0(VALU_DEP_2) | instskip(NEXT) | instid1(VALU_DEP_1)
	v_fmac_f32_e32 v10, v20, v1
	v_fmac_f32_e32 v10, v22, v7
	s_wait_alu 0xfffe
	s_and_not1_b32 exec_lo, exec_lo, s6
	s_cbranch_execnz .LBB106_29
; %bb.30:
	s_or_b32 exec_lo, exec_lo, s6
.LBB106_31:
	s_wait_alu 0xfffe
	s_or_b32 exec_lo, exec_lo, s2
	s_delay_alu instid0(SALU_CYCLE_1)
	s_mov_b32 s2, exec_lo
	v_cmpx_lt_u32_e32 23, v5
	s_cbranch_execz .LBB106_35
; %bb.32:
	s_mov_b32 s6, 0
.LBB106_33:                             ; =>This Inner Loop Header: Depth=1
	v_ashrrev_i32_e32 v1, 31, v0
	s_delay_alu instid0(VALU_DEP_1) | instskip(NEXT) | instid1(VALU_DEP_1)
	v_lshlrev_b64_e32 v[5:6], 2, v[0:1]
	v_add_co_u32 v5, vcc_lo, s8, v5
	s_wait_alu 0xfffd
	s_delay_alu instid0(VALU_DEP_2)
	v_add_co_ci_u32_e64 v6, null, s9, v6, vcc_lo
	s_clause 0x3
	global_load_b32 v1, v[5:6], off
	global_load_b32 v39, v[5:6], off offset:32
	global_load_b32 v40, v[5:6], off offset:64
	;; [unrolled: 1-line block ×3, first 2 shown]
	s_clause 0x6
	global_load_b128 v[5:8], v[2:3], off
	global_load_b128 v[15:18], v[2:3], off offset:16
	global_load_b128 v[19:22], v[2:3], off offset:256
	;; [unrolled: 1-line block ×6, first 2 shown]
	s_wait_loadcnt 0xa
	v_subrev_nc_u32_e32 v1, s16, v1
	s_wait_loadcnt 0x9
	v_subrev_nc_u32_e32 v42, s16, v39
	;; [unrolled: 2-line block ×4, first 2 shown]
	v_lshlrev_b32_e32 v39, 2, v1
	s_wait_loadcnt 0x5
	v_lshlrev_b32_e32 v56, 16, v17
	v_and_b32_e32 v17, 0xffff0000, v17
	v_lshlrev_b32_e32 v55, 16, v16
	v_lshlrev_b32_e32 v52, 16, v7
	;; [unrolled: 1-line block ×4, first 2 shown]
	s_wait_loadcnt 0x4
	v_lshlrev_b32_e32 v59, 16, v20
	v_lshlrev_b32_e32 v54, 16, v15
	v_and_b32_e32 v15, 0xffff0000, v15
	v_and_b32_e32 v7, 0xffff0000, v7
	v_lshlrev_b32_e32 v1, 16, v5
	s_wait_loadcnt 0x2
	v_lshlrev_b32_e32 v67, 16, v28
	v_and_b32_e32 v20, 0xffff0000, v20
	v_lshlrev_b32_e32 v61, 16, v22
	v_and_b32_e32 v16, 0xffff0000, v16
	;; [unrolled: 2-line block ×3, first 2 shown]
	v_and_b32_e32 v5, 0xffff0000, v5
	v_lshlrev_b32_e32 v43, 2, v40
	v_ashrrev_i32_e32 v40, 31, v39
	v_lshlrev_b32_e32 v51, 16, v6
	v_and_b32_e32 v6, 0xffff0000, v6
	v_lshlrev_b32_e32 v45, 2, v44
	v_ashrrev_i32_e32 v42, 31, v41
	v_ashrrev_i32_e32 v44, 31, v43
	v_lshlrev_b64_e32 v[39:40], 1, v[39:40]
	s_wait_loadcnt 0x1
	v_lshlrev_b32_e32 v70, 16, v31
	v_ashrrev_i32_e32 v46, 31, v45
	v_lshlrev_b64_e32 v[41:42], 1, v[41:42]
	v_lshlrev_b64_e32 v[43:44], 1, v[43:44]
	v_lshlrev_b32_e32 v72, 16, v33
	s_wait_kmcnt 0x0
	v_add_co_u32 v39, vcc_lo, s4, v39
	v_lshlrev_b64_e32 v[45:46], 1, v[45:46]
	s_wait_alu 0xfffd
	v_add_co_ci_u32_e64 v40, null, s5, v40, vcc_lo
	v_add_co_u32 v41, vcc_lo, s4, v41
	s_wait_alu 0xfffd
	v_add_co_ci_u32_e64 v42, null, s5, v42, vcc_lo
	v_add_co_u32 v43, vcc_lo, s4, v43
	;; [unrolled: 3-line block ×3, first 2 shown]
	s_wait_alu 0xfffd
	v_add_co_ci_u32_e64 v46, null, s5, v46, vcc_lo
	s_clause 0x3
	global_load_b64 v[47:48], v[39:40], off
	global_load_b64 v[49:50], v[41:42], off
	;; [unrolled: 1-line block ×4, first 2 shown]
	global_load_b128 v[39:42], v[2:3], off offset:784
	v_lshlrev_b32_e32 v69, 16, v30
	v_and_b32_e32 v22, 0xffff0000, v22
	v_lshlrev_b32_e32 v65, 16, v26
	v_lshlrev_b32_e32 v58, 16, v19
	;; [unrolled: 1-line block ×3, first 2 shown]
	v_and_b32_e32 v21, 0xffff0000, v21
	v_lshlrev_b32_e32 v64, 16, v25
	v_and_b32_e32 v25, 0xffff0000, v25
	v_lshlrev_b32_e32 v71, 16, v32
	v_lshlrev_b32_e32 v62, 16, v23
	v_and_b32_e32 v33, 0xffff0000, v33
	v_and_b32_e32 v32, 0xffff0000, v32
	v_lshlrev_b32_e32 v68, 16, v29
	v_and_b32_e32 v29, 0xffff0000, v29
	s_wait_loadcnt 0x5
	v_lshlrev_b32_e32 v74, 16, v35
	v_lshlrev_b32_e32 v76, 16, v37
	v_and_b32_e32 v37, 0xffff0000, v37
	v_add_co_u32 v2, vcc_lo, 0x400, v2
	s_wait_alu 0xfffd
	v_add_co_ci_u32_e64 v3, null, 0, v3, vcc_lo
	s_wait_loadcnt 0x4
	v_lshlrev_b32_e32 v82, 16, v47
	v_and_b32_e32 v47, 0xffff0000, v47
	s_wait_loadcnt 0x0
	s_delay_alu instid0(VALU_DEP_2)
	v_dual_fmac_f32 v10, v6, v82 :: v_dual_lshlrev_b32 v79, 16, v40
	v_and_b32_e32 v28, 0xffff0000, v28
	v_lshlrev_b32_e32 v77, 16, v38
	v_lshlrev_b32_e32 v66, 16, v27
	;; [unrolled: 1-line block ×3, first 2 shown]
	v_fmac_f32_e32 v10, v8, v47
	v_dual_fmac_f32 v14, v5, v82 :: v_dual_and_b32 v5, 0xffff0000, v48
	v_and_b32_e32 v38, 0xffff0000, v38
	v_and_b32_e32 v40, 0xffff0000, v40
	v_lshlrev_b32_e32 v80, 16, v41
	s_delay_alu instid0(VALU_DEP_4) | instskip(SKIP_1) | instid1(VALU_DEP_1)
	v_fmac_f32_e32 v14, v7, v47
	v_dual_fmac_f32 v12, v1, v82 :: v_dual_lshlrev_b32 v1, 16, v48
	v_dual_fmac_f32 v12, v52, v47 :: v_dual_and_b32 v41, 0xffff0000, v41
	s_delay_alu instid0(VALU_DEP_2) | instskip(NEXT) | instid1(VALU_DEP_2)
	v_fmac_f32_e32 v10, v16, v1
	v_fmac_f32_e32 v12, v54, v1
	v_dual_fmac_f32 v13, v51, v82 :: v_dual_add_nc_u32 v0, 32, v0
	s_delay_alu instid0(VALU_DEP_2) | instskip(NEXT) | instid1(VALU_DEP_2)
	v_fmac_f32_e32 v12, v56, v5
	v_dual_fmac_f32 v14, v15, v1 :: v_dual_fmac_f32 v13, v53, v47
	s_delay_alu instid0(VALU_DEP_3) | instskip(NEXT) | instid1(VALU_DEP_2)
	v_cmp_ge_i32_e32 vcc_lo, v0, v11
	v_fmac_f32_e32 v14, v17, v5
	s_delay_alu instid0(VALU_DEP_3) | instskip(SKIP_4) | instid1(VALU_DEP_2)
	v_fmac_f32_e32 v13, v55, v1
	v_lshlrev_b32_e32 v1, 16, v49
	v_and_b32_e32 v19, 0xffff0000, v19
	s_wait_alu 0xfffe
	s_or_b32 s6, vcc_lo, s6
	v_fmac_f32_e32 v12, v58, v1
	s_delay_alu instid0(VALU_DEP_2) | instskip(SKIP_1) | instid1(VALU_DEP_1)
	v_dual_fmac_f32 v14, v19, v1 :: v_dual_lshlrev_b32 v63, 16, v24
	v_and_b32_e32 v18, 0xffff0000, v18
	v_fmac_f32_e32 v10, v18, v5
	v_fmac_f32_e32 v13, v57, v5
	v_and_b32_e32 v5, 0xffff0000, v49
	s_delay_alu instid0(VALU_DEP_3) | instskip(NEXT) | instid1(VALU_DEP_3)
	v_dual_fmac_f32 v10, v20, v1 :: v_dual_and_b32 v23, 0xffff0000, v23
	v_fmac_f32_e32 v13, v59, v1
	s_delay_alu instid0(VALU_DEP_3) | instskip(SKIP_1) | instid1(VALU_DEP_4)
	v_dual_fmac_f32 v14, v21, v5 :: v_dual_lshlrev_b32 v1, 16, v50
	v_fmac_f32_e32 v12, v60, v5
	v_fmac_f32_e32 v10, v22, v5
	s_delay_alu instid0(VALU_DEP_4) | instskip(NEXT) | instid1(VALU_DEP_4)
	v_fmac_f32_e32 v13, v61, v5
	v_dual_fmac_f32 v14, v23, v1 :: v_dual_and_b32 v5, 0xffff0000, v50
	s_delay_alu instid0(VALU_DEP_4) | instskip(NEXT) | instid1(VALU_DEP_3)
	v_dual_fmac_f32 v12, v62, v1 :: v_dual_and_b32 v27, 0xffff0000, v27
	v_fmac_f32_e32 v13, v63, v1
	s_delay_alu instid0(VALU_DEP_3)
	v_dual_fmac_f32 v14, v25, v5 :: v_dual_and_b32 v31, 0xffff0000, v31
	v_lshlrev_b32_e32 v75, 16, v36
	v_and_b32_e32 v26, 0xffff0000, v26
	v_lshlrev_b32_e32 v73, 16, v34
	v_and_b32_e32 v24, 0xffff0000, v24
	v_and_b32_e32 v34, 0xffff0000, v34
	v_fmac_f32_e32 v12, v64, v5
	v_dual_fmac_f32 v13, v65, v5 :: v_dual_and_b32 v36, 0xffff0000, v36
	s_delay_alu instid0(VALU_DEP_4) | instskip(NEXT) | instid1(VALU_DEP_1)
	v_dual_fmac_f32 v10, v24, v1 :: v_dual_lshlrev_b32 v1, 16, v43
	v_dual_fmac_f32 v10, v26, v5 :: v_dual_and_b32 v35, 0xffff0000, v35
	s_delay_alu instid0(VALU_DEP_2) | instskip(SKIP_2) | instid1(VALU_DEP_4)
	v_dual_fmac_f32 v12, v66, v1 :: v_dual_and_b32 v5, 0xffff0000, v43
	v_fmac_f32_e32 v14, v27, v1
	v_fmac_f32_e32 v13, v67, v1
	v_dual_fmac_f32 v10, v28, v1 :: v_dual_lshlrev_b32 v81, 16, v42
	v_and_b32_e32 v30, 0xffff0000, v30
	v_dual_fmac_f32 v12, v68, v5 :: v_dual_and_b32 v39, 0xffff0000, v39
	v_dual_fmac_f32 v14, v29, v5 :: v_dual_lshlrev_b32 v1, 16, v44
	v_fmac_f32_e32 v13, v69, v5
	s_delay_alu instid0(VALU_DEP_4) | instskip(SKIP_1) | instid1(VALU_DEP_4)
	v_fmac_f32_e32 v10, v30, v5
	v_and_b32_e32 v42, 0xffff0000, v42
	v_fmac_f32_e32 v12, v70, v1
	v_fmac_f32_e32 v14, v31, v1
	;; [unrolled: 1-line block ×4, first 2 shown]
	v_lshlrev_b32_e32 v1, 16, v45
	v_and_b32_e32 v5, 0xffff0000, v44
	s_delay_alu instid0(VALU_DEP_1) | instskip(NEXT) | instid1(VALU_DEP_1)
	v_fmac_f32_e32 v14, v33, v5
	v_fmac_f32_e32 v14, v35, v1
	;; [unrolled: 1-line block ×5, first 2 shown]
	v_and_b32_e32 v5, 0xffff0000, v45
	s_delay_alu instid0(VALU_DEP_4) | instskip(NEXT) | instid1(VALU_DEP_4)
	v_fmac_f32_e32 v12, v74, v1
	v_fmac_f32_e32 v13, v75, v1
	s_delay_alu instid0(VALU_DEP_4) | instskip(NEXT) | instid1(VALU_DEP_4)
	v_dual_fmac_f32 v10, v36, v1 :: v_dual_lshlrev_b32 v1, 16, v46
	v_fmac_f32_e32 v14, v37, v5
	s_delay_alu instid0(VALU_DEP_4) | instskip(NEXT) | instid1(VALU_DEP_4)
	v_fmac_f32_e32 v12, v76, v5
	v_fmac_f32_e32 v13, v77, v5
	s_delay_alu instid0(VALU_DEP_4) | instskip(NEXT) | instid1(VALU_DEP_4)
	v_dual_fmac_f32 v10, v38, v5 :: v_dual_and_b32 v5, 0xffff0000, v46
	v_fmac_f32_e32 v14, v39, v1
	s_delay_alu instid0(VALU_DEP_4) | instskip(NEXT) | instid1(VALU_DEP_4)
	v_fmac_f32_e32 v12, v78, v1
	v_fmac_f32_e32 v13, v79, v1
	s_delay_alu instid0(VALU_DEP_4) | instskip(NEXT) | instid1(VALU_DEP_4)
	v_fmac_f32_e32 v10, v40, v1
	v_fmac_f32_e32 v14, v41, v5
	s_delay_alu instid0(VALU_DEP_4) | instskip(NEXT) | instid1(VALU_DEP_4)
	v_fmac_f32_e32 v12, v80, v5
	v_fmac_f32_e32 v13, v81, v5
	s_delay_alu instid0(VALU_DEP_4)
	v_fmac_f32_e32 v10, v42, v5
	s_wait_alu 0xfffe
	s_and_not1_b32 exec_lo, exec_lo, s6
	s_cbranch_execnz .LBB106_33
; %bb.34:
	s_or_b32 exec_lo, exec_lo, s6
.LBB106_35:
	s_wait_alu 0xfffe
	s_or_b32 exec_lo, exec_lo, s2
.LBB106_36:
	s_wait_alu 0xfffe
	s_or_b32 exec_lo, exec_lo, s3
.LBB106_37:
	v_mbcnt_lo_u32_b32 v0, -1, 0
	s_mov_b32 s2, -1
	s_delay_alu instid0(VALU_DEP_1) | instskip(SKIP_2) | instid1(VALU_DEP_3)
	v_xor_b32_e32 v1, 4, v0
	v_xor_b32_e32 v6, 2, v0
	;; [unrolled: 1-line block ×3, first 2 shown]
	v_cmp_gt_i32_e32 vcc_lo, 32, v1
	s_wait_alu 0xfffd
	v_cndmask_b32_e32 v1, v0, v1, vcc_lo
	v_cmp_gt_i32_e32 vcc_lo, 32, v6
	s_wait_alu 0xfffd
	v_cndmask_b32_e32 v6, v0, v6, vcc_lo
	v_cmp_gt_i32_e32 vcc_lo, 32, v11
	s_delay_alu instid0(VALU_DEP_2)
	v_lshlrev_b32_e32 v6, 2, v6
	s_wait_alu 0xfffd
	v_dual_cndmask_b32 v0, v0, v11 :: v_dual_lshlrev_b32 v1, 2, v1
	v_cmp_eq_u32_e32 vcc_lo, 7, v9
	ds_bpermute_b32 v2, v1, v12
	s_wait_dscnt 0x0
	v_add_f32_e32 v2, v12, v2
	ds_bpermute_b32 v5, v1, v13
	ds_bpermute_b32 v3, v1, v14
	;; [unrolled: 1-line block ×3, first 2 shown]
	s_wait_dscnt 0x2
	v_add_f32_e32 v5, v13, v5
	s_wait_dscnt 0x1
	v_add_f32_e32 v3, v14, v3
	;; [unrolled: 2-line block ×3, first 2 shown]
	ds_bpermute_b32 v1, v6, v2
	v_lshlrev_b32_e32 v11, 2, v0
	ds_bpermute_b32 v10, v6, v5
	ds_bpermute_b32 v8, v6, v3
	s_wait_dscnt 0x2
	v_add_f32_e32 v0, v2, v1
	s_wait_dscnt 0x1
	v_add_f32_e32 v2, v5, v10
	ds_bpermute_b32 v6, v6, v7
	s_wait_dscnt 0x1
	v_add_f32_e32 v1, v3, v8
	ds_bpermute_b32 v5, v11, v0
	;; [unrolled: 3-line block ×3, first 2 shown]
	ds_bpermute_b32 v7, v11, v2
	ds_bpermute_b32 v8, v11, v3
	s_and_b32 exec_lo, exec_lo, vcc_lo
	s_cbranch_execz .LBB106_10
; %bb.38:
	s_load_b64 s[0:1], s[0:1], 0x50
	s_wait_dscnt 0x2
	v_dual_add_f32 v0, v0, v5 :: v_dual_add_f32 v1, v1, v6
	s_wait_dscnt 0x0
	v_dual_add_f32 v2, v2, v7 :: v_dual_add_f32 v3, v3, v8
	v_lshlrev_b32_e32 v4, 2, v4
	s_delay_alu instid0(VALU_DEP_3) | instskip(NEXT) | instid1(VALU_DEP_3)
	v_dual_mul_f32 v0, s14, v0 :: v_dual_mul_f32 v1, s14, v1
	v_dual_mul_f32 v2, s14, v2 :: v_dual_mul_f32 v3, s14, v3
	s_cmp_eq_f32 s12, 0
	s_cbranch_scc0 .LBB106_40
; %bb.39:
	v_ashrrev_i32_e32 v5, 31, v4
	s_mov_b32 s2, 0
	s_delay_alu instid0(VALU_DEP_1) | instskip(SKIP_1) | instid1(VALU_DEP_1)
	v_lshlrev_b64_e32 v[5:6], 2, v[4:5]
	s_wait_kmcnt 0x0
	v_add_co_u32 v5, vcc_lo, s0, v5
	s_wait_alu 0xfffd
	s_delay_alu instid0(VALU_DEP_2)
	v_add_co_ci_u32_e64 v6, null, s1, v6, vcc_lo
	global_store_b128 v[5:6], v[0:3], off
.LBB106_40:
	s_wait_alu 0xfffe
	s_and_not1_b32 vcc_lo, exec_lo, s2
	s_wait_alu 0xfffe
	s_cbranch_vccnz .LBB106_10
; %bb.41:
	v_ashrrev_i32_e32 v5, 31, v4
	s_delay_alu instid0(VALU_DEP_1) | instskip(SKIP_1) | instid1(VALU_DEP_1)
	v_lshlrev_b64_e32 v[4:5], 2, v[4:5]
	s_wait_kmcnt 0x0
	v_add_co_u32 v8, vcc_lo, s0, v4
	s_wait_alu 0xfffd
	s_delay_alu instid0(VALU_DEP_2)
	v_add_co_ci_u32_e64 v9, null, s1, v5, vcc_lo
	global_load_b128 v[4:7], v[8:9], off
	s_wait_loadcnt 0x0
	v_dual_fmac_f32 v0, s12, v4 :: v_dual_fmac_f32 v1, s12, v5
	v_dual_fmac_f32 v2, s12, v6 :: v_dual_fmac_f32 v3, s12, v7
	global_store_b128 v[8:9], v[0:3], off
	s_endpgm
	.section	.rodata,"a",@progbits
	.p2align	6, 0x0
	.amdhsa_kernel _ZN9rocsparseL18bsrxmvn_4x4_kernelILj128ELj8Efii18rocsparse_bfloat16S1_fEEvT3_20rocsparse_direction_NS_24const_host_device_scalarIT1_EES2_PKS2_PKT2_SB_S8_PKT4_PKT5_S6_PT6_21rocsparse_index_base_b
		.amdhsa_group_segment_fixed_size 0
		.amdhsa_private_segment_fixed_size 0
		.amdhsa_kernarg_size 96
		.amdhsa_user_sgpr_count 2
		.amdhsa_user_sgpr_dispatch_ptr 0
		.amdhsa_user_sgpr_queue_ptr 0
		.amdhsa_user_sgpr_kernarg_segment_ptr 1
		.amdhsa_user_sgpr_dispatch_id 0
		.amdhsa_user_sgpr_private_segment_size 0
		.amdhsa_wavefront_size32 1
		.amdhsa_uses_dynamic_stack 0
		.amdhsa_enable_private_segment 0
		.amdhsa_system_sgpr_workgroup_id_x 1
		.amdhsa_system_sgpr_workgroup_id_y 0
		.amdhsa_system_sgpr_workgroup_id_z 0
		.amdhsa_system_sgpr_workgroup_info 0
		.amdhsa_system_vgpr_workitem_id 0
		.amdhsa_next_free_vgpr 87
		.amdhsa_next_free_sgpr 18
		.amdhsa_reserve_vcc 1
		.amdhsa_float_round_mode_32 0
		.amdhsa_float_round_mode_16_64 0
		.amdhsa_float_denorm_mode_32 3
		.amdhsa_float_denorm_mode_16_64 3
		.amdhsa_fp16_overflow 0
		.amdhsa_workgroup_processor_mode 1
		.amdhsa_memory_ordered 1
		.amdhsa_forward_progress 1
		.amdhsa_inst_pref_size 39
		.amdhsa_round_robin_scheduling 0
		.amdhsa_exception_fp_ieee_invalid_op 0
		.amdhsa_exception_fp_denorm_src 0
		.amdhsa_exception_fp_ieee_div_zero 0
		.amdhsa_exception_fp_ieee_overflow 0
		.amdhsa_exception_fp_ieee_underflow 0
		.amdhsa_exception_fp_ieee_inexact 0
		.amdhsa_exception_int_div_zero 0
	.end_amdhsa_kernel
	.section	.text._ZN9rocsparseL18bsrxmvn_4x4_kernelILj128ELj8Efii18rocsparse_bfloat16S1_fEEvT3_20rocsparse_direction_NS_24const_host_device_scalarIT1_EES2_PKS2_PKT2_SB_S8_PKT4_PKT5_S6_PT6_21rocsparse_index_base_b,"axG",@progbits,_ZN9rocsparseL18bsrxmvn_4x4_kernelILj128ELj8Efii18rocsparse_bfloat16S1_fEEvT3_20rocsparse_direction_NS_24const_host_device_scalarIT1_EES2_PKS2_PKT2_SB_S8_PKT4_PKT5_S6_PT6_21rocsparse_index_base_b,comdat
.Lfunc_end106:
	.size	_ZN9rocsparseL18bsrxmvn_4x4_kernelILj128ELj8Efii18rocsparse_bfloat16S1_fEEvT3_20rocsparse_direction_NS_24const_host_device_scalarIT1_EES2_PKS2_PKT2_SB_S8_PKT4_PKT5_S6_PT6_21rocsparse_index_base_b, .Lfunc_end106-_ZN9rocsparseL18bsrxmvn_4x4_kernelILj128ELj8Efii18rocsparse_bfloat16S1_fEEvT3_20rocsparse_direction_NS_24const_host_device_scalarIT1_EES2_PKS2_PKT2_SB_S8_PKT4_PKT5_S6_PT6_21rocsparse_index_base_b
                                        ; -- End function
	.set _ZN9rocsparseL18bsrxmvn_4x4_kernelILj128ELj8Efii18rocsparse_bfloat16S1_fEEvT3_20rocsparse_direction_NS_24const_host_device_scalarIT1_EES2_PKS2_PKT2_SB_S8_PKT4_PKT5_S6_PT6_21rocsparse_index_base_b.num_vgpr, 87
	.set _ZN9rocsparseL18bsrxmvn_4x4_kernelILj128ELj8Efii18rocsparse_bfloat16S1_fEEvT3_20rocsparse_direction_NS_24const_host_device_scalarIT1_EES2_PKS2_PKT2_SB_S8_PKT4_PKT5_S6_PT6_21rocsparse_index_base_b.num_agpr, 0
	.set _ZN9rocsparseL18bsrxmvn_4x4_kernelILj128ELj8Efii18rocsparse_bfloat16S1_fEEvT3_20rocsparse_direction_NS_24const_host_device_scalarIT1_EES2_PKS2_PKT2_SB_S8_PKT4_PKT5_S6_PT6_21rocsparse_index_base_b.numbered_sgpr, 18
	.set _ZN9rocsparseL18bsrxmvn_4x4_kernelILj128ELj8Efii18rocsparse_bfloat16S1_fEEvT3_20rocsparse_direction_NS_24const_host_device_scalarIT1_EES2_PKS2_PKT2_SB_S8_PKT4_PKT5_S6_PT6_21rocsparse_index_base_b.num_named_barrier, 0
	.set _ZN9rocsparseL18bsrxmvn_4x4_kernelILj128ELj8Efii18rocsparse_bfloat16S1_fEEvT3_20rocsparse_direction_NS_24const_host_device_scalarIT1_EES2_PKS2_PKT2_SB_S8_PKT4_PKT5_S6_PT6_21rocsparse_index_base_b.private_seg_size, 0
	.set _ZN9rocsparseL18bsrxmvn_4x4_kernelILj128ELj8Efii18rocsparse_bfloat16S1_fEEvT3_20rocsparse_direction_NS_24const_host_device_scalarIT1_EES2_PKS2_PKT2_SB_S8_PKT4_PKT5_S6_PT6_21rocsparse_index_base_b.uses_vcc, 1
	.set _ZN9rocsparseL18bsrxmvn_4x4_kernelILj128ELj8Efii18rocsparse_bfloat16S1_fEEvT3_20rocsparse_direction_NS_24const_host_device_scalarIT1_EES2_PKS2_PKT2_SB_S8_PKT4_PKT5_S6_PT6_21rocsparse_index_base_b.uses_flat_scratch, 0
	.set _ZN9rocsparseL18bsrxmvn_4x4_kernelILj128ELj8Efii18rocsparse_bfloat16S1_fEEvT3_20rocsparse_direction_NS_24const_host_device_scalarIT1_EES2_PKS2_PKT2_SB_S8_PKT4_PKT5_S6_PT6_21rocsparse_index_base_b.has_dyn_sized_stack, 0
	.set _ZN9rocsparseL18bsrxmvn_4x4_kernelILj128ELj8Efii18rocsparse_bfloat16S1_fEEvT3_20rocsparse_direction_NS_24const_host_device_scalarIT1_EES2_PKS2_PKT2_SB_S8_PKT4_PKT5_S6_PT6_21rocsparse_index_base_b.has_recursion, 0
	.set _ZN9rocsparseL18bsrxmvn_4x4_kernelILj128ELj8Efii18rocsparse_bfloat16S1_fEEvT3_20rocsparse_direction_NS_24const_host_device_scalarIT1_EES2_PKS2_PKT2_SB_S8_PKT4_PKT5_S6_PT6_21rocsparse_index_base_b.has_indirect_call, 0
	.section	.AMDGPU.csdata,"",@progbits
; Kernel info:
; codeLenInByte = 4872
; TotalNumSgprs: 20
; NumVgprs: 87
; ScratchSize: 0
; MemoryBound: 0
; FloatMode: 240
; IeeeMode: 1
; LDSByteSize: 0 bytes/workgroup (compile time only)
; SGPRBlocks: 0
; VGPRBlocks: 10
; NumSGPRsForWavesPerEU: 20
; NumVGPRsForWavesPerEU: 87
; Occupancy: 16
; WaveLimiterHint : 1
; COMPUTE_PGM_RSRC2:SCRATCH_EN: 0
; COMPUTE_PGM_RSRC2:USER_SGPR: 2
; COMPUTE_PGM_RSRC2:TRAP_HANDLER: 0
; COMPUTE_PGM_RSRC2:TGID_X_EN: 1
; COMPUTE_PGM_RSRC2:TGID_Y_EN: 0
; COMPUTE_PGM_RSRC2:TGID_Z_EN: 0
; COMPUTE_PGM_RSRC2:TIDIG_COMP_CNT: 0
	.section	.text._ZN9rocsparseL18bsrxmvn_4x4_kernelILj128ELj16Efii18rocsparse_bfloat16S1_fEEvT3_20rocsparse_direction_NS_24const_host_device_scalarIT1_EES2_PKS2_PKT2_SB_S8_PKT4_PKT5_S6_PT6_21rocsparse_index_base_b,"axG",@progbits,_ZN9rocsparseL18bsrxmvn_4x4_kernelILj128ELj16Efii18rocsparse_bfloat16S1_fEEvT3_20rocsparse_direction_NS_24const_host_device_scalarIT1_EES2_PKS2_PKT2_SB_S8_PKT4_PKT5_S6_PT6_21rocsparse_index_base_b,comdat
	.globl	_ZN9rocsparseL18bsrxmvn_4x4_kernelILj128ELj16Efii18rocsparse_bfloat16S1_fEEvT3_20rocsparse_direction_NS_24const_host_device_scalarIT1_EES2_PKS2_PKT2_SB_S8_PKT4_PKT5_S6_PT6_21rocsparse_index_base_b ; -- Begin function _ZN9rocsparseL18bsrxmvn_4x4_kernelILj128ELj16Efii18rocsparse_bfloat16S1_fEEvT3_20rocsparse_direction_NS_24const_host_device_scalarIT1_EES2_PKS2_PKT2_SB_S8_PKT4_PKT5_S6_PT6_21rocsparse_index_base_b
	.p2align	8
	.type	_ZN9rocsparseL18bsrxmvn_4x4_kernelILj128ELj16Efii18rocsparse_bfloat16S1_fEEvT3_20rocsparse_direction_NS_24const_host_device_scalarIT1_EES2_PKS2_PKT2_SB_S8_PKT4_PKT5_S6_PT6_21rocsparse_index_base_b,@function
_ZN9rocsparseL18bsrxmvn_4x4_kernelILj128ELj16Efii18rocsparse_bfloat16S1_fEEvT3_20rocsparse_direction_NS_24const_host_device_scalarIT1_EES2_PKS2_PKT2_SB_S8_PKT4_PKT5_S6_PT6_21rocsparse_index_base_b: ; @_ZN9rocsparseL18bsrxmvn_4x4_kernelILj128ELj16Efii18rocsparse_bfloat16S1_fEEvT3_20rocsparse_direction_NS_24const_host_device_scalarIT1_EES2_PKS2_PKT2_SB_S8_PKT4_PKT5_S6_PT6_21rocsparse_index_base_b
; %bb.0:
	s_clause 0x2
	s_load_b64 s[16:17], s[0:1], 0x58
	s_load_b64 s[14:15], s[0:1], 0x8
	;; [unrolled: 1-line block ×3, first 2 shown]
	s_wait_kmcnt 0x0
	s_bitcmp1_b32 s17, 0
	s_cselect_b32 s2, -1, 0
	s_delay_alu instid0(SALU_CYCLE_1)
	s_and_b32 vcc_lo, exec_lo, s2
	s_xor_b32 s2, s2, -1
	s_cbranch_vccnz .LBB107_2
; %bb.1:
	s_load_b32 s14, s[14:15], 0x0
.LBB107_2:
	s_and_not1_b32 vcc_lo, exec_lo, s2
	s_cbranch_vccnz .LBB107_4
; %bb.3:
	s_load_b32 s12, s[12:13], 0x0
.LBB107_4:
	s_wait_kmcnt 0x0
	s_cmp_neq_f32 s14, 0
	s_mov_b32 s6, 0
	s_cselect_b32 s2, -1, 0
	s_cmp_neq_f32 s12, 1.0
	s_cselect_b32 s3, -1, 0
	s_delay_alu instid0(SALU_CYCLE_1) | instskip(NEXT) | instid1(SALU_CYCLE_1)
	s_or_b32 s2, s2, s3
	s_and_not1_b32 vcc_lo, exec_lo, s2
	s_cbranch_vccnz .LBB107_10
; %bb.5:
	s_clause 0x1
	s_load_b64 s[4:5], s[0:1], 0x18
	s_load_b64 s[2:3], s[0:1], 0x0
	v_lshrrev_b32_e32 v1, 4, v0
	s_delay_alu instid0(VALU_DEP_1)
	v_lshl_or_b32 v4, ttmp9, 3, v1
	s_wait_kmcnt 0x0
	s_cmp_lg_u64 s[4:5], 0
	s_cbranch_scc0 .LBB107_11
; %bb.6:
	s_load_b32 s6, s[0:1], 0x10
	s_mov_b32 s7, 0
                                        ; implicit-def: $vgpr1
	s_wait_kmcnt 0x0
	v_cmp_gt_i32_e32 vcc_lo, s6, v4
	s_mov_b32 s6, 0
	s_and_saveexec_b32 s8, vcc_lo
	s_delay_alu instid0(SALU_CYCLE_1)
	s_xor_b32 s8, exec_lo, s8
	s_cbranch_execz .LBB107_8
; %bb.7:
	v_ashrrev_i32_e32 v5, 31, v4
	s_mov_b32 s6, exec_lo
	s_delay_alu instid0(VALU_DEP_1) | instskip(NEXT) | instid1(VALU_DEP_1)
	v_lshlrev_b64_e32 v[1:2], 2, v[4:5]
	v_add_co_u32 v1, vcc_lo, s4, v1
	s_delay_alu instid0(VALU_DEP_1)
	v_add_co_ci_u32_e64 v2, null, s5, v2, vcc_lo
	global_load_b32 v1, v[1:2], off
	s_wait_loadcnt 0x0
	v_subrev_nc_u32_e32 v1, s16, v1
.LBB107_8:
	s_or_b32 exec_lo, exec_lo, s8
	s_delay_alu instid0(SALU_CYCLE_1)
	s_and_b32 vcc_lo, exec_lo, s7
	s_wait_alu 0xfffe
	s_cbranch_vccz .LBB107_12
.LBB107_9:
	v_cmp_gt_i32_e32 vcc_lo, s2, v4
	s_and_not1_b32 s2, s6, exec_lo
	s_and_b32 s4, vcc_lo, exec_lo
	s_wait_alu 0xfffe
	s_or_b32 s6, s2, s4
	s_wait_alu 0xfffe
	s_and_saveexec_b32 s2, s6
	s_cbranch_execnz .LBB107_13
.LBB107_10:
	s_endpgm
.LBB107_11:
                                        ; implicit-def: $vgpr1
	s_cbranch_execnz .LBB107_9
.LBB107_12:
	v_mov_b32_e32 v4, v1
	s_and_saveexec_b32 s2, s6
	s_cbranch_execz .LBB107_10
.LBB107_13:
	s_load_b256 s[4:11], s[0:1], 0x20
	s_delay_alu instid0(VALU_DEP_1) | instskip(SKIP_1) | instid1(VALU_DEP_2)
	v_ashrrev_i32_e32 v5, 31, v4
	v_and_b32_e32 v9, 15, v0
	v_lshlrev_b64_e32 v[1:2], 2, v[4:5]
	s_wait_kmcnt 0x0
	s_delay_alu instid0(VALU_DEP_1) | instskip(SKIP_1) | instid1(VALU_DEP_2)
	v_add_co_u32 v5, vcc_lo, s4, v1
	s_wait_alu 0xfffd
	v_add_co_ci_u32_e64 v6, null, s5, v2, vcc_lo
	v_add_co_u32 v1, vcc_lo, s6, v1
	s_wait_alu 0xfffd
	v_add_co_ci_u32_e64 v2, null, s7, v2, vcc_lo
	global_load_b32 v15, v[5:6], off
	v_add_co_u32 v3, vcc_lo, v5, 4
	s_wait_alu 0xfffd
	v_add_co_ci_u32_e64 v5, null, 0, v6, vcc_lo
	s_cmp_eq_u64 s[6:7], 0
	s_load_b64 s[4:5], s[0:1], 0x40
	s_cselect_b32 vcc_lo, -1, 0
	s_cmp_eq_u32 s3, 1
	s_wait_alu 0xfffe
	v_dual_cndmask_b32 v2, v2, v5 :: v_dual_cndmask_b32 v1, v1, v3
	global_load_b32 v5, v[1:2], off
	s_wait_loadcnt 0x1
	v_subrev_nc_u32_e32 v0, s16, v15
	s_delay_alu instid0(VALU_DEP_1) | instskip(NEXT) | instid1(VALU_DEP_1)
	v_add_nc_u32_e32 v0, v0, v9
	v_ashrrev_i32_e32 v1, 31, v0
	s_wait_loadcnt 0x0
	v_subrev_nc_u32_e32 v12, s16, v5
	s_delay_alu instid0(VALU_DEP_2) | instskip(NEXT) | instid1(VALU_DEP_2)
	v_lshlrev_b64_e32 v[2:3], 5, v[0:1]
	v_cmp_lt_i32_e64 s2, v0, v12
	s_delay_alu instid0(VALU_DEP_2) | instskip(SKIP_1) | instid1(VALU_DEP_3)
	v_add_co_u32 v2, vcc_lo, s10, v2
	s_wait_alu 0xfffd
	v_add_co_ci_u32_e64 v3, null, s11, v3, vcc_lo
	s_cbranch_scc1 .LBB107_25
; %bb.14:
	v_dual_mov_b32 v10, 0 :: v_dual_mov_b32 v13, 0
	v_dual_mov_b32 v14, 0 :: v_dual_mov_b32 v11, 0
	s_and_saveexec_b32 s3, s2
	s_cbranch_execz .LBB107_24
; %bb.15:
	v_dual_mov_b32 v14, 0 :: v_dual_add_nc_u32 v1, v15, v9
	v_not_b32_e32 v5, v15
	v_dual_mov_b32 v13, 0 :: v_dual_mov_b32 v8, v3
	s_delay_alu instid0(VALU_DEP_3) | instskip(SKIP_2) | instid1(VALU_DEP_2)
	v_subrev_nc_u32_e32 v1, s16, v1
	v_mov_b32_e32 v7, v2
	s_mov_b32 s6, exec_lo
	v_dual_mov_b32 v10, 0 :: v_dual_add_nc_u32 v1, 16, v1
	s_delay_alu instid0(VALU_DEP_1) | instskip(NEXT) | instid1(VALU_DEP_1)
	v_max_i32_e32 v1, v1, v12
	v_add3_u32 v1, s16, v1, v5
	v_mov_b32_e32 v5, v0
	s_delay_alu instid0(VALU_DEP_2) | instskip(NEXT) | instid1(VALU_DEP_1)
	v_sub_nc_u32_e32 v1, v1, v9
	v_dual_mov_b32 v11, 0 :: v_dual_and_b32 v6, 48, v1
	s_delay_alu instid0(VALU_DEP_1)
	v_cmpx_ne_u32_e32 48, v6
	s_cbranch_execz .LBB107_19
; %bb.16:
	v_lshrrev_b32_e32 v5, 4, v1
	v_dual_mov_b32 v8, v3 :: v_dual_mov_b32 v13, 0
	v_dual_mov_b32 v14, 0 :: v_dual_mov_b32 v11, 0
	s_delay_alu instid0(VALU_DEP_3) | instskip(SKIP_1) | instid1(VALU_DEP_1)
	v_dual_mov_b32 v10, 0 :: v_dual_add_nc_u32 v5, 1, v5
	s_mov_b32 s7, 0
	v_dual_mov_b32 v7, v2 :: v_dual_and_b32 v6, 3, v5
	v_mov_b32_e32 v5, v0
	s_delay_alu instid0(VALU_DEP_2)
	v_sub_nc_u32_e32 v16, 0, v6
.LBB107_17:                             ; =>This Inner Loop Header: Depth=1
	s_delay_alu instid0(VALU_DEP_2) | instskip(NEXT) | instid1(VALU_DEP_2)
	v_ashrrev_i32_e32 v6, 31, v5
	v_add_co_u32 v16, s10, v16, 1
	s_wait_alu 0xfffe
	s_or_b32 s7, s10, s7
	s_delay_alu instid0(VALU_DEP_2) | instskip(SKIP_1) | instid1(VALU_DEP_2)
	v_lshlrev_b64_e32 v[17:18], 2, v[5:6]
	v_add_nc_u32_e32 v5, 16, v5
	v_add_co_u32 v17, vcc_lo, s8, v17
	s_wait_alu 0xfffd
	s_delay_alu instid0(VALU_DEP_3)
	v_add_co_ci_u32_e64 v18, null, s9, v18, vcc_lo
	global_load_b32 v6, v[17:18], off
	global_load_b128 v[17:20], v[7:8], off
	s_wait_loadcnt 0x1
	v_subrev_nc_u32_e32 v6, s16, v6
	s_wait_loadcnt 0x0
	v_lshlrev_b32_e32 v28, 16, v19
	v_and_b32_e32 v19, 0xffff0000, v19
	s_delay_alu instid0(VALU_DEP_3) | instskip(NEXT) | instid1(VALU_DEP_1)
	v_lshlrev_b32_e32 v21, 2, v6
	v_ashrrev_i32_e32 v22, 31, v21
	s_delay_alu instid0(VALU_DEP_1) | instskip(SKIP_1) | instid1(VALU_DEP_1)
	v_lshlrev_b64_e32 v[21:22], 1, v[21:22]
	s_wait_kmcnt 0x0
	v_add_co_u32 v25, vcc_lo, s4, v21
	s_wait_alu 0xfffd
	s_delay_alu instid0(VALU_DEP_2)
	v_add_co_ci_u32_e64 v26, null, s5, v22, vcc_lo
	global_load_b128 v[21:24], v[7:8], off offset:16
	global_load_b64 v[25:26], v[25:26], off
	v_add_co_u32 v7, vcc_lo, 0x200, v7
	s_wait_alu 0xfffd
	v_add_co_ci_u32_e64 v8, null, 0, v8, vcc_lo
	s_wait_loadcnt 0x1
	v_lshlrev_b32_e32 v32, 16, v23
	s_wait_loadcnt 0x0
	v_lshlrev_b32_e32 v34, 16, v25
	v_lshlrev_b32_e32 v33, 16, v24
	v_and_b32_e32 v24, 0xffff0000, v24
	v_and_b32_e32 v23, 0xffff0000, v23
	s_delay_alu instid0(VALU_DEP_4) | instskip(NEXT) | instid1(VALU_DEP_1)
	v_dual_fmac_f32 v10, v32, v34 :: v_dual_and_b32 v25, 0xffff0000, v25
	v_dual_fmac_f32 v10, v23, v25 :: v_dual_lshlrev_b32 v27, 16, v18
	v_lshlrev_b32_e32 v30, 16, v21
	s_delay_alu instid0(VALU_DEP_1) | instskip(NEXT) | instid1(VALU_DEP_1)
	v_dual_fmac_f32 v13, v30, v34 :: v_dual_lshlrev_b32 v6, 16, v17
	v_fmac_f32_e32 v11, v6, v34
	v_dual_fmac_f32 v14, v28, v34 :: v_dual_and_b32 v17, 0xffff0000, v17
	v_lshlrev_b32_e32 v6, 16, v26
	v_lshlrev_b32_e32 v29, 16, v20
	s_delay_alu instid0(VALU_DEP_3) | instskip(NEXT) | instid1(VALU_DEP_4)
	v_dual_fmac_f32 v11, v17, v25 :: v_dual_and_b32 v18, 0xffff0000, v18
	v_fmac_f32_e32 v14, v19, v25
	s_delay_alu instid0(VALU_DEP_4) | instskip(SKIP_1) | instid1(VALU_DEP_4)
	v_dual_fmac_f32 v10, v33, v6 :: v_dual_and_b32 v21, 0xffff0000, v21
	v_and_b32_e32 v17, 0xffff0000, v26
	v_fmac_f32_e32 v11, v27, v6
	s_delay_alu instid0(VALU_DEP_4) | instskip(NEXT) | instid1(VALU_DEP_4)
	v_fmac_f32_e32 v14, v29, v6
	v_dual_fmac_f32 v13, v21, v25 :: v_dual_and_b32 v20, 0xffff0000, v20
	v_lshlrev_b32_e32 v31, 16, v22
	s_delay_alu instid0(VALU_DEP_4) | instskip(NEXT) | instid1(VALU_DEP_2)
	v_dual_fmac_f32 v11, v18, v17 :: v_dual_and_b32 v22, 0xffff0000, v22
	v_dual_fmac_f32 v14, v20, v17 :: v_dual_fmac_f32 v13, v31, v6
	s_delay_alu instid0(VALU_DEP_1)
	v_fmac_f32_e32 v13, v22, v17
	v_fmac_f32_e32 v10, v24, v17
	s_wait_alu 0xfffe
	s_and_not1_b32 exec_lo, exec_lo, s7
	s_cbranch_execnz .LBB107_17
; %bb.18:
	s_or_b32 exec_lo, exec_lo, s7
.LBB107_19:
	s_wait_alu 0xfffe
	s_or_b32 exec_lo, exec_lo, s6
	s_delay_alu instid0(SALU_CYCLE_1)
	s_mov_b32 s6, exec_lo
	v_cmpx_lt_u32_e32 47, v1
	s_cbranch_execz .LBB107_23
; %bb.20:
	s_mov_b32 s7, 0
.LBB107_21:                             ; =>This Inner Loop Header: Depth=1
	v_ashrrev_i32_e32 v6, 31, v5
	s_delay_alu instid0(VALU_DEP_1) | instskip(NEXT) | instid1(VALU_DEP_1)
	v_lshlrev_b64_e32 v[16:17], 2, v[5:6]
	v_add_co_u32 v16, vcc_lo, s8, v16
	s_wait_alu 0xfffd
	s_delay_alu instid0(VALU_DEP_2)
	v_add_co_ci_u32_e64 v17, null, s9, v17, vcc_lo
	s_clause 0x3
	global_load_b32 v1, v[16:17], off
	global_load_b32 v6, v[16:17], off offset:64
	global_load_b32 v48, v[16:17], off offset:128
	;; [unrolled: 1-line block ×3, first 2 shown]
	s_clause 0x7
	global_load_b128 v[16:19], v[7:8], off
	global_load_b128 v[20:23], v[7:8], off offset:16
	global_load_b128 v[24:27], v[7:8], off offset:512
	;; [unrolled: 1-line block ×7, first 2 shown]
	s_wait_loadcnt 0xb
	v_subrev_nc_u32_e32 v1, s16, v1
	s_wait_loadcnt 0xa
	v_subrev_nc_u32_e32 v6, s16, v6
	;; [unrolled: 2-line block ×4, first 2 shown]
	v_lshlrev_b32_e32 v48, 2, v1
	v_lshlrev_b32_e32 v50, 2, v6
	s_wait_loadcnt 0x6
	v_lshlrev_b32_e32 v59, 16, v21
	s_wait_loadcnt 0x3
	v_lshlrev_b32_e32 v70, 16, v32
	v_lshlrev_b32_e32 v64, 16, v26
	v_ashrrev_i32_e32 v49, 31, v48
	v_lshlrev_b32_e32 v61, 16, v23
	v_and_b32_e32 v23, 0xffff0000, v23
	v_and_b32_e32 v21, 0xffff0000, v21
	v_lshlrev_b32_e32 v58, 16, v20
	v_lshlrev_b64_e32 v[48:49], 1, v[48:49]
	v_lshlrev_b32_e32 v52, 2, v51
	v_ashrrev_i32_e32 v51, 31, v50
	v_lshlrev_b32_e32 v66, 16, v28
	v_and_b32_e32 v20, 0xffff0000, v20
	v_lshlrev_b32_e32 v54, 2, v53
	s_wait_kmcnt 0x0
	v_add_co_u32 v48, vcc_lo, s4, v48
	s_wait_alu 0xfffd
	v_add_co_ci_u32_e64 v49, null, s5, v49, vcc_lo
	v_lshlrev_b64_e32 v[50:51], 1, v[50:51]
	v_ashrrev_i32_e32 v53, 31, v52
	v_ashrrev_i32_e32 v55, 31, v54
	global_load_b64 v[48:49], v[48:49], off
	s_wait_loadcnt 0x3
	v_lshlrev_b32_e32 v74, 16, v36
	v_and_b32_e32 v26, 0xffff0000, v26
	v_add_co_u32 v50, vcc_lo, s4, v50
	s_wait_alu 0xfffd
	v_add_co_ci_u32_e64 v51, null, s5, v51, vcc_lo
	v_lshlrev_b64_e32 v[52:53], 1, v[52:53]
	v_lshlrev_b64_e32 v[54:55], 1, v[54:55]
	v_lshlrev_b32_e32 v63, 16, v25
	global_load_b64 v[50:51], v[50:51], off
	v_lshlrev_b32_e32 v60, 16, v22
	v_lshlrev_b32_e32 v67, 16, v29
	v_add_co_u32 v52, vcc_lo, s4, v52
	s_wait_alu 0xfffd
	v_add_co_ci_u32_e64 v53, null, s5, v53, vcc_lo
	v_add_co_u32 v54, vcc_lo, s4, v54
	s_wait_alu 0xfffd
	v_add_co_ci_u32_e64 v55, null, s5, v55, vcc_lo
	global_load_b64 v[52:53], v[52:53], off
	v_and_b32_e32 v22, 0xffff0000, v22
	v_lshlrev_b32_e32 v62, 16, v24
	global_load_b64 v[54:55], v[54:55], off
	s_wait_loadcnt 0x5
	v_lshlrev_b32_e32 v78, 16, v40
	v_lshlrev_b32_e32 v72, 16, v34
	s_wait_loadcnt 0x4
	v_lshlrev_b32_e32 v82, 16, v44
	v_and_b32_e32 v34, 0xffff0000, v34
	v_lshlrev_b32_e32 v71, 16, v33
	v_lshlrev_b32_e32 v68, 16, v30
	;; [unrolled: 1-line block ×3, first 2 shown]
	v_and_b32_e32 v30, 0xffff0000, v30
	v_lshlrev_b32_e32 v69, 16, v31
	v_lshlrev_b32_e32 v80, 16, v42
	v_and_b32_e32 v42, 0xffff0000, v42
	v_lshlrev_b32_e32 v79, 16, v41
	v_lshlrev_b32_e32 v76, 16, v38
	;; [unrolled: 1-line block ×3, first 2 shown]
	v_and_b32_e32 v38, 0xffff0000, v38
	v_lshlrev_b32_e32 v77, 16, v39
	v_lshlrev_b32_e32 v84, 16, v46
	v_and_b32_e32 v46, 0xffff0000, v46
	v_lshlrev_b32_e32 v85, 16, v47
	v_add_co_u32 v7, vcc_lo, 0x800, v7
	s_wait_alu 0xfffd
	v_add_co_ci_u32_e64 v8, null, 0, v8, vcc_lo
	s_wait_loadcnt 0x3
	v_lshlrev_b32_e32 v86, 16, v48
	v_lshlrev_b32_e32 v1, 16, v16
	s_delay_alu instid0(VALU_DEP_2) | instskip(SKIP_1) | instid1(VALU_DEP_3)
	v_dual_fmac_f32 v13, v58, v86 :: v_dual_and_b32 v48, 0xffff0000, v48
	v_fmac_f32_e32 v10, v60, v86
	v_fmac_f32_e32 v11, v1, v86
	v_lshlrev_b32_e32 v1, 16, v49
	v_and_b32_e32 v6, 0xffff0000, v16
	v_dual_fmac_f32 v13, v20, v48 :: v_dual_lshlrev_b32 v56, 16, v18
	v_and_b32_e32 v18, 0xffff0000, v18
	v_dual_fmac_f32 v10, v22, v48 :: v_dual_lshlrev_b32 v57, 16, v19
	s_delay_alu instid0(VALU_DEP_3) | instskip(NEXT) | instid1(VALU_DEP_4)
	v_fmac_f32_e32 v13, v59, v1
	v_dual_fmac_f32 v14, v56, v86 :: v_dual_add_nc_u32 v5, 64, v5
	v_dual_fmac_f32 v11, v6, v48 :: v_dual_and_b32 v6, 0xffff0000, v49
	v_lshlrev_b32_e32 v16, 16, v17
	s_delay_alu instid0(VALU_DEP_3) | instskip(SKIP_1) | instid1(VALU_DEP_3)
	v_dual_fmac_f32 v14, v18, v48 :: v_dual_and_b32 v17, 0xffff0000, v17
	v_dual_fmac_f32 v10, v61, v1 :: v_dual_and_b32 v19, 0xffff0000, v19
	v_fmac_f32_e32 v11, v16, v1
	v_cmp_ge_i32_e32 vcc_lo, v5, v12
	s_wait_loadcnt 0x2
	v_dual_fmac_f32 v14, v57, v1 :: v_dual_lshlrev_b32 v1, 16, v50
	v_dual_fmac_f32 v10, v23, v6 :: v_dual_lshlrev_b32 v65, 16, v27
	v_fmac_f32_e32 v11, v17, v6
	s_delay_alu instid0(VALU_DEP_3)
	v_fmac_f32_e32 v14, v19, v6
	v_fmac_f32_e32 v13, v21, v6
	v_and_b32_e32 v6, 0xffff0000, v50
	v_fmac_f32_e32 v10, v68, v1
	v_and_b32_e32 v25, 0xffff0000, v25
	v_fmac_f32_e32 v11, v62, v1
	v_fmac_f32_e32 v14, v64, v1
	v_fmac_f32_e32 v13, v66, v1
	v_dual_fmac_f32 v10, v30, v6 :: v_dual_lshlrev_b32 v1, 16, v51
	s_delay_alu instid0(VALU_DEP_3)
	v_dual_fmac_f32 v14, v26, v6 :: v_dual_and_b32 v31, 0xffff0000, v31
	v_and_b32_e32 v27, 0xffff0000, v27
	s_wait_alu 0xfffe
	s_or_b32 s7, vcc_lo, s7
	v_fmac_f32_e32 v10, v69, v1
	v_and_b32_e32 v29, 0xffff0000, v29
	v_and_b32_e32 v28, 0xffff0000, v28
	;; [unrolled: 1-line block ×3, first 2 shown]
	s_delay_alu instid0(VALU_DEP_2) | instskip(NEXT) | instid1(VALU_DEP_2)
	v_dual_fmac_f32 v14, v65, v1 :: v_dual_fmac_f32 v13, v28, v6
	v_dual_fmac_f32 v11, v24, v6 :: v_dual_and_b32 v6, 0xffff0000, v51
	s_delay_alu instid0(VALU_DEP_1) | instskip(NEXT) | instid1(VALU_DEP_2)
	v_fmac_f32_e32 v11, v63, v1
	v_fmac_f32_e32 v14, v27, v6
	s_delay_alu instid0(VALU_DEP_4)
	v_fmac_f32_e32 v13, v67, v1
	s_wait_loadcnt 0x1
	v_dual_fmac_f32 v10, v31, v6 :: v_dual_lshlrev_b32 v1, 16, v52
	v_lshlrev_b32_e32 v73, 16, v35
	v_fmac_f32_e32 v11, v25, v6
	v_dual_fmac_f32 v13, v29, v6 :: v_dual_and_b32 v6, 0xffff0000, v52
	s_delay_alu instid0(VALU_DEP_4) | instskip(SKIP_1) | instid1(VALU_DEP_4)
	v_fmac_f32_e32 v10, v76, v1
	v_and_b32_e32 v33, 0xffff0000, v33
	v_fmac_f32_e32 v11, v70, v1
	v_fmac_f32_e32 v14, v72, v1
	;; [unrolled: 1-line block ×3, first 2 shown]
	v_dual_fmac_f32 v10, v38, v6 :: v_dual_lshlrev_b32 v1, 16, v53
	s_delay_alu instid0(VALU_DEP_3) | instskip(NEXT) | instid1(VALU_DEP_2)
	v_dual_fmac_f32 v14, v34, v6 :: v_dual_and_b32 v39, 0xffff0000, v39
	v_dual_fmac_f32 v10, v77, v1 :: v_dual_and_b32 v35, 0xffff0000, v35
	v_and_b32_e32 v37, 0xffff0000, v37
	v_and_b32_e32 v36, 0xffff0000, v36
	;; [unrolled: 1-line block ×3, first 2 shown]
	s_delay_alu instid0(VALU_DEP_2) | instskip(NEXT) | instid1(VALU_DEP_2)
	v_dual_fmac_f32 v14, v73, v1 :: v_dual_fmac_f32 v13, v36, v6
	v_dual_fmac_f32 v11, v32, v6 :: v_dual_and_b32 v6, 0xffff0000, v53
	s_delay_alu instid0(VALU_DEP_1) | instskip(NEXT) | instid1(VALU_DEP_2)
	v_fmac_f32_e32 v11, v71, v1
	v_fmac_f32_e32 v14, v35, v6
	s_delay_alu instid0(VALU_DEP_4)
	v_fmac_f32_e32 v13, v75, v1
	s_wait_loadcnt 0x0
	v_lshlrev_b32_e32 v1, 16, v54
	v_dual_fmac_f32 v10, v39, v6 :: v_dual_lshlrev_b32 v81, 16, v43
	v_fmac_f32_e32 v11, v33, v6
	v_fmac_f32_e32 v13, v37, v6
	v_and_b32_e32 v6, 0xffff0000, v54
	s_delay_alu instid0(VALU_DEP_4)
	v_fmac_f32_e32 v10, v84, v1
	v_and_b32_e32 v41, 0xffff0000, v41
	v_fmac_f32_e32 v11, v78, v1
	v_fmac_f32_e32 v14, v80, v1
	;; [unrolled: 1-line block ×3, first 2 shown]
	v_dual_fmac_f32 v10, v46, v6 :: v_dual_lshlrev_b32 v1, 16, v55
	s_delay_alu instid0(VALU_DEP_3) | instskip(NEXT) | instid1(VALU_DEP_2)
	v_dual_fmac_f32 v14, v42, v6 :: v_dual_and_b32 v47, 0xffff0000, v47
	v_dual_fmac_f32 v10, v85, v1 :: v_dual_and_b32 v43, 0xffff0000, v43
	v_and_b32_e32 v45, 0xffff0000, v45
	v_and_b32_e32 v44, 0xffff0000, v44
	v_and_b32_e32 v40, 0xffff0000, v40
	s_delay_alu instid0(VALU_DEP_2) | instskip(NEXT) | instid1(VALU_DEP_2)
	v_dual_fmac_f32 v14, v81, v1 :: v_dual_fmac_f32 v13, v44, v6
	v_dual_fmac_f32 v11, v40, v6 :: v_dual_and_b32 v6, 0xffff0000, v55
	s_delay_alu instid0(VALU_DEP_1) | instskip(NEXT) | instid1(VALU_DEP_2)
	v_fmac_f32_e32 v11, v79, v1
	v_fmac_f32_e32 v14, v43, v6
	s_delay_alu instid0(VALU_DEP_4) | instskip(SKIP_1) | instid1(VALU_DEP_4)
	v_fmac_f32_e32 v13, v83, v1
	v_fmac_f32_e32 v10, v47, v6
	;; [unrolled: 1-line block ×3, first 2 shown]
	s_delay_alu instid0(VALU_DEP_3)
	v_fmac_f32_e32 v13, v45, v6
	s_wait_alu 0xfffe
	s_and_not1_b32 exec_lo, exec_lo, s7
	s_cbranch_execnz .LBB107_21
; %bb.22:
	s_or_b32 exec_lo, exec_lo, s7
.LBB107_23:
	s_wait_alu 0xfffe
	s_or_b32 exec_lo, exec_lo, s6
.LBB107_24:
	s_wait_alu 0xfffe
	s_or_b32 exec_lo, exec_lo, s3
	s_cbranch_execz .LBB107_26
	s_branch .LBB107_37
.LBB107_25:
                                        ; implicit-def: $vgpr10
                                        ; implicit-def: $vgpr13
                                        ; implicit-def: $vgpr14
                                        ; implicit-def: $vgpr11
.LBB107_26:
	v_dual_mov_b32 v10, 0 :: v_dual_mov_b32 v13, 0
	v_dual_mov_b32 v14, 0 :: v_dual_mov_b32 v11, 0
	s_and_saveexec_b32 s3, s2
	s_cbranch_execz .LBB107_36
; %bb.27:
	v_dual_mov_b32 v14, 0 :: v_dual_add_nc_u32 v1, v15, v9
	v_not_b32_e32 v5, v15
	v_mov_b32_e32 v11, 0
	v_mov_b32_e32 v13, 0
	s_delay_alu instid0(VALU_DEP_4) | instskip(SKIP_1) | instid1(VALU_DEP_1)
	v_subrev_nc_u32_e32 v1, s16, v1
	s_mov_b32 s2, exec_lo
	v_dual_mov_b32 v10, 0 :: v_dual_add_nc_u32 v1, 16, v1
	s_delay_alu instid0(VALU_DEP_1) | instskip(NEXT) | instid1(VALU_DEP_1)
	v_max_i32_e32 v1, v1, v12
	v_add3_u32 v1, s16, v1, v5
	s_delay_alu instid0(VALU_DEP_1) | instskip(NEXT) | instid1(VALU_DEP_1)
	v_sub_nc_u32_e32 v5, v1, v9
	v_and_b32_e32 v1, 48, v5
	s_delay_alu instid0(VALU_DEP_1)
	v_cmpx_ne_u32_e32 48, v1
	s_cbranch_execz .LBB107_31
; %bb.28:
	v_lshrrev_b32_e32 v1, 4, v5
	v_mov_b32_e32 v13, 0
	v_mov_b32_e32 v11, 0
	s_mov_b32 s6, 0
	s_delay_alu instid0(VALU_DEP_3) | instskip(NEXT) | instid1(VALU_DEP_1)
	v_dual_mov_b32 v10, 0 :: v_dual_add_nc_u32 v1, 1, v1
	v_dual_mov_b32 v14, 0 :: v_dual_and_b32 v1, 3, v1
	s_delay_alu instid0(VALU_DEP_1)
	v_sub_nc_u32_e32 v6, 0, v1
.LBB107_29:                             ; =>This Inner Loop Header: Depth=1
	v_ashrrev_i32_e32 v1, 31, v0
	s_delay_alu instid0(VALU_DEP_2) | instskip(SKIP_2) | instid1(VALU_DEP_2)
	v_add_co_u32 v6, s7, v6, 1
	s_wait_alu 0xfffe
	s_or_b32 s6, s7, s6
	v_lshlrev_b64_e32 v[7:8], 2, v[0:1]
	s_delay_alu instid0(VALU_DEP_1) | instskip(SKIP_1) | instid1(VALU_DEP_2)
	v_add_co_u32 v7, vcc_lo, s8, v7
	s_wait_alu 0xfffd
	v_add_co_ci_u32_e64 v8, null, s9, v8, vcc_lo
	global_load_b32 v1, v[7:8], off
	global_load_b128 v[15:18], v[2:3], off
	s_wait_loadcnt 0x1
	v_subrev_nc_u32_e32 v1, s16, v1
	s_delay_alu instid0(VALU_DEP_1) | instskip(NEXT) | instid1(VALU_DEP_1)
	v_lshlrev_b32_e32 v7, 2, v1
	v_ashrrev_i32_e32 v8, 31, v7
	s_delay_alu instid0(VALU_DEP_1) | instskip(SKIP_1) | instid1(VALU_DEP_1)
	v_lshlrev_b64_e32 v[7:8], 1, v[7:8]
	s_wait_kmcnt 0x0
	v_add_co_u32 v7, vcc_lo, s4, v7
	s_wait_alu 0xfffd
	s_delay_alu instid0(VALU_DEP_2)
	v_add_co_ci_u32_e64 v8, null, s5, v8, vcc_lo
	global_load_b64 v[7:8], v[7:8], off
	global_load_b128 v[19:22], v[2:3], off offset:16
	v_add_co_u32 v2, vcc_lo, 0x200, v2
	s_wait_alu 0xfffd
	v_add_co_ci_u32_e64 v3, null, 0, v3, vcc_lo
	s_wait_loadcnt 0x1
	v_lshlrev_b32_e32 v30, 16, v7
	v_lshlrev_b32_e32 v24, 16, v17
	s_wait_loadcnt 0x0
	v_lshlrev_b32_e32 v29, 16, v22
	v_lshlrev_b32_e32 v28, 16, v21
	v_and_b32_e32 v22, 0xffff0000, v22
	v_and_b32_e32 v21, 0xffff0000, v21
	v_lshlrev_b32_e32 v27, 16, v20
	v_and_b32_e32 v7, 0xffff0000, v7
	v_and_b32_e32 v20, 0xffff0000, v20
	v_lshlrev_b32_e32 v25, 16, v18
	v_and_b32_e32 v18, 0xffff0000, v18
	v_and_b32_e32 v17, 0xffff0000, v17
	v_lshlrev_b32_e32 v23, 16, v16
	v_and_b32_e32 v16, 0xffff0000, v16
	s_delay_alu instid0(VALU_DEP_1) | instskip(NEXT) | instid1(VALU_DEP_1)
	v_dual_fmac_f32 v10, v16, v30 :: v_dual_lshlrev_b32 v1, 16, v15
	v_fmac_f32_e32 v11, v1, v30
	v_lshlrev_b32_e32 v1, 16, v8
	v_lshlrev_b32_e32 v26, 16, v19
	v_and_b32_e32 v19, 0xffff0000, v19
	v_and_b32_e32 v15, 0xffff0000, v15
	v_fmac_f32_e32 v10, v18, v7
	s_delay_alu instid0(VALU_DEP_2) | instskip(NEXT) | instid1(VALU_DEP_2)
	v_fmac_f32_e32 v14, v15, v30
	v_fmac_f32_e32 v10, v20, v1
	s_delay_alu instid0(VALU_DEP_2) | instskip(NEXT) | instid1(VALU_DEP_1)
	v_dual_fmac_f32 v14, v17, v7 :: v_dual_fmac_f32 v13, v23, v30
	v_dual_fmac_f32 v11, v24, v7 :: v_dual_fmac_f32 v14, v19, v1
	s_delay_alu instid0(VALU_DEP_2) | instskip(SKIP_1) | instid1(VALU_DEP_1)
	v_fmac_f32_e32 v13, v25, v7
	v_and_b32_e32 v7, 0xffff0000, v8
	v_fmac_f32_e32 v10, v22, v7
	s_delay_alu instid0(VALU_DEP_3) | instskip(SKIP_1) | instid1(VALU_DEP_2)
	v_dual_fmac_f32 v14, v21, v7 :: v_dual_fmac_f32 v13, v27, v1
	v_fmac_f32_e32 v11, v26, v1
	v_dual_fmac_f32 v13, v29, v7 :: v_dual_add_nc_u32 v0, 16, v0
	s_delay_alu instid0(VALU_DEP_2)
	v_fmac_f32_e32 v11, v28, v7
	s_wait_alu 0xfffe
	s_and_not1_b32 exec_lo, exec_lo, s6
	s_cbranch_execnz .LBB107_29
; %bb.30:
	s_or_b32 exec_lo, exec_lo, s6
.LBB107_31:
	s_wait_alu 0xfffe
	s_or_b32 exec_lo, exec_lo, s2
	s_delay_alu instid0(SALU_CYCLE_1)
	s_mov_b32 s2, exec_lo
	v_cmpx_lt_u32_e32 47, v5
	s_cbranch_execz .LBB107_35
; %bb.32:
	s_mov_b32 s6, 0
.LBB107_33:                             ; =>This Inner Loop Header: Depth=1
	v_ashrrev_i32_e32 v1, 31, v0
	s_delay_alu instid0(VALU_DEP_1) | instskip(NEXT) | instid1(VALU_DEP_1)
	v_lshlrev_b64_e32 v[5:6], 2, v[0:1]
	v_add_co_u32 v5, vcc_lo, s8, v5
	s_wait_alu 0xfffd
	s_delay_alu instid0(VALU_DEP_2)
	v_add_co_ci_u32_e64 v6, null, s9, v6, vcc_lo
	s_clause 0x3
	global_load_b32 v1, v[5:6], off
	global_load_b32 v39, v[5:6], off offset:64
	global_load_b32 v40, v[5:6], off offset:128
	global_load_b32 v41, v[5:6], off offset:192
	s_clause 0x6
	global_load_b128 v[5:8], v[2:3], off
	global_load_b128 v[15:18], v[2:3], off offset:16
	global_load_b128 v[19:22], v[2:3], off offset:512
	global_load_b128 v[23:26], v[2:3], off offset:528
	global_load_b128 v[27:30], v[2:3], off offset:1024
	global_load_b128 v[31:34], v[2:3], off offset:1040
	global_load_b128 v[35:38], v[2:3], off offset:1536
	s_wait_loadcnt 0xa
	v_subrev_nc_u32_e32 v1, s16, v1
	s_wait_loadcnt 0x9
	v_subrev_nc_u32_e32 v42, s16, v39
	;; [unrolled: 2-line block ×4, first 2 shown]
	v_lshlrev_b32_e32 v39, 2, v1
	s_wait_loadcnt 0x5
	v_lshlrev_b32_e32 v56, 16, v17
	s_wait_loadcnt 0x4
	v_lshlrev_b32_e32 v60, 16, v21
	v_and_b32_e32 v21, 0xffff0000, v21
	s_wait_loadcnt 0x3
	v_lshlrev_b32_e32 v62, 16, v23
	v_lshlrev_b32_e32 v64, 16, v25
	v_and_b32_e32 v25, 0xffff0000, v25
	v_lshlrev_b32_e32 v63, 16, v24
	v_and_b32_e32 v24, 0xffff0000, v24
	v_and_b32_e32 v23, 0xffff0000, v23
	v_lshlrev_b32_e32 v61, 16, v22
	v_and_b32_e32 v22, 0xffff0000, v22
	v_lshlrev_b32_e32 v59, 16, v20
	;; [unrolled: 2-line block ×5, first 2 shown]
	v_lshlrev_b32_e32 v54, 16, v15
	v_and_b32_e32 v15, 0xffff0000, v15
	v_lshlrev_b32_e32 v51, 16, v6
	v_lshlrev_b32_e32 v52, 16, v7
	v_and_b32_e32 v16, 0xffff0000, v16
	v_and_b32_e32 v7, 0xffff0000, v7
	v_lshlrev_b32_e32 v41, 2, v42
	v_and_b32_e32 v6, 0xffff0000, v6
	v_lshlrev_b32_e32 v43, 2, v40
	v_ashrrev_i32_e32 v40, 31, v39
	v_and_b32_e32 v17, 0xffff0000, v17
	v_lshlrev_b32_e32 v53, 16, v8
	v_and_b32_e32 v8, 0xffff0000, v8
	v_lshlrev_b32_e32 v45, 2, v44
	v_ashrrev_i32_e32 v42, 31, v41
	v_ashrrev_i32_e32 v44, 31, v43
	v_lshlrev_b64_e32 v[39:40], 1, v[39:40]
	v_lshlrev_b32_e32 v1, 16, v5
	v_ashrrev_i32_e32 v46, 31, v45
	v_lshlrev_b64_e32 v[41:42], 1, v[41:42]
	v_lshlrev_b64_e32 v[43:44], 1, v[43:44]
	v_and_b32_e32 v5, 0xffff0000, v5
	s_wait_kmcnt 0x0
	v_add_co_u32 v39, vcc_lo, s4, v39
	v_lshlrev_b64_e32 v[45:46], 1, v[45:46]
	s_wait_alu 0xfffd
	v_add_co_ci_u32_e64 v40, null, s5, v40, vcc_lo
	v_add_co_u32 v41, vcc_lo, s4, v41
	s_wait_alu 0xfffd
	v_add_co_ci_u32_e64 v42, null, s5, v42, vcc_lo
	v_add_co_u32 v43, vcc_lo, s4, v43
	;; [unrolled: 3-line block ×3, first 2 shown]
	s_wait_alu 0xfffd
	v_add_co_ci_u32_e64 v46, null, s5, v46, vcc_lo
	s_clause 0x3
	global_load_b64 v[47:48], v[39:40], off
	global_load_b64 v[49:50], v[41:42], off
	;; [unrolled: 1-line block ×4, first 2 shown]
	global_load_b128 v[39:42], v[2:3], off offset:1552
	s_wait_loadcnt 0x7
	v_lshlrev_b32_e32 v68, 16, v29
	v_and_b32_e32 v29, 0xffff0000, v29
	s_wait_loadcnt 0x6
	v_lshlrev_b32_e32 v72, 16, v33
	v_and_b32_e32 v33, 0xffff0000, v33
	;; [unrolled: 3-line block ×3, first 2 shown]
	v_add_co_u32 v2, vcc_lo, 0x800, v2
	s_wait_alu 0xfffd
	v_add_co_ci_u32_e64 v3, null, 0, v3, vcc_lo
	s_wait_loadcnt 0x4
	v_lshlrev_b32_e32 v82, 16, v47
	v_and_b32_e32 v47, 0xffff0000, v47
	v_add_nc_u32_e32 v0, 64, v0
	s_wait_loadcnt 0x0
	v_lshlrev_b32_e32 v80, 16, v41
	v_dual_fmac_f32 v14, v5, v82 :: v_dual_and_b32 v41, 0xffff0000, v41
	v_fmac_f32_e32 v11, v1, v82
	v_lshlrev_b32_e32 v1, 16, v48
	s_delay_alu instid0(VALU_DEP_3) | instskip(SKIP_1) | instid1(VALU_DEP_2)
	v_dual_fmac_f32 v14, v7, v47 :: v_dual_and_b32 v5, 0xffff0000, v48
	v_cmp_ge_i32_e32 vcc_lo, v0, v12
	v_fmac_f32_e32 v14, v15, v1
	v_fmac_f32_e32 v13, v51, v82
	v_dual_fmac_f32 v11, v52, v47 :: v_dual_fmac_f32 v10, v6, v82
	s_wait_alu 0xfffe
	s_or_b32 s6, vcc_lo, s6
	v_fmac_f32_e32 v14, v17, v5
	v_fmac_f32_e32 v13, v53, v47
	s_delay_alu instid0(VALU_DEP_1) | instskip(SKIP_1) | instid1(VALU_DEP_2)
	v_dual_fmac_f32 v10, v8, v47 :: v_dual_fmac_f32 v13, v55, v1
	v_fmac_f32_e32 v11, v54, v1
	v_fmac_f32_e32 v10, v16, v1
	v_lshlrev_b32_e32 v1, 16, v49
	s_delay_alu instid0(VALU_DEP_3) | instskip(NEXT) | instid1(VALU_DEP_3)
	v_fmac_f32_e32 v11, v56, v5
	v_fmac_f32_e32 v10, v18, v5
	s_delay_alu instid0(VALU_DEP_3) | instskip(NEXT) | instid1(VALU_DEP_2)
	v_fmac_f32_e32 v14, v19, v1
	v_fmac_f32_e32 v10, v20, v1
	v_fmac_f32_e32 v13, v57, v5
	v_and_b32_e32 v5, 0xffff0000, v49
	v_fmac_f32_e32 v11, v58, v1
	s_delay_alu instid0(VALU_DEP_2) | instskip(SKIP_4) | instid1(VALU_DEP_2)
	v_fmac_f32_e32 v14, v21, v5
	v_fmac_f32_e32 v10, v22, v5
	;; [unrolled: 1-line block ×3, first 2 shown]
	v_lshlrev_b32_e32 v1, 16, v50
	v_fmac_f32_e32 v11, v60, v5
	v_fmac_f32_e32 v10, v24, v1
	;; [unrolled: 1-line block ×4, first 2 shown]
	v_and_b32_e32 v5, 0xffff0000, v50
	v_lshlrev_b32_e32 v65, 16, v26
	v_dual_fmac_f32 v11, v62, v1 :: v_dual_and_b32 v26, 0xffff0000, v26
	s_delay_alu instid0(VALU_DEP_3)
	v_fmac_f32_e32 v14, v25, v5
	v_dual_fmac_f32 v13, v63, v1 :: v_dual_lshlrev_b32 v66, 16, v27
	v_lshlrev_b32_e32 v1, 16, v43
	v_lshlrev_b32_e32 v67, 16, v28
	v_dual_fmac_f32 v11, v64, v5 :: v_dual_and_b32 v28, 0xffff0000, v28
	v_dual_fmac_f32 v10, v26, v5 :: v_dual_and_b32 v27, 0xffff0000, v27
	v_dual_fmac_f32 v13, v65, v5 :: v_dual_lshlrev_b32 v70, 16, v31
	v_and_b32_e32 v5, 0xffff0000, v43
	s_delay_alu instid0(VALU_DEP_4) | instskip(NEXT) | instid1(VALU_DEP_4)
	v_fmac_f32_e32 v11, v66, v1
	v_fmac_f32_e32 v10, v28, v1
	v_dual_fmac_f32 v14, v27, v1 :: v_dual_lshlrev_b32 v69, 16, v30
	v_and_b32_e32 v30, 0xffff0000, v30
	v_dual_fmac_f32 v13, v67, v1 :: v_dual_lshlrev_b32 v74, 16, v35
	v_and_b32_e32 v31, 0xffff0000, v31
	v_lshlrev_b32_e32 v1, 16, v44
	v_fmac_f32_e32 v11, v68, v5
	v_fmac_f32_e32 v14, v29, v5
	;; [unrolled: 1-line block ×3, first 2 shown]
	v_dual_fmac_f32 v10, v30, v5 :: v_dual_lshlrev_b32 v71, 16, v32
	v_and_b32_e32 v32, 0xffff0000, v32
	v_lshlrev_b32_e32 v73, 16, v34
	v_and_b32_e32 v34, 0xffff0000, v34
	v_and_b32_e32 v5, 0xffff0000, v44
	v_fmac_f32_e32 v11, v70, v1
	v_fmac_f32_e32 v14, v31, v1
	v_dual_fmac_f32 v13, v71, v1 :: v_dual_lshlrev_b32 v78, 16, v39
	v_dual_fmac_f32 v10, v32, v1 :: v_dual_lshlrev_b32 v75, 16, v36
	v_and_b32_e32 v36, 0xffff0000, v36
	s_delay_alu instid0(VALU_DEP_4)
	v_dual_fmac_f32 v14, v33, v5 :: v_dual_and_b32 v35, 0xffff0000, v35
	v_lshlrev_b32_e32 v1, 16, v45
	v_lshlrev_b32_e32 v77, 16, v38
	v_dual_fmac_f32 v11, v72, v5 :: v_dual_and_b32 v38, 0xffff0000, v38
	v_fmac_f32_e32 v13, v73, v5
	v_dual_fmac_f32 v10, v34, v5 :: v_dual_and_b32 v39, 0xffff0000, v39
	v_and_b32_e32 v5, 0xffff0000, v45
	s_delay_alu instid0(VALU_DEP_4)
	v_fmac_f32_e32 v11, v74, v1
	v_dual_fmac_f32 v14, v35, v1 :: v_dual_lshlrev_b32 v79, 16, v40
	v_dual_fmac_f32 v13, v75, v1 :: v_dual_and_b32 v40, 0xffff0000, v40
	v_dual_fmac_f32 v10, v36, v1 :: v_dual_lshlrev_b32 v81, 16, v42
	v_and_b32_e32 v42, 0xffff0000, v42
	v_lshlrev_b32_e32 v1, 16, v46
	v_fmac_f32_e32 v11, v76, v5
	v_fmac_f32_e32 v14, v37, v5
	;; [unrolled: 1-line block ×3, first 2 shown]
	v_dual_fmac_f32 v10, v38, v5 :: v_dual_and_b32 v5, 0xffff0000, v46
	s_delay_alu instid0(VALU_DEP_4) | instskip(NEXT) | instid1(VALU_DEP_4)
	v_fmac_f32_e32 v11, v78, v1
	v_fmac_f32_e32 v14, v39, v1
	s_delay_alu instid0(VALU_DEP_4) | instskip(NEXT) | instid1(VALU_DEP_4)
	v_fmac_f32_e32 v13, v79, v1
	v_fmac_f32_e32 v10, v40, v1
	;; [unrolled: 3-line block ×4, first 2 shown]
	s_wait_alu 0xfffe
	s_and_not1_b32 exec_lo, exec_lo, s6
	s_cbranch_execnz .LBB107_33
; %bb.34:
	s_or_b32 exec_lo, exec_lo, s6
.LBB107_35:
	s_wait_alu 0xfffe
	s_or_b32 exec_lo, exec_lo, s2
.LBB107_36:
	s_wait_alu 0xfffe
	s_or_b32 exec_lo, exec_lo, s3
.LBB107_37:
	v_mbcnt_lo_u32_b32 v0, -1, 0
	s_mov_b32 s2, -1
	s_delay_alu instid0(VALU_DEP_1) | instskip(SKIP_1) | instid1(VALU_DEP_2)
	v_xor_b32_e32 v1, 8, v0
	v_xor_b32_e32 v6, 4, v0
	v_cmp_gt_i32_e32 vcc_lo, 32, v1
	s_wait_alu 0xfffd
	v_cndmask_b32_e32 v1, v0, v1, vcc_lo
	s_delay_alu instid0(VALU_DEP_3) | instskip(SKIP_2) | instid1(VALU_DEP_1)
	v_cmp_gt_i32_e32 vcc_lo, 32, v6
	s_wait_alu 0xfffd
	v_cndmask_b32_e32 v6, v0, v6, vcc_lo
	v_lshlrev_b32_e32 v6, 2, v6
	v_lshlrev_b32_e32 v1, 2, v1
	ds_bpermute_b32 v2, v1, v11
	s_wait_dscnt 0x0
	v_add_f32_e32 v2, v11, v2
	ds_bpermute_b32 v3, v1, v14
	ds_bpermute_b32 v5, v1, v13
	ds_bpermute_b32 v1, v1, v10
	v_xor_b32_e32 v11, 2, v0
	ds_bpermute_b32 v7, v6, v2
	v_cmp_gt_i32_e32 vcc_lo, 32, v11
	s_wait_dscnt 0x3
	v_add_f32_e32 v3, v14, v3
	s_wait_dscnt 0x2
	v_add_f32_e32 v5, v13, v5
	;; [unrolled: 2-line block ×4, first 2 shown]
	ds_bpermute_b32 v8, v6, v3
	ds_bpermute_b32 v10, v6, v5
	;; [unrolled: 1-line block ×3, first 2 shown]
	s_wait_alu 0xfffd
	v_cndmask_b32_e32 v11, v0, v11, vcc_lo
	s_wait_dscnt 0x2
	v_add_f32_e32 v3, v3, v8
	s_wait_dscnt 0x1
	v_add_f32_e32 v5, v5, v10
	s_wait_dscnt 0x0
	v_dual_add_f32 v6, v1, v6 :: v_dual_lshlrev_b32 v11, 2, v11
	ds_bpermute_b32 v1, v11, v2
	ds_bpermute_b32 v7, v11, v3
	;; [unrolled: 1-line block ×4, first 2 shown]
	v_xor_b32_e32 v11, 1, v0
	s_delay_alu instid0(VALU_DEP_1) | instskip(SKIP_4) | instid1(VALU_DEP_2)
	v_cmp_gt_i32_e32 vcc_lo, 32, v11
	s_wait_alu 0xfffd
	v_cndmask_b32_e32 v0, v0, v11, vcc_lo
	v_cmp_eq_u32_e32 vcc_lo, 15, v9
	s_wait_dscnt 0x3
	v_dual_add_f32 v0, v2, v1 :: v_dual_lshlrev_b32 v11, 2, v0
	s_wait_dscnt 0x1
	v_dual_add_f32 v1, v3, v7 :: v_dual_add_f32 v2, v5, v8
	s_wait_dscnt 0x0
	v_add_f32_e32 v3, v6, v10
	ds_bpermute_b32 v5, v11, v0
	ds_bpermute_b32 v6, v11, v1
	;; [unrolled: 1-line block ×4, first 2 shown]
	s_and_b32 exec_lo, exec_lo, vcc_lo
	s_cbranch_execz .LBB107_10
; %bb.38:
	s_load_b64 s[0:1], s[0:1], 0x50
	s_wait_dscnt 0x2
	v_dual_add_f32 v0, v0, v5 :: v_dual_add_f32 v1, v1, v6
	s_wait_dscnt 0x0
	v_dual_add_f32 v2, v2, v7 :: v_dual_add_f32 v3, v3, v8
	v_lshlrev_b32_e32 v4, 2, v4
	s_delay_alu instid0(VALU_DEP_3) | instskip(NEXT) | instid1(VALU_DEP_3)
	v_dual_mul_f32 v0, s14, v0 :: v_dual_mul_f32 v1, s14, v1
	v_dual_mul_f32 v2, s14, v2 :: v_dual_mul_f32 v3, s14, v3
	s_cmp_eq_f32 s12, 0
	s_cbranch_scc0 .LBB107_40
; %bb.39:
	v_ashrrev_i32_e32 v5, 31, v4
	s_mov_b32 s2, 0
	s_delay_alu instid0(VALU_DEP_1) | instskip(SKIP_1) | instid1(VALU_DEP_1)
	v_lshlrev_b64_e32 v[5:6], 2, v[4:5]
	s_wait_kmcnt 0x0
	v_add_co_u32 v5, vcc_lo, s0, v5
	s_wait_alu 0xfffd
	s_delay_alu instid0(VALU_DEP_2)
	v_add_co_ci_u32_e64 v6, null, s1, v6, vcc_lo
	global_store_b128 v[5:6], v[0:3], off
.LBB107_40:
	s_wait_alu 0xfffe
	s_and_not1_b32 vcc_lo, exec_lo, s2
	s_wait_alu 0xfffe
	s_cbranch_vccnz .LBB107_10
; %bb.41:
	v_ashrrev_i32_e32 v5, 31, v4
	s_delay_alu instid0(VALU_DEP_1) | instskip(SKIP_1) | instid1(VALU_DEP_1)
	v_lshlrev_b64_e32 v[4:5], 2, v[4:5]
	s_wait_kmcnt 0x0
	v_add_co_u32 v8, vcc_lo, s0, v4
	s_wait_alu 0xfffd
	s_delay_alu instid0(VALU_DEP_2)
	v_add_co_ci_u32_e64 v9, null, s1, v5, vcc_lo
	global_load_b128 v[4:7], v[8:9], off
	s_wait_loadcnt 0x0
	v_dual_fmac_f32 v0, s12, v4 :: v_dual_fmac_f32 v1, s12, v5
	v_dual_fmac_f32 v2, s12, v6 :: v_dual_fmac_f32 v3, s12, v7
	global_store_b128 v[8:9], v[0:3], off
	s_endpgm
	.section	.rodata,"a",@progbits
	.p2align	6, 0x0
	.amdhsa_kernel _ZN9rocsparseL18bsrxmvn_4x4_kernelILj128ELj16Efii18rocsparse_bfloat16S1_fEEvT3_20rocsparse_direction_NS_24const_host_device_scalarIT1_EES2_PKS2_PKT2_SB_S8_PKT4_PKT5_S6_PT6_21rocsparse_index_base_b
		.amdhsa_group_segment_fixed_size 0
		.amdhsa_private_segment_fixed_size 0
		.amdhsa_kernarg_size 96
		.amdhsa_user_sgpr_count 2
		.amdhsa_user_sgpr_dispatch_ptr 0
		.amdhsa_user_sgpr_queue_ptr 0
		.amdhsa_user_sgpr_kernarg_segment_ptr 1
		.amdhsa_user_sgpr_dispatch_id 0
		.amdhsa_user_sgpr_private_segment_size 0
		.amdhsa_wavefront_size32 1
		.amdhsa_uses_dynamic_stack 0
		.amdhsa_enable_private_segment 0
		.amdhsa_system_sgpr_workgroup_id_x 1
		.amdhsa_system_sgpr_workgroup_id_y 0
		.amdhsa_system_sgpr_workgroup_id_z 0
		.amdhsa_system_sgpr_workgroup_info 0
		.amdhsa_system_vgpr_workitem_id 0
		.amdhsa_next_free_vgpr 87
		.amdhsa_next_free_sgpr 18
		.amdhsa_reserve_vcc 1
		.amdhsa_float_round_mode_32 0
		.amdhsa_float_round_mode_16_64 0
		.amdhsa_float_denorm_mode_32 3
		.amdhsa_float_denorm_mode_16_64 3
		.amdhsa_fp16_overflow 0
		.amdhsa_workgroup_processor_mode 1
		.amdhsa_memory_ordered 1
		.amdhsa_forward_progress 1
		.amdhsa_inst_pref_size 39
		.amdhsa_round_robin_scheduling 0
		.amdhsa_exception_fp_ieee_invalid_op 0
		.amdhsa_exception_fp_denorm_src 0
		.amdhsa_exception_fp_ieee_div_zero 0
		.amdhsa_exception_fp_ieee_overflow 0
		.amdhsa_exception_fp_ieee_underflow 0
		.amdhsa_exception_fp_ieee_inexact 0
		.amdhsa_exception_int_div_zero 0
	.end_amdhsa_kernel
	.section	.text._ZN9rocsparseL18bsrxmvn_4x4_kernelILj128ELj16Efii18rocsparse_bfloat16S1_fEEvT3_20rocsparse_direction_NS_24const_host_device_scalarIT1_EES2_PKS2_PKT2_SB_S8_PKT4_PKT5_S6_PT6_21rocsparse_index_base_b,"axG",@progbits,_ZN9rocsparseL18bsrxmvn_4x4_kernelILj128ELj16Efii18rocsparse_bfloat16S1_fEEvT3_20rocsparse_direction_NS_24const_host_device_scalarIT1_EES2_PKS2_PKT2_SB_S8_PKT4_PKT5_S6_PT6_21rocsparse_index_base_b,comdat
.Lfunc_end107:
	.size	_ZN9rocsparseL18bsrxmvn_4x4_kernelILj128ELj16Efii18rocsparse_bfloat16S1_fEEvT3_20rocsparse_direction_NS_24const_host_device_scalarIT1_EES2_PKS2_PKT2_SB_S8_PKT4_PKT5_S6_PT6_21rocsparse_index_base_b, .Lfunc_end107-_ZN9rocsparseL18bsrxmvn_4x4_kernelILj128ELj16Efii18rocsparse_bfloat16S1_fEEvT3_20rocsparse_direction_NS_24const_host_device_scalarIT1_EES2_PKS2_PKT2_SB_S8_PKT4_PKT5_S6_PT6_21rocsparse_index_base_b
                                        ; -- End function
	.set _ZN9rocsparseL18bsrxmvn_4x4_kernelILj128ELj16Efii18rocsparse_bfloat16S1_fEEvT3_20rocsparse_direction_NS_24const_host_device_scalarIT1_EES2_PKS2_PKT2_SB_S8_PKT4_PKT5_S6_PT6_21rocsparse_index_base_b.num_vgpr, 87
	.set _ZN9rocsparseL18bsrxmvn_4x4_kernelILj128ELj16Efii18rocsparse_bfloat16S1_fEEvT3_20rocsparse_direction_NS_24const_host_device_scalarIT1_EES2_PKS2_PKT2_SB_S8_PKT4_PKT5_S6_PT6_21rocsparse_index_base_b.num_agpr, 0
	.set _ZN9rocsparseL18bsrxmvn_4x4_kernelILj128ELj16Efii18rocsparse_bfloat16S1_fEEvT3_20rocsparse_direction_NS_24const_host_device_scalarIT1_EES2_PKS2_PKT2_SB_S8_PKT4_PKT5_S6_PT6_21rocsparse_index_base_b.numbered_sgpr, 18
	.set _ZN9rocsparseL18bsrxmvn_4x4_kernelILj128ELj16Efii18rocsparse_bfloat16S1_fEEvT3_20rocsparse_direction_NS_24const_host_device_scalarIT1_EES2_PKS2_PKT2_SB_S8_PKT4_PKT5_S6_PT6_21rocsparse_index_base_b.num_named_barrier, 0
	.set _ZN9rocsparseL18bsrxmvn_4x4_kernelILj128ELj16Efii18rocsparse_bfloat16S1_fEEvT3_20rocsparse_direction_NS_24const_host_device_scalarIT1_EES2_PKS2_PKT2_SB_S8_PKT4_PKT5_S6_PT6_21rocsparse_index_base_b.private_seg_size, 0
	.set _ZN9rocsparseL18bsrxmvn_4x4_kernelILj128ELj16Efii18rocsparse_bfloat16S1_fEEvT3_20rocsparse_direction_NS_24const_host_device_scalarIT1_EES2_PKS2_PKT2_SB_S8_PKT4_PKT5_S6_PT6_21rocsparse_index_base_b.uses_vcc, 1
	.set _ZN9rocsparseL18bsrxmvn_4x4_kernelILj128ELj16Efii18rocsparse_bfloat16S1_fEEvT3_20rocsparse_direction_NS_24const_host_device_scalarIT1_EES2_PKS2_PKT2_SB_S8_PKT4_PKT5_S6_PT6_21rocsparse_index_base_b.uses_flat_scratch, 0
	.set _ZN9rocsparseL18bsrxmvn_4x4_kernelILj128ELj16Efii18rocsparse_bfloat16S1_fEEvT3_20rocsparse_direction_NS_24const_host_device_scalarIT1_EES2_PKS2_PKT2_SB_S8_PKT4_PKT5_S6_PT6_21rocsparse_index_base_b.has_dyn_sized_stack, 0
	.set _ZN9rocsparseL18bsrxmvn_4x4_kernelILj128ELj16Efii18rocsparse_bfloat16S1_fEEvT3_20rocsparse_direction_NS_24const_host_device_scalarIT1_EES2_PKS2_PKT2_SB_S8_PKT4_PKT5_S6_PT6_21rocsparse_index_base_b.has_recursion, 0
	.set _ZN9rocsparseL18bsrxmvn_4x4_kernelILj128ELj16Efii18rocsparse_bfloat16S1_fEEvT3_20rocsparse_direction_NS_24const_host_device_scalarIT1_EES2_PKS2_PKT2_SB_S8_PKT4_PKT5_S6_PT6_21rocsparse_index_base_b.has_indirect_call, 0
	.section	.AMDGPU.csdata,"",@progbits
; Kernel info:
; codeLenInByte = 4960
; TotalNumSgprs: 20
; NumVgprs: 87
; ScratchSize: 0
; MemoryBound: 0
; FloatMode: 240
; IeeeMode: 1
; LDSByteSize: 0 bytes/workgroup (compile time only)
; SGPRBlocks: 0
; VGPRBlocks: 10
; NumSGPRsForWavesPerEU: 20
; NumVGPRsForWavesPerEU: 87
; Occupancy: 16
; WaveLimiterHint : 1
; COMPUTE_PGM_RSRC2:SCRATCH_EN: 0
; COMPUTE_PGM_RSRC2:USER_SGPR: 2
; COMPUTE_PGM_RSRC2:TRAP_HANDLER: 0
; COMPUTE_PGM_RSRC2:TGID_X_EN: 1
; COMPUTE_PGM_RSRC2:TGID_Y_EN: 0
; COMPUTE_PGM_RSRC2:TGID_Z_EN: 0
; COMPUTE_PGM_RSRC2:TIDIG_COMP_CNT: 0
	.section	.text._ZN9rocsparseL18bsrxmvn_4x4_kernelILj128ELj32Efii18rocsparse_bfloat16S1_fEEvT3_20rocsparse_direction_NS_24const_host_device_scalarIT1_EES2_PKS2_PKT2_SB_S8_PKT4_PKT5_S6_PT6_21rocsparse_index_base_b,"axG",@progbits,_ZN9rocsparseL18bsrxmvn_4x4_kernelILj128ELj32Efii18rocsparse_bfloat16S1_fEEvT3_20rocsparse_direction_NS_24const_host_device_scalarIT1_EES2_PKS2_PKT2_SB_S8_PKT4_PKT5_S6_PT6_21rocsparse_index_base_b,comdat
	.globl	_ZN9rocsparseL18bsrxmvn_4x4_kernelILj128ELj32Efii18rocsparse_bfloat16S1_fEEvT3_20rocsparse_direction_NS_24const_host_device_scalarIT1_EES2_PKS2_PKT2_SB_S8_PKT4_PKT5_S6_PT6_21rocsparse_index_base_b ; -- Begin function _ZN9rocsparseL18bsrxmvn_4x4_kernelILj128ELj32Efii18rocsparse_bfloat16S1_fEEvT3_20rocsparse_direction_NS_24const_host_device_scalarIT1_EES2_PKS2_PKT2_SB_S8_PKT4_PKT5_S6_PT6_21rocsparse_index_base_b
	.p2align	8
	.type	_ZN9rocsparseL18bsrxmvn_4x4_kernelILj128ELj32Efii18rocsparse_bfloat16S1_fEEvT3_20rocsparse_direction_NS_24const_host_device_scalarIT1_EES2_PKS2_PKT2_SB_S8_PKT4_PKT5_S6_PT6_21rocsparse_index_base_b,@function
_ZN9rocsparseL18bsrxmvn_4x4_kernelILj128ELj32Efii18rocsparse_bfloat16S1_fEEvT3_20rocsparse_direction_NS_24const_host_device_scalarIT1_EES2_PKS2_PKT2_SB_S8_PKT4_PKT5_S6_PT6_21rocsparse_index_base_b: ; @_ZN9rocsparseL18bsrxmvn_4x4_kernelILj128ELj32Efii18rocsparse_bfloat16S1_fEEvT3_20rocsparse_direction_NS_24const_host_device_scalarIT1_EES2_PKS2_PKT2_SB_S8_PKT4_PKT5_S6_PT6_21rocsparse_index_base_b
; %bb.0:
	s_clause 0x2
	s_load_b64 s[16:17], s[0:1], 0x58
	s_load_b64 s[14:15], s[0:1], 0x8
	;; [unrolled: 1-line block ×3, first 2 shown]
	s_wait_kmcnt 0x0
	s_bitcmp1_b32 s17, 0
	s_cselect_b32 s2, -1, 0
	s_delay_alu instid0(SALU_CYCLE_1)
	s_and_b32 vcc_lo, exec_lo, s2
	s_xor_b32 s2, s2, -1
	s_cbranch_vccnz .LBB108_2
; %bb.1:
	s_load_b32 s14, s[14:15], 0x0
.LBB108_2:
	s_and_not1_b32 vcc_lo, exec_lo, s2
	s_cbranch_vccnz .LBB108_4
; %bb.3:
	s_load_b32 s12, s[12:13], 0x0
.LBB108_4:
	s_wait_kmcnt 0x0
	s_cmp_neq_f32 s14, 0
	s_mov_b32 s6, 0
	s_cselect_b32 s2, -1, 0
	s_cmp_neq_f32 s12, 1.0
	s_cselect_b32 s3, -1, 0
	s_delay_alu instid0(SALU_CYCLE_1) | instskip(NEXT) | instid1(SALU_CYCLE_1)
	s_or_b32 s2, s2, s3
	s_and_not1_b32 vcc_lo, exec_lo, s2
	s_cbranch_vccnz .LBB108_10
; %bb.5:
	s_clause 0x1
	s_load_b64 s[4:5], s[0:1], 0x18
	s_load_b64 s[2:3], s[0:1], 0x0
	v_lshrrev_b32_e32 v1, 5, v0
	s_delay_alu instid0(VALU_DEP_1)
	v_lshl_or_b32 v4, ttmp9, 2, v1
	s_wait_kmcnt 0x0
	s_cmp_lg_u64 s[4:5], 0
	s_cbranch_scc0 .LBB108_11
; %bb.6:
	s_load_b32 s6, s[0:1], 0x10
	s_mov_b32 s7, 0
                                        ; implicit-def: $vgpr1
	s_wait_kmcnt 0x0
	v_cmp_gt_i32_e32 vcc_lo, s6, v4
	s_mov_b32 s6, 0
	s_and_saveexec_b32 s8, vcc_lo
	s_delay_alu instid0(SALU_CYCLE_1)
	s_xor_b32 s8, exec_lo, s8
	s_cbranch_execz .LBB108_8
; %bb.7:
	v_ashrrev_i32_e32 v5, 31, v4
	s_mov_b32 s6, exec_lo
	s_delay_alu instid0(VALU_DEP_1) | instskip(NEXT) | instid1(VALU_DEP_1)
	v_lshlrev_b64_e32 v[1:2], 2, v[4:5]
	v_add_co_u32 v1, vcc_lo, s4, v1
	s_delay_alu instid0(VALU_DEP_1)
	v_add_co_ci_u32_e64 v2, null, s5, v2, vcc_lo
	global_load_b32 v1, v[1:2], off
	s_wait_loadcnt 0x0
	v_subrev_nc_u32_e32 v1, s16, v1
.LBB108_8:
	s_or_b32 exec_lo, exec_lo, s8
	s_delay_alu instid0(SALU_CYCLE_1)
	s_and_b32 vcc_lo, exec_lo, s7
	s_wait_alu 0xfffe
	s_cbranch_vccz .LBB108_12
.LBB108_9:
	v_cmp_gt_i32_e32 vcc_lo, s2, v4
	s_and_not1_b32 s2, s6, exec_lo
	s_and_b32 s4, vcc_lo, exec_lo
	s_wait_alu 0xfffe
	s_or_b32 s6, s2, s4
	s_wait_alu 0xfffe
	s_and_saveexec_b32 s2, s6
	s_cbranch_execnz .LBB108_13
.LBB108_10:
	s_endpgm
.LBB108_11:
                                        ; implicit-def: $vgpr1
	s_cbranch_execnz .LBB108_9
.LBB108_12:
	v_mov_b32_e32 v4, v1
	s_and_saveexec_b32 s2, s6
	s_cbranch_execz .LBB108_10
.LBB108_13:
	s_load_b256 s[4:11], s[0:1], 0x20
	s_delay_alu instid0(VALU_DEP_1) | instskip(SKIP_1) | instid1(VALU_DEP_2)
	v_ashrrev_i32_e32 v5, 31, v4
	v_and_b32_e32 v9, 31, v0
	v_lshlrev_b64_e32 v[1:2], 2, v[4:5]
	s_wait_kmcnt 0x0
	s_delay_alu instid0(VALU_DEP_1) | instskip(SKIP_1) | instid1(VALU_DEP_2)
	v_add_co_u32 v5, vcc_lo, s4, v1
	s_wait_alu 0xfffd
	v_add_co_ci_u32_e64 v6, null, s5, v2, vcc_lo
	v_add_co_u32 v1, vcc_lo, s6, v1
	s_wait_alu 0xfffd
	v_add_co_ci_u32_e64 v2, null, s7, v2, vcc_lo
	global_load_b32 v15, v[5:6], off
	v_add_co_u32 v3, vcc_lo, v5, 4
	s_wait_alu 0xfffd
	v_add_co_ci_u32_e64 v5, null, 0, v6, vcc_lo
	s_cmp_eq_u64 s[6:7], 0
	s_load_b64 s[4:5], s[0:1], 0x40
	s_cselect_b32 vcc_lo, -1, 0
	s_cmp_eq_u32 s3, 1
	s_wait_alu 0xfffe
	v_dual_cndmask_b32 v2, v2, v5 :: v_dual_cndmask_b32 v1, v1, v3
	global_load_b32 v5, v[1:2], off
	s_wait_loadcnt 0x1
	v_subrev_nc_u32_e32 v0, s16, v15
	s_delay_alu instid0(VALU_DEP_1) | instskip(NEXT) | instid1(VALU_DEP_1)
	v_add_nc_u32_e32 v0, v0, v9
	v_ashrrev_i32_e32 v1, 31, v0
	s_wait_loadcnt 0x0
	v_subrev_nc_u32_e32 v14, s16, v5
	s_delay_alu instid0(VALU_DEP_2) | instskip(NEXT) | instid1(VALU_DEP_2)
	v_lshlrev_b64_e32 v[2:3], 5, v[0:1]
	v_cmp_lt_i32_e64 s2, v0, v14
	s_delay_alu instid0(VALU_DEP_2) | instskip(SKIP_1) | instid1(VALU_DEP_3)
	v_add_co_u32 v2, vcc_lo, s10, v2
	s_wait_alu 0xfffd
	v_add_co_ci_u32_e64 v3, null, s11, v3, vcc_lo
	s_cbranch_scc1 .LBB108_25
; %bb.14:
	v_dual_mov_b32 v10, 0 :: v_dual_mov_b32 v13, 0
	v_dual_mov_b32 v12, 0 :: v_dual_mov_b32 v11, 0
	s_and_saveexec_b32 s3, s2
	s_cbranch_execz .LBB108_24
; %bb.15:
	v_dual_mov_b32 v12, 0 :: v_dual_add_nc_u32 v1, v15, v9
	v_not_b32_e32 v5, v15
	v_dual_mov_b32 v13, 0 :: v_dual_mov_b32 v8, v3
	s_delay_alu instid0(VALU_DEP_3) | instskip(SKIP_2) | instid1(VALU_DEP_2)
	v_subrev_nc_u32_e32 v1, s16, v1
	v_mov_b32_e32 v7, v2
	s_mov_b32 s6, exec_lo
	v_dual_mov_b32 v10, 0 :: v_dual_add_nc_u32 v1, 32, v1
	s_delay_alu instid0(VALU_DEP_1) | instskip(NEXT) | instid1(VALU_DEP_1)
	v_max_i32_e32 v1, v1, v14
	v_add3_u32 v1, s16, v1, v5
	v_mov_b32_e32 v5, v0
	s_delay_alu instid0(VALU_DEP_2) | instskip(NEXT) | instid1(VALU_DEP_1)
	v_sub_nc_u32_e32 v1, v1, v9
	v_dual_mov_b32 v11, 0 :: v_dual_and_b32 v6, 0x60, v1
	s_delay_alu instid0(VALU_DEP_1)
	v_cmpx_ne_u32_e32 0x60, v6
	s_cbranch_execz .LBB108_19
; %bb.16:
	v_lshrrev_b32_e32 v5, 5, v1
	v_mov_b32_e32 v8, v3
	v_dual_mov_b32 v12, 0 :: v_dual_mov_b32 v13, 0
	v_mov_b32_e32 v11, 0
	s_delay_alu instid0(VALU_DEP_4) | instskip(SKIP_1) | instid1(VALU_DEP_1)
	v_dual_mov_b32 v10, 0 :: v_dual_add_nc_u32 v5, 1, v5
	s_mov_b32 s7, 0
	v_dual_mov_b32 v7, v2 :: v_dual_and_b32 v6, 3, v5
	v_mov_b32_e32 v5, v0
	s_delay_alu instid0(VALU_DEP_2)
	v_sub_nc_u32_e32 v16, 0, v6
.LBB108_17:                             ; =>This Inner Loop Header: Depth=1
	s_delay_alu instid0(VALU_DEP_2) | instskip(NEXT) | instid1(VALU_DEP_2)
	v_ashrrev_i32_e32 v6, 31, v5
	v_add_co_u32 v16, s10, v16, 1
	s_wait_alu 0xfffe
	s_or_b32 s7, s10, s7
	s_delay_alu instid0(VALU_DEP_2) | instskip(SKIP_1) | instid1(VALU_DEP_2)
	v_lshlrev_b64_e32 v[17:18], 2, v[5:6]
	v_add_nc_u32_e32 v5, 32, v5
	v_add_co_u32 v17, vcc_lo, s8, v17
	s_wait_alu 0xfffd
	s_delay_alu instid0(VALU_DEP_3) | instskip(SKIP_4) | instid1(VALU_DEP_1)
	v_add_co_ci_u32_e64 v18, null, s9, v18, vcc_lo
	global_load_b32 v6, v[17:18], off
	global_load_b128 v[17:20], v[7:8], off
	s_wait_loadcnt 0x1
	v_subrev_nc_u32_e32 v6, s16, v6
	v_lshlrev_b32_e32 v21, 2, v6
	s_delay_alu instid0(VALU_DEP_1) | instskip(NEXT) | instid1(VALU_DEP_1)
	v_ashrrev_i32_e32 v22, 31, v21
	v_lshlrev_b64_e32 v[21:22], 1, v[21:22]
	s_wait_kmcnt 0x0
	s_delay_alu instid0(VALU_DEP_1) | instskip(SKIP_1) | instid1(VALU_DEP_2)
	v_add_co_u32 v25, vcc_lo, s4, v21
	s_wait_alu 0xfffd
	v_add_co_ci_u32_e64 v26, null, s5, v22, vcc_lo
	global_load_b128 v[21:24], v[7:8], off offset:16
	global_load_b64 v[25:26], v[25:26], off
	v_add_co_u32 v7, vcc_lo, 0x400, v7
	s_wait_alu 0xfffd
	v_add_co_ci_u32_e64 v8, null, 0, v8, vcc_lo
	s_wait_loadcnt 0x1
	v_lshlrev_b32_e32 v33, 16, v24
	s_wait_loadcnt 0x0
	v_lshlrev_b32_e32 v34, 16, v25
	v_lshlrev_b32_e32 v28, 16, v19
	;; [unrolled: 1-line block ×3, first 2 shown]
	v_and_b32_e32 v24, 0xffff0000, v24
	v_and_b32_e32 v25, 0xffff0000, v25
	s_delay_alu instid0(VALU_DEP_4) | instskip(NEXT) | instid1(VALU_DEP_4)
	v_fmac_f32_e32 v13, v28, v34
	v_fmac_f32_e32 v11, v6, v34
	v_lshlrev_b32_e32 v6, 16, v26
	v_lshlrev_b32_e32 v32, 16, v23
	v_and_b32_e32 v19, 0xffff0000, v19
	v_lshlrev_b32_e32 v30, 16, v21
	v_and_b32_e32 v23, 0xffff0000, v23
	s_delay_alu instid0(VALU_DEP_4) | instskip(NEXT) | instid1(VALU_DEP_3)
	v_dual_fmac_f32 v10, v32, v34 :: v_dual_and_b32 v17, 0xffff0000, v17
	v_dual_fmac_f32 v13, v19, v25 :: v_dual_fmac_f32 v12, v30, v34
	s_delay_alu instid0(VALU_DEP_2) | instskip(NEXT) | instid1(VALU_DEP_3)
	v_fmac_f32_e32 v11, v17, v25
	v_fmac_f32_e32 v10, v23, v25
	v_and_b32_e32 v21, 0xffff0000, v21
	v_and_b32_e32 v17, 0xffff0000, v26
	v_lshlrev_b32_e32 v31, 16, v22
	s_delay_alu instid0(VALU_DEP_4) | instskip(NEXT) | instid1(VALU_DEP_4)
	v_fmac_f32_e32 v10, v33, v6
	v_dual_fmac_f32 v12, v21, v25 :: v_dual_lshlrev_b32 v27, 16, v18
	v_and_b32_e32 v18, 0xffff0000, v18
	v_lshlrev_b32_e32 v29, 16, v20
	s_delay_alu instid0(VALU_DEP_3) | instskip(SKIP_2) | instid1(VALU_DEP_4)
	v_dual_fmac_f32 v11, v27, v6 :: v_dual_and_b32 v20, 0xffff0000, v20
	v_and_b32_e32 v22, 0xffff0000, v22
	v_fmac_f32_e32 v12, v31, v6
	v_fmac_f32_e32 v13, v29, v6
	s_delay_alu instid0(VALU_DEP_4) | instskip(NEXT) | instid1(VALU_DEP_3)
	v_fmac_f32_e32 v11, v18, v17
	v_fmac_f32_e32 v12, v22, v17
	s_delay_alu instid0(VALU_DEP_3)
	v_fmac_f32_e32 v13, v20, v17
	v_fmac_f32_e32 v10, v24, v17
	s_wait_alu 0xfffe
	s_and_not1_b32 exec_lo, exec_lo, s7
	s_cbranch_execnz .LBB108_17
; %bb.18:
	s_or_b32 exec_lo, exec_lo, s7
.LBB108_19:
	s_wait_alu 0xfffe
	s_or_b32 exec_lo, exec_lo, s6
	s_delay_alu instid0(SALU_CYCLE_1)
	s_mov_b32 s6, exec_lo
	v_cmpx_lt_u32_e32 0x5f, v1
	s_cbranch_execz .LBB108_23
; %bb.20:
	s_mov_b32 s7, 0
.LBB108_21:                             ; =>This Inner Loop Header: Depth=1
	v_ashrrev_i32_e32 v6, 31, v5
	s_delay_alu instid0(VALU_DEP_1) | instskip(NEXT) | instid1(VALU_DEP_1)
	v_lshlrev_b64_e32 v[16:17], 2, v[5:6]
	v_add_co_u32 v16, vcc_lo, s8, v16
	s_wait_alu 0xfffd
	s_delay_alu instid0(VALU_DEP_2)
	v_add_co_ci_u32_e64 v17, null, s9, v17, vcc_lo
	s_clause 0x3
	global_load_b32 v1, v[16:17], off
	global_load_b32 v6, v[16:17], off offset:128
	global_load_b32 v48, v[16:17], off offset:256
	global_load_b32 v49, v[16:17], off offset:384
	s_clause 0x7
	global_load_b128 v[16:19], v[7:8], off
	global_load_b128 v[20:23], v[7:8], off offset:16
	global_load_b128 v[24:27], v[7:8], off offset:1024
	;; [unrolled: 1-line block ×7, first 2 shown]
	s_wait_loadcnt 0xb
	v_subrev_nc_u32_e32 v1, s16, v1
	s_wait_loadcnt 0xa
	v_subrev_nc_u32_e32 v6, s16, v6
	s_wait_loadcnt 0x9
	v_subrev_nc_u32_e32 v51, s16, v48
	s_wait_loadcnt 0x8
	v_subrev_nc_u32_e32 v53, s16, v49
	v_lshlrev_b32_e32 v48, 2, v1
	v_lshlrev_b32_e32 v50, 2, v6
	s_wait_loadcnt 0x4
	v_lshlrev_b32_e32 v66, 16, v28
	v_and_b32_e32 v28, 0xffff0000, v28
	v_lshlrev_b32_e32 v63, 16, v25
	v_ashrrev_i32_e32 v49, 31, v48
	v_lshlrev_b32_e32 v60, 16, v22
	s_wait_loadcnt 0x2
	v_lshlrev_b32_e32 v74, 16, v36
	v_and_b32_e32 v36, 0xffff0000, v36
	v_lshlrev_b32_e32 v71, 16, v33
	v_lshlrev_b64_e32 v[48:49], 1, v[48:49]
	v_lshlrev_b32_e32 v68, 16, v30
	v_lshlrev_b32_e32 v65, 16, v27
	v_and_b32_e32 v22, 0xffff0000, v22
	v_lshlrev_b32_e32 v57, 16, v19
	v_lshlrev_b32_e32 v56, 16, v18
	s_wait_kmcnt 0x0
	v_add_co_u32 v48, vcc_lo, s4, v48
	s_wait_alu 0xfffd
	v_add_co_ci_u32_e64 v49, null, s5, v49, vcc_lo
	v_lshlrev_b32_e32 v52, 2, v51
	v_ashrrev_i32_e32 v51, 31, v50
	v_lshlrev_b32_e32 v62, 16, v24
	global_load_b64 v[48:49], v[48:49], off
	v_and_b32_e32 v18, 0xffff0000, v18
	v_lshlrev_b32_e32 v54, 2, v53
	v_lshlrev_b64_e32 v[50:51], 1, v[50:51]
	v_ashrrev_i32_e32 v53, 31, v52
	v_lshlrev_b32_e32 v70, 16, v32
	v_lshlrev_b32_e32 v64, 16, v26
	v_ashrrev_i32_e32 v55, 31, v54
	v_lshlrev_b32_e32 v61, 16, v23
	v_add_co_u32 v50, vcc_lo, s4, v50
	s_wait_alu 0xfffd
	v_add_co_ci_u32_e64 v51, null, s5, v51, vcc_lo
	v_lshlrev_b64_e32 v[52:53], 1, v[52:53]
	v_lshlrev_b64_e32 v[54:55], 1, v[54:55]
	s_wait_loadcnt 0x2
	v_lshlrev_b32_e32 v78, 16, v40
	global_load_b64 v[50:51], v[50:51], off
	v_lshlrev_b32_e32 v72, 16, v34
	v_and_b32_e32 v26, 0xffff0000, v26
	v_add_co_u32 v52, vcc_lo, s4, v52
	s_wait_alu 0xfffd
	v_add_co_ci_u32_e64 v53, null, s5, v53, vcc_lo
	v_add_co_u32 v54, vcc_lo, s4, v54
	s_wait_alu 0xfffd
	v_add_co_ci_u32_e64 v55, null, s5, v55, vcc_lo
	global_load_b64 v[52:53], v[52:53], off
	s_wait_loadcnt 0x3
	v_lshlrev_b32_e32 v82, 16, v44
	v_and_b32_e32 v44, 0xffff0000, v44
	global_load_b64 v[54:55], v[54:55], off
	v_lshlrev_b32_e32 v79, 16, v41
	v_lshlrev_b32_e32 v76, 16, v38
	;; [unrolled: 1-line block ×3, first 2 shown]
	v_and_b32_e32 v30, 0xffff0000, v30
	v_lshlrev_b32_e32 v69, 16, v31
	v_lshlrev_b32_e32 v80, 16, v42
	v_and_b32_e32 v34, 0xffff0000, v34
	v_lshlrev_b32_e32 v84, 16, v46
	v_lshlrev_b32_e32 v81, 16, v43
	v_and_b32_e32 v38, 0xffff0000, v38
	v_lshlrev_b32_e32 v77, 16, v39
	v_and_b32_e32 v42, 0xffff0000, v42
	v_and_b32_e32 v46, 0xffff0000, v46
	v_lshlrev_b32_e32 v85, 16, v47
	v_add_co_u32 v7, vcc_lo, 0x1000, v7
	s_wait_alu 0xfffd
	v_add_co_ci_u32_e64 v8, null, 0, v8, vcc_lo
	s_wait_loadcnt 0x3
	v_lshlrev_b32_e32 v86, 16, v48
	v_lshlrev_b32_e32 v1, 16, v16
	s_delay_alu instid0(VALU_DEP_2) | instskip(SKIP_1) | instid1(VALU_DEP_3)
	v_dual_fmac_f32 v13, v56, v86 :: v_dual_and_b32 v48, 0xffff0000, v48
	v_fmac_f32_e32 v10, v60, v86
	v_fmac_f32_e32 v11, v1, v86
	v_lshlrev_b32_e32 v1, 16, v49
	v_and_b32_e32 v6, 0xffff0000, v16
	v_fmac_f32_e32 v13, v18, v48
	v_dual_fmac_f32 v10, v22, v48 :: v_dual_and_b32 v23, 0xffff0000, v23
	s_delay_alu instid0(VALU_DEP_3) | instskip(NEXT) | instid1(VALU_DEP_3)
	v_dual_fmac_f32 v11, v6, v48 :: v_dual_and_b32 v6, 0xffff0000, v49
	v_dual_fmac_f32 v13, v57, v1 :: v_dual_lshlrev_b32 v58, 16, v20
	v_add_nc_u32_e32 v5, 0x80, v5
	v_and_b32_e32 v20, 0xffff0000, v20
	v_lshlrev_b32_e32 v16, 16, v17
	s_delay_alu instid0(VALU_DEP_4)
	v_dual_fmac_f32 v12, v58, v86 :: v_dual_lshlrev_b32 v59, 16, v21
	v_and_b32_e32 v17, 0xffff0000, v17
	v_fmac_f32_e32 v10, v61, v1
	v_and_b32_e32 v21, 0xffff0000, v21
	v_fmac_f32_e32 v11, v16, v1
	v_dual_fmac_f32 v12, v20, v48 :: v_dual_and_b32 v19, 0xffff0000, v19
	s_delay_alu instid0(VALU_DEP_4) | instskip(SKIP_1) | instid1(VALU_DEP_3)
	v_fmac_f32_e32 v10, v23, v6
	v_cmp_ge_i32_e32 vcc_lo, v5, v14
	v_dual_fmac_f32 v11, v17, v6 :: v_dual_fmac_f32 v12, v59, v1
	s_wait_loadcnt 0x2
	v_lshlrev_b32_e32 v1, 16, v50
	v_fmac_f32_e32 v13, v19, v6
	s_wait_alu 0xfffe
	s_or_b32 s7, vcc_lo, s7
	v_fmac_f32_e32 v12, v21, v6
	v_dual_fmac_f32 v11, v62, v1 :: v_dual_and_b32 v6, 0xffff0000, v50
	v_dual_fmac_f32 v13, v64, v1 :: v_dual_and_b32 v24, 0xffff0000, v24
	s_delay_alu instid0(VALU_DEP_3)
	v_fmac_f32_e32 v12, v66, v1
	v_fmac_f32_e32 v10, v68, v1
	v_and_b32_e32 v25, 0xffff0000, v25
	v_lshlrev_b32_e32 v1, 16, v51
	v_fmac_f32_e32 v13, v26, v6
	v_fmac_f32_e32 v11, v24, v6
	;; [unrolled: 1-line block ×4, first 2 shown]
	v_and_b32_e32 v6, 0xffff0000, v51
	v_lshlrev_b32_e32 v67, 16, v29
	v_and_b32_e32 v27, 0xffff0000, v27
	s_delay_alu instid0(VALU_DEP_4)
	v_dual_fmac_f32 v10, v69, v1 :: v_dual_and_b32 v31, 0xffff0000, v31
	v_and_b32_e32 v29, 0xffff0000, v29
	v_fmac_f32_e32 v11, v63, v1
	v_fmac_f32_e32 v13, v65, v1
	s_wait_loadcnt 0x1
	v_dual_fmac_f32 v12, v67, v1 :: v_dual_lshlrev_b32 v1, 16, v52
	v_fmac_f32_e32 v10, v31, v6
	v_fmac_f32_e32 v11, v25, v6
	;; [unrolled: 1-line block ×3, first 2 shown]
	s_delay_alu instid0(VALU_DEP_4)
	v_fmac_f32_e32 v12, v29, v6
	v_and_b32_e32 v6, 0xffff0000, v52
	v_fmac_f32_e32 v10, v76, v1
	v_fmac_f32_e32 v11, v70, v1
	v_dual_fmac_f32 v13, v72, v1 :: v_dual_and_b32 v32, 0xffff0000, v32
	v_fmac_f32_e32 v12, v74, v1
	s_delay_alu instid0(VALU_DEP_4) | instskip(SKIP_1) | instid1(VALU_DEP_4)
	v_dual_fmac_f32 v10, v38, v6 :: v_dual_and_b32 v33, 0xffff0000, v33
	v_lshlrev_b32_e32 v1, 16, v53
	v_fmac_f32_e32 v13, v34, v6
	v_fmac_f32_e32 v11, v32, v6
	;; [unrolled: 1-line block ×3, first 2 shown]
	v_and_b32_e32 v6, 0xffff0000, v53
	v_lshlrev_b32_e32 v75, 16, v37
	v_and_b32_e32 v35, 0xffff0000, v35
	v_dual_fmac_f32 v10, v77, v1 :: v_dual_and_b32 v39, 0xffff0000, v39
	v_and_b32_e32 v37, 0xffff0000, v37
	v_fmac_f32_e32 v11, v71, v1
	v_fmac_f32_e32 v13, v73, v1
	s_wait_loadcnt 0x0
	v_dual_fmac_f32 v12, v75, v1 :: v_dual_lshlrev_b32 v1, 16, v54
	v_fmac_f32_e32 v10, v39, v6
	v_fmac_f32_e32 v11, v33, v6
	;; [unrolled: 1-line block ×3, first 2 shown]
	s_delay_alu instid0(VALU_DEP_4)
	v_fmac_f32_e32 v12, v37, v6
	v_and_b32_e32 v6, 0xffff0000, v54
	v_fmac_f32_e32 v10, v84, v1
	v_fmac_f32_e32 v11, v78, v1
	v_dual_fmac_f32 v13, v80, v1 :: v_dual_and_b32 v40, 0xffff0000, v40
	v_fmac_f32_e32 v12, v82, v1
	s_delay_alu instid0(VALU_DEP_4) | instskip(SKIP_1) | instid1(VALU_DEP_4)
	v_dual_fmac_f32 v10, v46, v6 :: v_dual_and_b32 v41, 0xffff0000, v41
	v_lshlrev_b32_e32 v1, 16, v55
	v_fmac_f32_e32 v13, v42, v6
	v_fmac_f32_e32 v11, v40, v6
	;; [unrolled: 1-line block ×3, first 2 shown]
	v_and_b32_e32 v6, 0xffff0000, v55
	v_lshlrev_b32_e32 v83, 16, v45
	v_and_b32_e32 v43, 0xffff0000, v43
	v_dual_fmac_f32 v10, v85, v1 :: v_dual_and_b32 v47, 0xffff0000, v47
	v_and_b32_e32 v45, 0xffff0000, v45
	v_fmac_f32_e32 v11, v79, v1
	v_fmac_f32_e32 v13, v81, v1
	;; [unrolled: 1-line block ×4, first 2 shown]
	s_delay_alu instid0(VALU_DEP_4) | instskip(NEXT) | instid1(VALU_DEP_4)
	v_fmac_f32_e32 v11, v41, v6
	v_fmac_f32_e32 v13, v43, v6
	s_delay_alu instid0(VALU_DEP_4)
	v_fmac_f32_e32 v12, v45, v6
	s_wait_alu 0xfffe
	s_and_not1_b32 exec_lo, exec_lo, s7
	s_cbranch_execnz .LBB108_21
; %bb.22:
	s_or_b32 exec_lo, exec_lo, s7
.LBB108_23:
	s_wait_alu 0xfffe
	s_or_b32 exec_lo, exec_lo, s6
.LBB108_24:
	s_wait_alu 0xfffe
	s_or_b32 exec_lo, exec_lo, s3
	s_cbranch_execz .LBB108_26
	s_branch .LBB108_37
.LBB108_25:
                                        ; implicit-def: $vgpr10
                                        ; implicit-def: $vgpr12
                                        ; implicit-def: $vgpr13
                                        ; implicit-def: $vgpr11
.LBB108_26:
	v_dual_mov_b32 v10, 0 :: v_dual_mov_b32 v13, 0
	v_dual_mov_b32 v12, 0 :: v_dual_mov_b32 v11, 0
	s_and_saveexec_b32 s3, s2
	s_cbranch_execz .LBB108_36
; %bb.27:
	v_dual_mov_b32 v12, 0 :: v_dual_add_nc_u32 v1, v15, v9
	v_not_b32_e32 v5, v15
	v_mov_b32_e32 v11, 0
	v_mov_b32_e32 v13, 0
	s_delay_alu instid0(VALU_DEP_4) | instskip(SKIP_1) | instid1(VALU_DEP_1)
	v_subrev_nc_u32_e32 v1, s16, v1
	s_mov_b32 s2, exec_lo
	v_dual_mov_b32 v10, 0 :: v_dual_add_nc_u32 v1, 32, v1
	s_delay_alu instid0(VALU_DEP_1) | instskip(NEXT) | instid1(VALU_DEP_1)
	v_max_i32_e32 v1, v1, v14
	v_add3_u32 v1, s16, v1, v5
	s_delay_alu instid0(VALU_DEP_1) | instskip(NEXT) | instid1(VALU_DEP_1)
	v_sub_nc_u32_e32 v5, v1, v9
	v_and_b32_e32 v1, 0x60, v5
	s_delay_alu instid0(VALU_DEP_1)
	v_cmpx_ne_u32_e32 0x60, v1
	s_cbranch_execz .LBB108_31
; %bb.28:
	v_lshrrev_b32_e32 v1, 5, v5
	v_mov_b32_e32 v13, 0
	v_mov_b32_e32 v11, 0
	s_mov_b32 s6, 0
	s_delay_alu instid0(VALU_DEP_3) | instskip(NEXT) | instid1(VALU_DEP_1)
	v_dual_mov_b32 v10, 0 :: v_dual_add_nc_u32 v1, 1, v1
	v_dual_mov_b32 v12, 0 :: v_dual_and_b32 v1, 3, v1
	s_delay_alu instid0(VALU_DEP_1)
	v_sub_nc_u32_e32 v6, 0, v1
.LBB108_29:                             ; =>This Inner Loop Header: Depth=1
	v_ashrrev_i32_e32 v1, 31, v0
	s_delay_alu instid0(VALU_DEP_2) | instskip(SKIP_2) | instid1(VALU_DEP_2)
	v_add_co_u32 v6, s7, v6, 1
	s_wait_alu 0xfffe
	s_or_b32 s6, s7, s6
	v_lshlrev_b64_e32 v[7:8], 2, v[0:1]
	s_delay_alu instid0(VALU_DEP_1) | instskip(SKIP_1) | instid1(VALU_DEP_2)
	v_add_co_u32 v7, vcc_lo, s8, v7
	s_wait_alu 0xfffd
	v_add_co_ci_u32_e64 v8, null, s9, v8, vcc_lo
	global_load_b32 v1, v[7:8], off
	global_load_b128 v[15:18], v[2:3], off
	s_wait_loadcnt 0x1
	v_subrev_nc_u32_e32 v1, s16, v1
	s_wait_loadcnt 0x0
	v_lshlrev_b32_e32 v25, 16, v18
	v_lshlrev_b32_e32 v23, 16, v16
	s_delay_alu instid0(VALU_DEP_3) | instskip(NEXT) | instid1(VALU_DEP_1)
	v_lshlrev_b32_e32 v7, 2, v1
	v_ashrrev_i32_e32 v8, 31, v7
	s_delay_alu instid0(VALU_DEP_1) | instskip(SKIP_1) | instid1(VALU_DEP_1)
	v_lshlrev_b64_e32 v[7:8], 1, v[7:8]
	s_wait_kmcnt 0x0
	v_add_co_u32 v7, vcc_lo, s4, v7
	s_wait_alu 0xfffd
	s_delay_alu instid0(VALU_DEP_2)
	v_add_co_ci_u32_e64 v8, null, s5, v8, vcc_lo
	global_load_b64 v[7:8], v[7:8], off
	global_load_b128 v[19:22], v[2:3], off offset:16
	v_add_co_u32 v2, vcc_lo, 0x400, v2
	s_wait_alu 0xfffd
	v_add_co_ci_u32_e64 v3, null, 0, v3, vcc_lo
	s_wait_loadcnt 0x1
	v_lshlrev_b32_e32 v30, 16, v7
	v_and_b32_e32 v16, 0xffff0000, v16
	v_lshlrev_b32_e32 v1, 16, v15
	v_and_b32_e32 v7, 0xffff0000, v7
	s_wait_loadcnt 0x0
	v_lshlrev_b32_e32 v29, 16, v22
	v_dual_fmac_f32 v12, v23, v30 :: v_dual_lshlrev_b32 v27, 16, v20
	v_fmac_f32_e32 v10, v16, v30
	v_fmac_f32_e32 v11, v1, v30
	s_delay_alu instid0(VALU_DEP_3) | instskip(NEXT) | instid1(VALU_DEP_1)
	v_dual_fmac_f32 v12, v25, v7 :: v_dual_lshlrev_b32 v1, 16, v8
	v_dual_fmac_f32 v12, v27, v1 :: v_dual_and_b32 v15, 0xffff0000, v15
	s_delay_alu instid0(VALU_DEP_1) | instskip(NEXT) | instid1(VALU_DEP_1)
	v_dual_fmac_f32 v13, v15, v30 :: v_dual_lshlrev_b32 v24, 16, v17
	v_dual_fmac_f32 v11, v24, v7 :: v_dual_and_b32 v18, 0xffff0000, v18
	s_delay_alu instid0(VALU_DEP_1) | instskip(NEXT) | instid1(VALU_DEP_1)
	v_dual_fmac_f32 v10, v18, v7 :: v_dual_and_b32 v17, 0xffff0000, v17
	v_dual_fmac_f32 v13, v17, v7 :: v_dual_and_b32 v20, 0xffff0000, v20
	v_lshlrev_b32_e32 v26, 16, v19
	v_and_b32_e32 v19, 0xffff0000, v19
	s_delay_alu instid0(VALU_DEP_3) | instskip(NEXT) | instid1(VALU_DEP_2)
	v_dual_fmac_f32 v10, v20, v1 :: v_dual_and_b32 v7, 0xffff0000, v8
	v_fmac_f32_e32 v13, v19, v1
	v_lshlrev_b32_e32 v28, 16, v21
	v_dual_fmac_f32 v11, v26, v1 :: v_dual_and_b32 v22, 0xffff0000, v22
	s_delay_alu instid0(VALU_DEP_4) | instskip(NEXT) | instid1(VALU_DEP_2)
	v_dual_fmac_f32 v12, v29, v7 :: v_dual_and_b32 v21, 0xffff0000, v21
	v_fmac_f32_e32 v10, v22, v7
	s_delay_alu instid0(VALU_DEP_2) | instskip(NEXT) | instid1(VALU_DEP_4)
	v_dual_fmac_f32 v13, v21, v7 :: v_dual_add_nc_u32 v0, 32, v0
	v_fmac_f32_e32 v11, v28, v7
	s_wait_alu 0xfffe
	s_and_not1_b32 exec_lo, exec_lo, s6
	s_cbranch_execnz .LBB108_29
; %bb.30:
	s_or_b32 exec_lo, exec_lo, s6
.LBB108_31:
	s_wait_alu 0xfffe
	s_or_b32 exec_lo, exec_lo, s2
	s_delay_alu instid0(SALU_CYCLE_1)
	s_mov_b32 s2, exec_lo
	v_cmpx_lt_u32_e32 0x5f, v5
	s_cbranch_execz .LBB108_35
; %bb.32:
	s_mov_b32 s6, 0
.LBB108_33:                             ; =>This Inner Loop Header: Depth=1
	v_ashrrev_i32_e32 v1, 31, v0
	s_delay_alu instid0(VALU_DEP_1) | instskip(NEXT) | instid1(VALU_DEP_1)
	v_lshlrev_b64_e32 v[5:6], 2, v[0:1]
	v_add_co_u32 v5, vcc_lo, s8, v5
	s_wait_alu 0xfffd
	s_delay_alu instid0(VALU_DEP_2)
	v_add_co_ci_u32_e64 v6, null, s9, v6, vcc_lo
	s_clause 0x3
	global_load_b32 v1, v[5:6], off
	global_load_b32 v39, v[5:6], off offset:128
	global_load_b32 v40, v[5:6], off offset:256
	;; [unrolled: 1-line block ×3, first 2 shown]
	s_clause 0x6
	global_load_b128 v[5:8], v[2:3], off
	global_load_b128 v[15:18], v[2:3], off offset:16
	global_load_b128 v[19:22], v[2:3], off offset:1024
	;; [unrolled: 1-line block ×6, first 2 shown]
	s_wait_loadcnt 0xa
	v_subrev_nc_u32_e32 v1, s16, v1
	s_wait_loadcnt 0x9
	v_subrev_nc_u32_e32 v42, s16, v39
	;; [unrolled: 2-line block ×4, first 2 shown]
	s_wait_loadcnt 0x5
	v_lshlrev_b32_e32 v56, 16, v17
	v_and_b32_e32 v17, 0xffff0000, v17
	s_wait_loadcnt 0x3
	v_lshlrev_b32_e32 v65, 16, v26
	v_lshlrev_b32_e32 v63, 16, v24
	v_lshlrev_b32_e32 v61, 16, v22
	v_and_b32_e32 v22, 0xffff0000, v22
	v_lshlrev_b32_e32 v59, 16, v20
	v_lshlrev_b32_e32 v55, 16, v16
	v_lshlrev_b32_e32 v51, 16, v6
	v_lshlrev_b32_e32 v39, 2, v1
	v_and_b32_e32 v20, 0xffff0000, v20
	v_lshlrev_b32_e32 v57, 16, v18
	;; [unrolled: 5-line block ×3, first 2 shown]
	v_and_b32_e32 v6, 0xffff0000, v6
	v_lshlrev_b32_e32 v43, 2, v40
	v_ashrrev_i32_e32 v40, 31, v39
	v_and_b32_e32 v8, 0xffff0000, v8
	v_lshlrev_b32_e32 v45, 2, v44
	v_ashrrev_i32_e32 v42, 31, v41
	v_ashrrev_i32_e32 v44, 31, v43
	v_lshlrev_b64_e32 v[39:40], 1, v[39:40]
	s_wait_loadcnt 0x1
	v_lshlrev_b32_e32 v72, 16, v33
	v_ashrrev_i32_e32 v46, 31, v45
	v_lshlrev_b64_e32 v[41:42], 1, v[41:42]
	v_lshlrev_b64_e32 v[43:44], 1, v[43:44]
	v_and_b32_e32 v33, 0xffff0000, v33
	s_wait_kmcnt 0x0
	v_add_co_u32 v39, vcc_lo, s4, v39
	v_lshlrev_b64_e32 v[45:46], 1, v[45:46]
	s_wait_alu 0xfffd
	v_add_co_ci_u32_e64 v40, null, s5, v40, vcc_lo
	v_add_co_u32 v41, vcc_lo, s4, v41
	s_wait_alu 0xfffd
	v_add_co_ci_u32_e64 v42, null, s5, v42, vcc_lo
	v_add_co_u32 v43, vcc_lo, s4, v43
	;; [unrolled: 3-line block ×3, first 2 shown]
	s_wait_alu 0xfffd
	v_add_co_ci_u32_e64 v46, null, s5, v46, vcc_lo
	s_clause 0x3
	global_load_b64 v[47:48], v[39:40], off
	global_load_b64 v[49:50], v[41:42], off
	;; [unrolled: 1-line block ×4, first 2 shown]
	global_load_b128 v[39:42], v[2:3], off offset:3088
	v_lshlrev_b32_e32 v60, 16, v21
	v_and_b32_e32 v21, 0xffff0000, v21
	v_lshlrev_b32_e32 v64, 16, v25
	v_and_b32_e32 v25, 0xffff0000, v25
	;; [unrolled: 2-line block ×3, first 2 shown]
	s_wait_loadcnt 0x5
	v_lshlrev_b32_e32 v76, 16, v37
	v_and_b32_e32 v37, 0xffff0000, v37
	v_add_co_u32 v2, vcc_lo, 0x1000, v2
	s_wait_alu 0xfffd
	v_add_co_ci_u32_e64 v3, null, 0, v3, vcc_lo
	s_wait_loadcnt 0x4
	v_lshlrev_b32_e32 v82, 16, v47
	v_add_nc_u32_e32 v0, 0x80, v0
	v_and_b32_e32 v47, 0xffff0000, v47
	s_wait_loadcnt 0x0
	s_delay_alu instid0(VALU_DEP_3) | instskip(SKIP_3) | instid1(VALU_DEP_4)
	v_dual_fmac_f32 v11, v1, v82 :: v_dual_lshlrev_b32 v80, 16, v41
	v_fmac_f32_e32 v13, v5, v82
	v_dual_fmac_f32 v12, v51, v82 :: v_dual_lshlrev_b32 v1, 16, v48
	v_and_b32_e32 v5, 0xffff0000, v48
	v_dual_fmac_f32 v11, v52, v47 :: v_dual_fmac_f32 v10, v6, v82
	v_and_b32_e32 v16, 0xffff0000, v16
	v_and_b32_e32 v18, 0xffff0000, v18
	v_dual_fmac_f32 v12, v53, v47 :: v_dual_and_b32 v41, 0xffff0000, v41
	s_delay_alu instid0(VALU_DEP_4) | instskip(SKIP_2) | instid1(VALU_DEP_4)
	v_fmac_f32_e32 v10, v8, v47
	v_and_b32_e32 v7, 0xffff0000, v7
	v_cmp_ge_i32_e32 vcc_lo, v0, v14
	v_fmac_f32_e32 v12, v55, v1
	s_delay_alu instid0(VALU_DEP_3)
	v_dual_fmac_f32 v10, v16, v1 :: v_dual_fmac_f32 v13, v7, v47
	v_lshlrev_b32_e32 v54, 16, v15
	v_and_b32_e32 v15, 0xffff0000, v15
	s_wait_alu 0xfffe
	s_or_b32 s6, vcc_lo, s6
	v_fmac_f32_e32 v10, v18, v5
	s_delay_alu instid0(VALU_DEP_2) | instskip(SKIP_2) | instid1(VALU_DEP_3)
	v_fmac_f32_e32 v13, v15, v1
	v_dual_fmac_f32 v11, v54, v1 :: v_dual_lshlrev_b32 v58, 16, v19
	v_lshlrev_b32_e32 v1, 16, v49
	v_fmac_f32_e32 v13, v17, v5
	s_delay_alu instid0(VALU_DEP_3) | instskip(NEXT) | instid1(VALU_DEP_1)
	v_fmac_f32_e32 v11, v56, v5
	v_fmac_f32_e32 v11, v58, v1
	;; [unrolled: 1-line block ×4, first 2 shown]
	v_and_b32_e32 v5, 0xffff0000, v49
	s_delay_alu instid0(VALU_DEP_1) | instskip(NEXT) | instid1(VALU_DEP_4)
	v_dual_fmac_f32 v11, v60, v5 :: v_dual_lshlrev_b32 v62, 16, v23
	v_fmac_f32_e32 v10, v22, v5
	s_delay_alu instid0(VALU_DEP_4) | instskip(NEXT) | instid1(VALU_DEP_1)
	v_dual_fmac_f32 v12, v59, v1 :: v_dual_and_b32 v19, 0xffff0000, v19
	v_fmac_f32_e32 v12, v61, v5
	s_delay_alu instid0(VALU_DEP_2) | instskip(SKIP_1) | instid1(VALU_DEP_2)
	v_dual_fmac_f32 v13, v19, v1 :: v_dual_and_b32 v24, 0xffff0000, v24
	v_lshlrev_b32_e32 v1, 16, v50
	v_dual_fmac_f32 v13, v21, v5 :: v_dual_and_b32 v26, 0xffff0000, v26
	s_delay_alu instid0(VALU_DEP_2) | instskip(SKIP_2) | instid1(VALU_DEP_3)
	v_dual_fmac_f32 v10, v24, v1 :: v_dual_and_b32 v23, 0xffff0000, v23
	v_and_b32_e32 v5, 0xffff0000, v50
	v_dual_fmac_f32 v11, v62, v1 :: v_dual_lshlrev_b32 v66, 16, v27
	v_fmac_f32_e32 v13, v23, v1
	v_dual_fmac_f32 v12, v63, v1 :: v_dual_lshlrev_b32 v1, 16, v43
	s_delay_alu instid0(VALU_DEP_4) | instskip(NEXT) | instid1(VALU_DEP_4)
	v_dual_fmac_f32 v10, v26, v5 :: v_dual_lshlrev_b32 v67, 16, v28
	v_dual_fmac_f32 v11, v64, v5 :: v_dual_and_b32 v28, 0xffff0000, v28
	s_delay_alu instid0(VALU_DEP_4) | instskip(NEXT) | instid1(VALU_DEP_4)
	v_dual_fmac_f32 v13, v25, v5 :: v_dual_lshlrev_b32 v70, 16, v31
	v_dual_fmac_f32 v12, v65, v5 :: v_dual_and_b32 v5, 0xffff0000, v43
	s_delay_alu instid0(VALU_DEP_3) | instskip(SKIP_2) | instid1(VALU_DEP_4)
	v_dual_fmac_f32 v10, v28, v1 :: v_dual_and_b32 v27, 0xffff0000, v27
	v_lshlrev_b32_e32 v69, 16, v30
	v_dual_fmac_f32 v11, v66, v1 :: v_dual_and_b32 v30, 0xffff0000, v30
	v_fmac_f32_e32 v12, v67, v1
	s_delay_alu instid0(VALU_DEP_4) | instskip(NEXT) | instid1(VALU_DEP_3)
	v_dual_fmac_f32 v13, v27, v1 :: v_dual_lshlrev_b32 v74, 16, v35
	v_dual_fmac_f32 v10, v30, v5 :: v_dual_lshlrev_b32 v1, 16, v44
	v_lshlrev_b32_e32 v71, 16, v32
	v_dual_fmac_f32 v11, v68, v5 :: v_dual_and_b32 v32, 0xffff0000, v32
	v_dual_fmac_f32 v12, v69, v5 :: v_dual_and_b32 v31, 0xffff0000, v31
	v_fmac_f32_e32 v13, v29, v5
	s_delay_alu instid0(VALU_DEP_3) | instskip(SKIP_1) | instid1(VALU_DEP_3)
	v_dual_fmac_f32 v10, v32, v1 :: v_dual_lshlrev_b32 v73, 16, v34
	v_and_b32_e32 v34, 0xffff0000, v34
	v_dual_fmac_f32 v13, v31, v1 :: v_dual_lshlrev_b32 v78, 16, v39
	v_and_b32_e32 v5, 0xffff0000, v44
	v_lshlrev_b32_e32 v75, 16, v36
	v_dual_fmac_f32 v11, v70, v1 :: v_dual_and_b32 v36, 0xffff0000, v36
	v_dual_fmac_f32 v12, v71, v1 :: v_dual_and_b32 v35, 0xffff0000, v35
	v_lshlrev_b32_e32 v1, 16, v45
	v_fmac_f32_e32 v13, v33, v5
	s_delay_alu instid0(VALU_DEP_4) | instskip(NEXT) | instid1(VALU_DEP_4)
	v_fmac_f32_e32 v11, v72, v5
	v_fmac_f32_e32 v12, v73, v5
	v_dual_fmac_f32 v10, v34, v5 :: v_dual_lshlrev_b32 v77, 16, v38
	v_and_b32_e32 v38, 0xffff0000, v38
	v_and_b32_e32 v39, 0xffff0000, v39
	;; [unrolled: 1-line block ×3, first 2 shown]
	v_fmac_f32_e32 v11, v74, v1
	v_fmac_f32_e32 v13, v35, v1
	v_dual_fmac_f32 v12, v75, v1 :: v_dual_lshlrev_b32 v79, 16, v40
	v_and_b32_e32 v40, 0xffff0000, v40
	v_dual_fmac_f32 v10, v36, v1 :: v_dual_lshlrev_b32 v81, 16, v42
	v_and_b32_e32 v42, 0xffff0000, v42
	v_lshlrev_b32_e32 v1, 16, v46
	v_fmac_f32_e32 v11, v76, v5
	v_fmac_f32_e32 v13, v37, v5
	;; [unrolled: 1-line block ×3, first 2 shown]
	v_dual_fmac_f32 v10, v38, v5 :: v_dual_and_b32 v5, 0xffff0000, v46
	s_delay_alu instid0(VALU_DEP_4) | instskip(NEXT) | instid1(VALU_DEP_4)
	v_fmac_f32_e32 v11, v78, v1
	v_fmac_f32_e32 v13, v39, v1
	s_delay_alu instid0(VALU_DEP_4) | instskip(NEXT) | instid1(VALU_DEP_4)
	v_fmac_f32_e32 v12, v79, v1
	v_fmac_f32_e32 v10, v40, v1
	;; [unrolled: 3-line block ×4, first 2 shown]
	s_wait_alu 0xfffe
	s_and_not1_b32 exec_lo, exec_lo, s6
	s_cbranch_execnz .LBB108_33
; %bb.34:
	s_or_b32 exec_lo, exec_lo, s6
.LBB108_35:
	s_wait_alu 0xfffe
	s_or_b32 exec_lo, exec_lo, s2
.LBB108_36:
	s_wait_alu 0xfffe
	s_or_b32 exec_lo, exec_lo, s3
.LBB108_37:
	v_mbcnt_lo_u32_b32 v0, -1, 0
	s_mov_b32 s2, -1
	s_delay_alu instid0(VALU_DEP_1) | instskip(SKIP_1) | instid1(VALU_DEP_2)
	v_xor_b32_e32 v1, 16, v0
	v_xor_b32_e32 v6, 8, v0
	v_cmp_gt_i32_e32 vcc_lo, 32, v1
	s_wait_alu 0xfffd
	v_cndmask_b32_e32 v1, v0, v1, vcc_lo
	s_delay_alu instid0(VALU_DEP_3) | instskip(SKIP_2) | instid1(VALU_DEP_1)
	v_cmp_gt_i32_e32 vcc_lo, 32, v6
	s_wait_alu 0xfffd
	v_cndmask_b32_e32 v6, v0, v6, vcc_lo
	v_lshlrev_b32_e32 v6, 2, v6
	v_lshlrev_b32_e32 v1, 2, v1
	ds_bpermute_b32 v2, v1, v11
	s_wait_dscnt 0x0
	v_add_f32_e32 v2, v11, v2
	ds_bpermute_b32 v3, v1, v13
	ds_bpermute_b32 v5, v1, v12
	;; [unrolled: 1-line block ×3, first 2 shown]
	v_xor_b32_e32 v11, 4, v0
	ds_bpermute_b32 v7, v6, v2
	v_cmp_gt_i32_e32 vcc_lo, 32, v11
	s_wait_dscnt 0x3
	v_add_f32_e32 v3, v13, v3
	s_wait_dscnt 0x2
	v_add_f32_e32 v5, v12, v5
	;; [unrolled: 2-line block ×4, first 2 shown]
	ds_bpermute_b32 v8, v6, v3
	ds_bpermute_b32 v10, v6, v5
	;; [unrolled: 1-line block ×3, first 2 shown]
	s_wait_alu 0xfffd
	v_cndmask_b32_e32 v11, v0, v11, vcc_lo
	s_wait_dscnt 0x1
	v_add_f32_e32 v5, v5, v10
	s_wait_dscnt 0x0
	v_add_f32_e32 v1, v1, v6
	v_lshlrev_b32_e32 v11, 2, v11
	ds_bpermute_b32 v6, v11, v2
	ds_bpermute_b32 v10, v11, v1
	s_wait_dscnt 0x1
	v_dual_add_f32 v2, v2, v6 :: v_dual_add_f32 v3, v3, v8
	s_wait_dscnt 0x0
	v_add_f32_e32 v6, v1, v10
	ds_bpermute_b32 v8, v11, v5
	ds_bpermute_b32 v7, v11, v3
	v_xor_b32_e32 v11, 2, v0
	s_delay_alu instid0(VALU_DEP_1)
	v_cmp_gt_i32_e32 vcc_lo, 32, v11
	s_wait_dscnt 0x1
	v_add_f32_e32 v5, v5, v8
	s_wait_alu 0xfffd
	v_cndmask_b32_e32 v11, v0, v11, vcc_lo
	s_wait_dscnt 0x0
	v_add_f32_e32 v3, v3, v7
	s_delay_alu instid0(VALU_DEP_2)
	v_lshlrev_b32_e32 v11, 2, v11
	ds_bpermute_b32 v1, v11, v2
	ds_bpermute_b32 v7, v11, v3
	;; [unrolled: 1-line block ×4, first 2 shown]
	v_xor_b32_e32 v11, 1, v0
	s_delay_alu instid0(VALU_DEP_1) | instskip(SKIP_4) | instid1(VALU_DEP_2)
	v_cmp_gt_i32_e32 vcc_lo, 32, v11
	s_wait_alu 0xfffd
	v_cndmask_b32_e32 v0, v0, v11, vcc_lo
	v_cmp_eq_u32_e32 vcc_lo, 31, v9
	s_wait_dscnt 0x3
	v_dual_add_f32 v0, v2, v1 :: v_dual_lshlrev_b32 v11, 2, v0
	s_wait_dscnt 0x1
	v_dual_add_f32 v1, v3, v7 :: v_dual_add_f32 v2, v5, v8
	s_wait_dscnt 0x0
	v_add_f32_e32 v3, v6, v10
	ds_bpermute_b32 v5, v11, v0
	ds_bpermute_b32 v6, v11, v1
	;; [unrolled: 1-line block ×4, first 2 shown]
	s_and_b32 exec_lo, exec_lo, vcc_lo
	s_cbranch_execz .LBB108_10
; %bb.38:
	s_load_b64 s[0:1], s[0:1], 0x50
	s_wait_dscnt 0x2
	v_dual_add_f32 v0, v0, v5 :: v_dual_add_f32 v1, v1, v6
	s_wait_dscnt 0x0
	v_dual_add_f32 v2, v2, v7 :: v_dual_add_f32 v3, v3, v8
	v_lshlrev_b32_e32 v4, 2, v4
	s_delay_alu instid0(VALU_DEP_3) | instskip(NEXT) | instid1(VALU_DEP_3)
	v_dual_mul_f32 v0, s14, v0 :: v_dual_mul_f32 v1, s14, v1
	v_dual_mul_f32 v2, s14, v2 :: v_dual_mul_f32 v3, s14, v3
	s_cmp_eq_f32 s12, 0
	s_cbranch_scc0 .LBB108_40
; %bb.39:
	v_ashrrev_i32_e32 v5, 31, v4
	s_mov_b32 s2, 0
	s_delay_alu instid0(VALU_DEP_1) | instskip(SKIP_1) | instid1(VALU_DEP_1)
	v_lshlrev_b64_e32 v[5:6], 2, v[4:5]
	s_wait_kmcnt 0x0
	v_add_co_u32 v5, vcc_lo, s0, v5
	s_wait_alu 0xfffd
	s_delay_alu instid0(VALU_DEP_2)
	v_add_co_ci_u32_e64 v6, null, s1, v6, vcc_lo
	global_store_b128 v[5:6], v[0:3], off
.LBB108_40:
	s_wait_alu 0xfffe
	s_and_not1_b32 vcc_lo, exec_lo, s2
	s_wait_alu 0xfffe
	s_cbranch_vccnz .LBB108_10
; %bb.41:
	v_ashrrev_i32_e32 v5, 31, v4
	s_delay_alu instid0(VALU_DEP_1) | instskip(SKIP_1) | instid1(VALU_DEP_1)
	v_lshlrev_b64_e32 v[4:5], 2, v[4:5]
	s_wait_kmcnt 0x0
	v_add_co_u32 v8, vcc_lo, s0, v4
	s_wait_alu 0xfffd
	s_delay_alu instid0(VALU_DEP_2)
	v_add_co_ci_u32_e64 v9, null, s1, v5, vcc_lo
	global_load_b128 v[4:7], v[8:9], off
	s_wait_loadcnt 0x0
	v_dual_fmac_f32 v0, s12, v4 :: v_dual_fmac_f32 v1, s12, v5
	v_dual_fmac_f32 v2, s12, v6 :: v_dual_fmac_f32 v3, s12, v7
	global_store_b128 v[8:9], v[0:3], off
	s_endpgm
	.section	.rodata,"a",@progbits
	.p2align	6, 0x0
	.amdhsa_kernel _ZN9rocsparseL18bsrxmvn_4x4_kernelILj128ELj32Efii18rocsparse_bfloat16S1_fEEvT3_20rocsparse_direction_NS_24const_host_device_scalarIT1_EES2_PKS2_PKT2_SB_S8_PKT4_PKT5_S6_PT6_21rocsparse_index_base_b
		.amdhsa_group_segment_fixed_size 0
		.amdhsa_private_segment_fixed_size 0
		.amdhsa_kernarg_size 96
		.amdhsa_user_sgpr_count 2
		.amdhsa_user_sgpr_dispatch_ptr 0
		.amdhsa_user_sgpr_queue_ptr 0
		.amdhsa_user_sgpr_kernarg_segment_ptr 1
		.amdhsa_user_sgpr_dispatch_id 0
		.amdhsa_user_sgpr_private_segment_size 0
		.amdhsa_wavefront_size32 1
		.amdhsa_uses_dynamic_stack 0
		.amdhsa_enable_private_segment 0
		.amdhsa_system_sgpr_workgroup_id_x 1
		.amdhsa_system_sgpr_workgroup_id_y 0
		.amdhsa_system_sgpr_workgroup_id_z 0
		.amdhsa_system_sgpr_workgroup_info 0
		.amdhsa_system_vgpr_workitem_id 0
		.amdhsa_next_free_vgpr 87
		.amdhsa_next_free_sgpr 18
		.amdhsa_reserve_vcc 1
		.amdhsa_float_round_mode_32 0
		.amdhsa_float_round_mode_16_64 0
		.amdhsa_float_denorm_mode_32 3
		.amdhsa_float_denorm_mode_16_64 3
		.amdhsa_fp16_overflow 0
		.amdhsa_workgroup_processor_mode 1
		.amdhsa_memory_ordered 1
		.amdhsa_forward_progress 1
		.amdhsa_inst_pref_size 40
		.amdhsa_round_robin_scheduling 0
		.amdhsa_exception_fp_ieee_invalid_op 0
		.amdhsa_exception_fp_denorm_src 0
		.amdhsa_exception_fp_ieee_div_zero 0
		.amdhsa_exception_fp_ieee_overflow 0
		.amdhsa_exception_fp_ieee_underflow 0
		.amdhsa_exception_fp_ieee_inexact 0
		.amdhsa_exception_int_div_zero 0
	.end_amdhsa_kernel
	.section	.text._ZN9rocsparseL18bsrxmvn_4x4_kernelILj128ELj32Efii18rocsparse_bfloat16S1_fEEvT3_20rocsparse_direction_NS_24const_host_device_scalarIT1_EES2_PKS2_PKT2_SB_S8_PKT4_PKT5_S6_PT6_21rocsparse_index_base_b,"axG",@progbits,_ZN9rocsparseL18bsrxmvn_4x4_kernelILj128ELj32Efii18rocsparse_bfloat16S1_fEEvT3_20rocsparse_direction_NS_24const_host_device_scalarIT1_EES2_PKS2_PKT2_SB_S8_PKT4_PKT5_S6_PT6_21rocsparse_index_base_b,comdat
.Lfunc_end108:
	.size	_ZN9rocsparseL18bsrxmvn_4x4_kernelILj128ELj32Efii18rocsparse_bfloat16S1_fEEvT3_20rocsparse_direction_NS_24const_host_device_scalarIT1_EES2_PKS2_PKT2_SB_S8_PKT4_PKT5_S6_PT6_21rocsparse_index_base_b, .Lfunc_end108-_ZN9rocsparseL18bsrxmvn_4x4_kernelILj128ELj32Efii18rocsparse_bfloat16S1_fEEvT3_20rocsparse_direction_NS_24const_host_device_scalarIT1_EES2_PKS2_PKT2_SB_S8_PKT4_PKT5_S6_PT6_21rocsparse_index_base_b
                                        ; -- End function
	.set _ZN9rocsparseL18bsrxmvn_4x4_kernelILj128ELj32Efii18rocsparse_bfloat16S1_fEEvT3_20rocsparse_direction_NS_24const_host_device_scalarIT1_EES2_PKS2_PKT2_SB_S8_PKT4_PKT5_S6_PT6_21rocsparse_index_base_b.num_vgpr, 87
	.set _ZN9rocsparseL18bsrxmvn_4x4_kernelILj128ELj32Efii18rocsparse_bfloat16S1_fEEvT3_20rocsparse_direction_NS_24const_host_device_scalarIT1_EES2_PKS2_PKT2_SB_S8_PKT4_PKT5_S6_PT6_21rocsparse_index_base_b.num_agpr, 0
	.set _ZN9rocsparseL18bsrxmvn_4x4_kernelILj128ELj32Efii18rocsparse_bfloat16S1_fEEvT3_20rocsparse_direction_NS_24const_host_device_scalarIT1_EES2_PKS2_PKT2_SB_S8_PKT4_PKT5_S6_PT6_21rocsparse_index_base_b.numbered_sgpr, 18
	.set _ZN9rocsparseL18bsrxmvn_4x4_kernelILj128ELj32Efii18rocsparse_bfloat16S1_fEEvT3_20rocsparse_direction_NS_24const_host_device_scalarIT1_EES2_PKS2_PKT2_SB_S8_PKT4_PKT5_S6_PT6_21rocsparse_index_base_b.num_named_barrier, 0
	.set _ZN9rocsparseL18bsrxmvn_4x4_kernelILj128ELj32Efii18rocsparse_bfloat16S1_fEEvT3_20rocsparse_direction_NS_24const_host_device_scalarIT1_EES2_PKS2_PKT2_SB_S8_PKT4_PKT5_S6_PT6_21rocsparse_index_base_b.private_seg_size, 0
	.set _ZN9rocsparseL18bsrxmvn_4x4_kernelILj128ELj32Efii18rocsparse_bfloat16S1_fEEvT3_20rocsparse_direction_NS_24const_host_device_scalarIT1_EES2_PKS2_PKT2_SB_S8_PKT4_PKT5_S6_PT6_21rocsparse_index_base_b.uses_vcc, 1
	.set _ZN9rocsparseL18bsrxmvn_4x4_kernelILj128ELj32Efii18rocsparse_bfloat16S1_fEEvT3_20rocsparse_direction_NS_24const_host_device_scalarIT1_EES2_PKS2_PKT2_SB_S8_PKT4_PKT5_S6_PT6_21rocsparse_index_base_b.uses_flat_scratch, 0
	.set _ZN9rocsparseL18bsrxmvn_4x4_kernelILj128ELj32Efii18rocsparse_bfloat16S1_fEEvT3_20rocsparse_direction_NS_24const_host_device_scalarIT1_EES2_PKS2_PKT2_SB_S8_PKT4_PKT5_S6_PT6_21rocsparse_index_base_b.has_dyn_sized_stack, 0
	.set _ZN9rocsparseL18bsrxmvn_4x4_kernelILj128ELj32Efii18rocsparse_bfloat16S1_fEEvT3_20rocsparse_direction_NS_24const_host_device_scalarIT1_EES2_PKS2_PKT2_SB_S8_PKT4_PKT5_S6_PT6_21rocsparse_index_base_b.has_recursion, 0
	.set _ZN9rocsparseL18bsrxmvn_4x4_kernelILj128ELj32Efii18rocsparse_bfloat16S1_fEEvT3_20rocsparse_direction_NS_24const_host_device_scalarIT1_EES2_PKS2_PKT2_SB_S8_PKT4_PKT5_S6_PT6_21rocsparse_index_base_b.has_indirect_call, 0
	.section	.AMDGPU.csdata,"",@progbits
; Kernel info:
; codeLenInByte = 5060
; TotalNumSgprs: 20
; NumVgprs: 87
; ScratchSize: 0
; MemoryBound: 0
; FloatMode: 240
; IeeeMode: 1
; LDSByteSize: 0 bytes/workgroup (compile time only)
; SGPRBlocks: 0
; VGPRBlocks: 10
; NumSGPRsForWavesPerEU: 20
; NumVGPRsForWavesPerEU: 87
; Occupancy: 16
; WaveLimiterHint : 1
; COMPUTE_PGM_RSRC2:SCRATCH_EN: 0
; COMPUTE_PGM_RSRC2:USER_SGPR: 2
; COMPUTE_PGM_RSRC2:TRAP_HANDLER: 0
; COMPUTE_PGM_RSRC2:TGID_X_EN: 1
; COMPUTE_PGM_RSRC2:TGID_Y_EN: 0
; COMPUTE_PGM_RSRC2:TGID_Z_EN: 0
; COMPUTE_PGM_RSRC2:TIDIG_COMP_CNT: 0
	.section	.text._ZN9rocsparseL18bsrxmvn_4x4_kernelILj128ELj64Efii18rocsparse_bfloat16S1_fEEvT3_20rocsparse_direction_NS_24const_host_device_scalarIT1_EES2_PKS2_PKT2_SB_S8_PKT4_PKT5_S6_PT6_21rocsparse_index_base_b,"axG",@progbits,_ZN9rocsparseL18bsrxmvn_4x4_kernelILj128ELj64Efii18rocsparse_bfloat16S1_fEEvT3_20rocsparse_direction_NS_24const_host_device_scalarIT1_EES2_PKS2_PKT2_SB_S8_PKT4_PKT5_S6_PT6_21rocsparse_index_base_b,comdat
	.globl	_ZN9rocsparseL18bsrxmvn_4x4_kernelILj128ELj64Efii18rocsparse_bfloat16S1_fEEvT3_20rocsparse_direction_NS_24const_host_device_scalarIT1_EES2_PKS2_PKT2_SB_S8_PKT4_PKT5_S6_PT6_21rocsparse_index_base_b ; -- Begin function _ZN9rocsparseL18bsrxmvn_4x4_kernelILj128ELj64Efii18rocsparse_bfloat16S1_fEEvT3_20rocsparse_direction_NS_24const_host_device_scalarIT1_EES2_PKS2_PKT2_SB_S8_PKT4_PKT5_S6_PT6_21rocsparse_index_base_b
	.p2align	8
	.type	_ZN9rocsparseL18bsrxmvn_4x4_kernelILj128ELj64Efii18rocsparse_bfloat16S1_fEEvT3_20rocsparse_direction_NS_24const_host_device_scalarIT1_EES2_PKS2_PKT2_SB_S8_PKT4_PKT5_S6_PT6_21rocsparse_index_base_b,@function
_ZN9rocsparseL18bsrxmvn_4x4_kernelILj128ELj64Efii18rocsparse_bfloat16S1_fEEvT3_20rocsparse_direction_NS_24const_host_device_scalarIT1_EES2_PKS2_PKT2_SB_S8_PKT4_PKT5_S6_PT6_21rocsparse_index_base_b: ; @_ZN9rocsparseL18bsrxmvn_4x4_kernelILj128ELj64Efii18rocsparse_bfloat16S1_fEEvT3_20rocsparse_direction_NS_24const_host_device_scalarIT1_EES2_PKS2_PKT2_SB_S8_PKT4_PKT5_S6_PT6_21rocsparse_index_base_b
; %bb.0:
	s_clause 0x2
	s_load_b64 s[16:17], s[0:1], 0x58
	s_load_b64 s[14:15], s[0:1], 0x8
	;; [unrolled: 1-line block ×3, first 2 shown]
	s_wait_kmcnt 0x0
	s_bitcmp1_b32 s17, 0
	s_cselect_b32 s2, -1, 0
	s_delay_alu instid0(SALU_CYCLE_1)
	s_and_b32 vcc_lo, exec_lo, s2
	s_xor_b32 s2, s2, -1
	s_cbranch_vccnz .LBB109_2
; %bb.1:
	s_load_b32 s14, s[14:15], 0x0
.LBB109_2:
	s_and_not1_b32 vcc_lo, exec_lo, s2
	s_cbranch_vccnz .LBB109_4
; %bb.3:
	s_load_b32 s12, s[12:13], 0x0
.LBB109_4:
	s_wait_kmcnt 0x0
	s_cmp_neq_f32 s14, 0
	s_mov_b32 s6, 0
	s_cselect_b32 s2, -1, 0
	s_cmp_neq_f32 s12, 1.0
	s_cselect_b32 s3, -1, 0
	s_delay_alu instid0(SALU_CYCLE_1) | instskip(NEXT) | instid1(SALU_CYCLE_1)
	s_or_b32 s2, s2, s3
	s_and_not1_b32 vcc_lo, exec_lo, s2
	s_cbranch_vccnz .LBB109_10
; %bb.5:
	s_clause 0x1
	s_load_b64 s[4:5], s[0:1], 0x18
	s_load_b64 s[2:3], s[0:1], 0x0
	v_lshrrev_b32_e32 v1, 6, v0
	s_delay_alu instid0(VALU_DEP_1)
	v_lshl_or_b32 v4, ttmp9, 1, v1
	s_wait_kmcnt 0x0
	s_cmp_lg_u64 s[4:5], 0
	s_cbranch_scc0 .LBB109_11
; %bb.6:
	s_load_b32 s6, s[0:1], 0x10
	s_mov_b32 s7, 0
                                        ; implicit-def: $vgpr1
	s_wait_kmcnt 0x0
	v_cmp_gt_i32_e32 vcc_lo, s6, v4
	s_mov_b32 s6, 0
	s_and_saveexec_b32 s8, vcc_lo
	s_delay_alu instid0(SALU_CYCLE_1)
	s_xor_b32 s8, exec_lo, s8
	s_cbranch_execz .LBB109_8
; %bb.7:
	v_ashrrev_i32_e32 v5, 31, v4
	s_mov_b32 s6, exec_lo
	s_delay_alu instid0(VALU_DEP_1) | instskip(NEXT) | instid1(VALU_DEP_1)
	v_lshlrev_b64_e32 v[1:2], 2, v[4:5]
	v_add_co_u32 v1, vcc_lo, s4, v1
	s_delay_alu instid0(VALU_DEP_1)
	v_add_co_ci_u32_e64 v2, null, s5, v2, vcc_lo
	global_load_b32 v1, v[1:2], off
	s_wait_loadcnt 0x0
	v_subrev_nc_u32_e32 v1, s16, v1
.LBB109_8:
	s_or_b32 exec_lo, exec_lo, s8
	s_delay_alu instid0(SALU_CYCLE_1)
	s_and_b32 vcc_lo, exec_lo, s7
	s_wait_alu 0xfffe
	s_cbranch_vccz .LBB109_12
.LBB109_9:
	v_cmp_gt_i32_e32 vcc_lo, s2, v4
	s_and_not1_b32 s2, s6, exec_lo
	s_and_b32 s4, vcc_lo, exec_lo
	s_wait_alu 0xfffe
	s_or_b32 s6, s2, s4
	s_wait_alu 0xfffe
	s_and_saveexec_b32 s2, s6
	s_cbranch_execnz .LBB109_13
.LBB109_10:
	s_endpgm
.LBB109_11:
                                        ; implicit-def: $vgpr1
	s_cbranch_execnz .LBB109_9
.LBB109_12:
	v_mov_b32_e32 v4, v1
	s_and_saveexec_b32 s2, s6
	s_cbranch_execz .LBB109_10
.LBB109_13:
	s_load_b256 s[4:11], s[0:1], 0x20
	s_delay_alu instid0(VALU_DEP_1) | instskip(SKIP_1) | instid1(VALU_DEP_2)
	v_ashrrev_i32_e32 v5, 31, v4
	v_and_b32_e32 v9, 63, v0
	v_lshlrev_b64_e32 v[1:2], 2, v[4:5]
	s_wait_kmcnt 0x0
	s_delay_alu instid0(VALU_DEP_1) | instskip(SKIP_1) | instid1(VALU_DEP_2)
	v_add_co_u32 v5, vcc_lo, s4, v1
	s_wait_alu 0xfffd
	v_add_co_ci_u32_e64 v6, null, s5, v2, vcc_lo
	v_add_co_u32 v1, vcc_lo, s6, v1
	s_wait_alu 0xfffd
	v_add_co_ci_u32_e64 v2, null, s7, v2, vcc_lo
	global_load_b32 v15, v[5:6], off
	v_add_co_u32 v3, vcc_lo, v5, 4
	s_wait_alu 0xfffd
	v_add_co_ci_u32_e64 v5, null, 0, v6, vcc_lo
	s_cmp_eq_u64 s[6:7], 0
	s_load_b64 s[4:5], s[0:1], 0x40
	s_cselect_b32 vcc_lo, -1, 0
	s_cmp_eq_u32 s3, 1
	s_wait_alu 0xfffe
	v_dual_cndmask_b32 v2, v2, v5 :: v_dual_cndmask_b32 v1, v1, v3
	global_load_b32 v5, v[1:2], off
	s_wait_loadcnt 0x1
	v_subrev_nc_u32_e32 v0, s16, v15
	s_delay_alu instid0(VALU_DEP_1) | instskip(NEXT) | instid1(VALU_DEP_1)
	v_add_nc_u32_e32 v0, v0, v9
	v_ashrrev_i32_e32 v1, 31, v0
	s_wait_loadcnt 0x0
	v_subrev_nc_u32_e32 v14, s16, v5
	s_delay_alu instid0(VALU_DEP_2) | instskip(NEXT) | instid1(VALU_DEP_2)
	v_lshlrev_b64_e32 v[2:3], 5, v[0:1]
	v_cmp_lt_i32_e64 s2, v0, v14
	s_delay_alu instid0(VALU_DEP_2) | instskip(SKIP_1) | instid1(VALU_DEP_3)
	v_add_co_u32 v2, vcc_lo, s10, v2
	s_wait_alu 0xfffd
	v_add_co_ci_u32_e64 v3, null, s11, v3, vcc_lo
	s_cbranch_scc1 .LBB109_25
; %bb.14:
	v_dual_mov_b32 v10, 0 :: v_dual_mov_b32 v13, 0
	v_dual_mov_b32 v12, 0 :: v_dual_mov_b32 v11, 0
	s_and_saveexec_b32 s3, s2
	s_cbranch_execz .LBB109_24
; %bb.15:
	v_dual_mov_b32 v12, 0 :: v_dual_add_nc_u32 v1, v15, v9
	v_not_b32_e32 v5, v15
	v_dual_mov_b32 v13, 0 :: v_dual_mov_b32 v8, v3
	s_delay_alu instid0(VALU_DEP_3) | instskip(SKIP_2) | instid1(VALU_DEP_2)
	v_subrev_nc_u32_e32 v1, s16, v1
	v_mov_b32_e32 v7, v2
	s_mov_b32 s6, exec_lo
	v_dual_mov_b32 v10, 0 :: v_dual_add_nc_u32 v1, 64, v1
	s_delay_alu instid0(VALU_DEP_1) | instskip(NEXT) | instid1(VALU_DEP_1)
	v_max_i32_e32 v1, v1, v14
	v_add3_u32 v1, s16, v1, v5
	v_mov_b32_e32 v5, v0
	s_delay_alu instid0(VALU_DEP_2) | instskip(NEXT) | instid1(VALU_DEP_1)
	v_sub_nc_u32_e32 v1, v1, v9
	v_dual_mov_b32 v11, 0 :: v_dual_and_b32 v6, 0xc0, v1
	s_delay_alu instid0(VALU_DEP_1)
	v_cmpx_ne_u32_e32 0xc0, v6
	s_cbranch_execz .LBB109_19
; %bb.16:
	v_lshrrev_b32_e32 v5, 6, v1
	v_mov_b32_e32 v8, v3
	v_dual_mov_b32 v12, 0 :: v_dual_mov_b32 v13, 0
	v_mov_b32_e32 v11, 0
	s_delay_alu instid0(VALU_DEP_4) | instskip(SKIP_1) | instid1(VALU_DEP_1)
	v_dual_mov_b32 v10, 0 :: v_dual_add_nc_u32 v5, 1, v5
	s_mov_b32 s7, 0
	v_dual_mov_b32 v7, v2 :: v_dual_and_b32 v6, 3, v5
	v_mov_b32_e32 v5, v0
	s_delay_alu instid0(VALU_DEP_2)
	v_sub_nc_u32_e32 v16, 0, v6
.LBB109_17:                             ; =>This Inner Loop Header: Depth=1
	s_delay_alu instid0(VALU_DEP_2) | instskip(NEXT) | instid1(VALU_DEP_2)
	v_ashrrev_i32_e32 v6, 31, v5
	v_add_co_u32 v16, s10, v16, 1
	s_wait_alu 0xfffe
	s_or_b32 s7, s10, s7
	s_delay_alu instid0(VALU_DEP_2) | instskip(SKIP_1) | instid1(VALU_DEP_2)
	v_lshlrev_b64_e32 v[17:18], 2, v[5:6]
	v_add_nc_u32_e32 v5, 64, v5
	v_add_co_u32 v17, vcc_lo, s8, v17
	s_wait_alu 0xfffd
	s_delay_alu instid0(VALU_DEP_3) | instskip(SKIP_4) | instid1(VALU_DEP_1)
	v_add_co_ci_u32_e64 v18, null, s9, v18, vcc_lo
	global_load_b32 v6, v[17:18], off
	global_load_b128 v[17:20], v[7:8], off
	s_wait_loadcnt 0x1
	v_subrev_nc_u32_e32 v6, s16, v6
	v_lshlrev_b32_e32 v21, 2, v6
	s_delay_alu instid0(VALU_DEP_1) | instskip(NEXT) | instid1(VALU_DEP_1)
	v_ashrrev_i32_e32 v22, 31, v21
	v_lshlrev_b64_e32 v[21:22], 1, v[21:22]
	s_wait_kmcnt 0x0
	s_delay_alu instid0(VALU_DEP_1) | instskip(SKIP_1) | instid1(VALU_DEP_2)
	v_add_co_u32 v25, vcc_lo, s4, v21
	s_wait_alu 0xfffd
	v_add_co_ci_u32_e64 v26, null, s5, v22, vcc_lo
	global_load_b128 v[21:24], v[7:8], off offset:16
	global_load_b64 v[25:26], v[25:26], off
	v_add_co_u32 v7, vcc_lo, 0x800, v7
	s_wait_alu 0xfffd
	v_add_co_ci_u32_e64 v8, null, 0, v8, vcc_lo
	s_wait_loadcnt 0x1
	v_lshlrev_b32_e32 v33, 16, v24
	s_wait_loadcnt 0x0
	v_lshlrev_b32_e32 v34, 16, v25
	v_lshlrev_b32_e32 v28, 16, v19
	;; [unrolled: 1-line block ×3, first 2 shown]
	v_and_b32_e32 v24, 0xffff0000, v24
	v_and_b32_e32 v25, 0xffff0000, v25
	s_delay_alu instid0(VALU_DEP_4) | instskip(NEXT) | instid1(VALU_DEP_4)
	v_fmac_f32_e32 v13, v28, v34
	v_fmac_f32_e32 v11, v6, v34
	v_lshlrev_b32_e32 v6, 16, v26
	v_lshlrev_b32_e32 v32, 16, v23
	v_and_b32_e32 v19, 0xffff0000, v19
	v_lshlrev_b32_e32 v30, 16, v21
	v_and_b32_e32 v23, 0xffff0000, v23
	s_delay_alu instid0(VALU_DEP_4) | instskip(NEXT) | instid1(VALU_DEP_3)
	v_dual_fmac_f32 v10, v32, v34 :: v_dual_and_b32 v17, 0xffff0000, v17
	v_dual_fmac_f32 v13, v19, v25 :: v_dual_fmac_f32 v12, v30, v34
	s_delay_alu instid0(VALU_DEP_2) | instskip(NEXT) | instid1(VALU_DEP_3)
	v_fmac_f32_e32 v11, v17, v25
	v_fmac_f32_e32 v10, v23, v25
	v_and_b32_e32 v21, 0xffff0000, v21
	v_and_b32_e32 v17, 0xffff0000, v26
	v_lshlrev_b32_e32 v31, 16, v22
	s_delay_alu instid0(VALU_DEP_4) | instskip(NEXT) | instid1(VALU_DEP_4)
	v_fmac_f32_e32 v10, v33, v6
	v_dual_fmac_f32 v12, v21, v25 :: v_dual_lshlrev_b32 v27, 16, v18
	v_and_b32_e32 v18, 0xffff0000, v18
	v_lshlrev_b32_e32 v29, 16, v20
	s_delay_alu instid0(VALU_DEP_3) | instskip(SKIP_2) | instid1(VALU_DEP_4)
	v_dual_fmac_f32 v11, v27, v6 :: v_dual_and_b32 v20, 0xffff0000, v20
	v_and_b32_e32 v22, 0xffff0000, v22
	v_fmac_f32_e32 v12, v31, v6
	v_fmac_f32_e32 v13, v29, v6
	s_delay_alu instid0(VALU_DEP_4) | instskip(NEXT) | instid1(VALU_DEP_3)
	v_fmac_f32_e32 v11, v18, v17
	v_fmac_f32_e32 v12, v22, v17
	s_delay_alu instid0(VALU_DEP_3)
	v_fmac_f32_e32 v13, v20, v17
	v_fmac_f32_e32 v10, v24, v17
	s_wait_alu 0xfffe
	s_and_not1_b32 exec_lo, exec_lo, s7
	s_cbranch_execnz .LBB109_17
; %bb.18:
	s_or_b32 exec_lo, exec_lo, s7
.LBB109_19:
	s_wait_alu 0xfffe
	s_or_b32 exec_lo, exec_lo, s6
	s_delay_alu instid0(SALU_CYCLE_1)
	s_mov_b32 s6, exec_lo
	v_cmpx_lt_u32_e32 0xbf, v1
	s_cbranch_execz .LBB109_23
; %bb.20:
	s_mov_b32 s7, 0
.LBB109_21:                             ; =>This Inner Loop Header: Depth=1
	v_ashrrev_i32_e32 v6, 31, v5
	s_delay_alu instid0(VALU_DEP_1) | instskip(NEXT) | instid1(VALU_DEP_1)
	v_lshlrev_b64_e32 v[16:17], 2, v[5:6]
	v_add_co_u32 v16, vcc_lo, s8, v16
	s_wait_alu 0xfffd
	s_delay_alu instid0(VALU_DEP_2)
	v_add_co_ci_u32_e64 v17, null, s9, v17, vcc_lo
	s_clause 0x3
	global_load_b32 v1, v[16:17], off
	global_load_b32 v6, v[16:17], off offset:256
	global_load_b32 v48, v[16:17], off offset:512
	global_load_b32 v49, v[16:17], off offset:768
	s_clause 0x7
	global_load_b128 v[16:19], v[7:8], off
	global_load_b128 v[20:23], v[7:8], off offset:16
	global_load_b128 v[24:27], v[7:8], off offset:2048
	;; [unrolled: 1-line block ×7, first 2 shown]
	s_wait_loadcnt 0xb
	v_subrev_nc_u32_e32 v1, s16, v1
	s_wait_loadcnt 0xa
	v_subrev_nc_u32_e32 v6, s16, v6
	;; [unrolled: 2-line block ×4, first 2 shown]
	v_lshlrev_b32_e32 v48, 2, v1
	v_lshlrev_b32_e32 v50, 2, v6
	s_wait_loadcnt 0x4
	v_lshlrev_b32_e32 v66, 16, v28
	v_and_b32_e32 v28, 0xffff0000, v28
	v_lshlrev_b32_e32 v63, 16, v25
	v_ashrrev_i32_e32 v49, 31, v48
	v_lshlrev_b32_e32 v60, 16, v22
	s_wait_loadcnt 0x2
	v_lshlrev_b32_e32 v74, 16, v36
	v_and_b32_e32 v36, 0xffff0000, v36
	v_lshlrev_b32_e32 v71, 16, v33
	v_lshlrev_b64_e32 v[48:49], 1, v[48:49]
	v_lshlrev_b32_e32 v68, 16, v30
	v_lshlrev_b32_e32 v65, 16, v27
	v_and_b32_e32 v22, 0xffff0000, v22
	v_lshlrev_b32_e32 v57, 16, v19
	v_lshlrev_b32_e32 v56, 16, v18
	s_wait_kmcnt 0x0
	v_add_co_u32 v48, vcc_lo, s4, v48
	s_wait_alu 0xfffd
	v_add_co_ci_u32_e64 v49, null, s5, v49, vcc_lo
	v_lshlrev_b32_e32 v52, 2, v51
	v_ashrrev_i32_e32 v51, 31, v50
	v_lshlrev_b32_e32 v62, 16, v24
	global_load_b64 v[48:49], v[48:49], off
	v_and_b32_e32 v18, 0xffff0000, v18
	v_lshlrev_b32_e32 v54, 2, v53
	v_lshlrev_b64_e32 v[50:51], 1, v[50:51]
	v_ashrrev_i32_e32 v53, 31, v52
	v_lshlrev_b32_e32 v70, 16, v32
	v_lshlrev_b32_e32 v64, 16, v26
	v_ashrrev_i32_e32 v55, 31, v54
	v_lshlrev_b32_e32 v61, 16, v23
	v_add_co_u32 v50, vcc_lo, s4, v50
	s_wait_alu 0xfffd
	v_add_co_ci_u32_e64 v51, null, s5, v51, vcc_lo
	v_lshlrev_b64_e32 v[52:53], 1, v[52:53]
	v_lshlrev_b64_e32 v[54:55], 1, v[54:55]
	s_wait_loadcnt 0x2
	v_lshlrev_b32_e32 v78, 16, v40
	global_load_b64 v[50:51], v[50:51], off
	v_lshlrev_b32_e32 v72, 16, v34
	v_and_b32_e32 v26, 0xffff0000, v26
	v_add_co_u32 v52, vcc_lo, s4, v52
	s_wait_alu 0xfffd
	v_add_co_ci_u32_e64 v53, null, s5, v53, vcc_lo
	v_add_co_u32 v54, vcc_lo, s4, v54
	s_wait_alu 0xfffd
	v_add_co_ci_u32_e64 v55, null, s5, v55, vcc_lo
	global_load_b64 v[52:53], v[52:53], off
	s_wait_loadcnt 0x3
	v_lshlrev_b32_e32 v82, 16, v44
	v_and_b32_e32 v44, 0xffff0000, v44
	global_load_b64 v[54:55], v[54:55], off
	v_lshlrev_b32_e32 v79, 16, v41
	v_lshlrev_b32_e32 v76, 16, v38
	;; [unrolled: 1-line block ×3, first 2 shown]
	v_and_b32_e32 v30, 0xffff0000, v30
	v_lshlrev_b32_e32 v69, 16, v31
	v_lshlrev_b32_e32 v80, 16, v42
	v_and_b32_e32 v34, 0xffff0000, v34
	v_lshlrev_b32_e32 v84, 16, v46
	v_lshlrev_b32_e32 v81, 16, v43
	v_and_b32_e32 v38, 0xffff0000, v38
	v_lshlrev_b32_e32 v77, 16, v39
	v_and_b32_e32 v42, 0xffff0000, v42
	v_and_b32_e32 v46, 0xffff0000, v46
	v_lshlrev_b32_e32 v85, 16, v47
	v_add_co_u32 v7, vcc_lo, 0x2000, v7
	s_wait_alu 0xfffd
	v_add_co_ci_u32_e64 v8, null, 0, v8, vcc_lo
	s_wait_loadcnt 0x3
	v_lshlrev_b32_e32 v86, 16, v48
	v_lshlrev_b32_e32 v1, 16, v16
	s_delay_alu instid0(VALU_DEP_2) | instskip(SKIP_1) | instid1(VALU_DEP_3)
	v_dual_fmac_f32 v13, v56, v86 :: v_dual_and_b32 v48, 0xffff0000, v48
	v_fmac_f32_e32 v10, v60, v86
	v_fmac_f32_e32 v11, v1, v86
	v_lshlrev_b32_e32 v1, 16, v49
	v_and_b32_e32 v6, 0xffff0000, v16
	v_fmac_f32_e32 v13, v18, v48
	v_dual_fmac_f32 v10, v22, v48 :: v_dual_and_b32 v23, 0xffff0000, v23
	s_delay_alu instid0(VALU_DEP_3) | instskip(NEXT) | instid1(VALU_DEP_3)
	v_dual_fmac_f32 v11, v6, v48 :: v_dual_and_b32 v6, 0xffff0000, v49
	v_dual_fmac_f32 v13, v57, v1 :: v_dual_lshlrev_b32 v58, 16, v20
	v_add_nc_u32_e32 v5, 0x100, v5
	v_and_b32_e32 v20, 0xffff0000, v20
	v_lshlrev_b32_e32 v16, 16, v17
	s_delay_alu instid0(VALU_DEP_4)
	v_dual_fmac_f32 v12, v58, v86 :: v_dual_lshlrev_b32 v59, 16, v21
	v_and_b32_e32 v17, 0xffff0000, v17
	v_fmac_f32_e32 v10, v61, v1
	v_and_b32_e32 v21, 0xffff0000, v21
	v_fmac_f32_e32 v11, v16, v1
	v_dual_fmac_f32 v12, v20, v48 :: v_dual_and_b32 v19, 0xffff0000, v19
	s_delay_alu instid0(VALU_DEP_4) | instskip(SKIP_1) | instid1(VALU_DEP_3)
	v_fmac_f32_e32 v10, v23, v6
	v_cmp_ge_i32_e32 vcc_lo, v5, v14
	v_dual_fmac_f32 v11, v17, v6 :: v_dual_fmac_f32 v12, v59, v1
	s_wait_loadcnt 0x2
	v_lshlrev_b32_e32 v1, 16, v50
	v_fmac_f32_e32 v13, v19, v6
	s_wait_alu 0xfffe
	s_or_b32 s7, vcc_lo, s7
	v_fmac_f32_e32 v12, v21, v6
	v_dual_fmac_f32 v11, v62, v1 :: v_dual_and_b32 v6, 0xffff0000, v50
	v_dual_fmac_f32 v13, v64, v1 :: v_dual_and_b32 v24, 0xffff0000, v24
	s_delay_alu instid0(VALU_DEP_3)
	v_fmac_f32_e32 v12, v66, v1
	v_fmac_f32_e32 v10, v68, v1
	v_and_b32_e32 v25, 0xffff0000, v25
	v_lshlrev_b32_e32 v1, 16, v51
	v_fmac_f32_e32 v13, v26, v6
	v_fmac_f32_e32 v11, v24, v6
	;; [unrolled: 1-line block ×4, first 2 shown]
	v_and_b32_e32 v6, 0xffff0000, v51
	v_lshlrev_b32_e32 v67, 16, v29
	v_and_b32_e32 v27, 0xffff0000, v27
	s_delay_alu instid0(VALU_DEP_4)
	v_dual_fmac_f32 v10, v69, v1 :: v_dual_and_b32 v31, 0xffff0000, v31
	v_and_b32_e32 v29, 0xffff0000, v29
	v_fmac_f32_e32 v11, v63, v1
	v_fmac_f32_e32 v13, v65, v1
	s_wait_loadcnt 0x1
	v_dual_fmac_f32 v12, v67, v1 :: v_dual_lshlrev_b32 v1, 16, v52
	v_fmac_f32_e32 v10, v31, v6
	v_fmac_f32_e32 v11, v25, v6
	;; [unrolled: 1-line block ×3, first 2 shown]
	s_delay_alu instid0(VALU_DEP_4)
	v_fmac_f32_e32 v12, v29, v6
	v_and_b32_e32 v6, 0xffff0000, v52
	v_fmac_f32_e32 v10, v76, v1
	v_fmac_f32_e32 v11, v70, v1
	v_dual_fmac_f32 v13, v72, v1 :: v_dual_and_b32 v32, 0xffff0000, v32
	v_fmac_f32_e32 v12, v74, v1
	s_delay_alu instid0(VALU_DEP_4) | instskip(SKIP_1) | instid1(VALU_DEP_4)
	v_dual_fmac_f32 v10, v38, v6 :: v_dual_and_b32 v33, 0xffff0000, v33
	v_lshlrev_b32_e32 v1, 16, v53
	v_fmac_f32_e32 v13, v34, v6
	v_fmac_f32_e32 v11, v32, v6
	;; [unrolled: 1-line block ×3, first 2 shown]
	v_and_b32_e32 v6, 0xffff0000, v53
	v_lshlrev_b32_e32 v75, 16, v37
	v_and_b32_e32 v35, 0xffff0000, v35
	v_dual_fmac_f32 v10, v77, v1 :: v_dual_and_b32 v39, 0xffff0000, v39
	v_and_b32_e32 v37, 0xffff0000, v37
	v_fmac_f32_e32 v11, v71, v1
	v_fmac_f32_e32 v13, v73, v1
	s_wait_loadcnt 0x0
	v_dual_fmac_f32 v12, v75, v1 :: v_dual_lshlrev_b32 v1, 16, v54
	v_fmac_f32_e32 v10, v39, v6
	v_fmac_f32_e32 v11, v33, v6
	;; [unrolled: 1-line block ×3, first 2 shown]
	s_delay_alu instid0(VALU_DEP_4)
	v_fmac_f32_e32 v12, v37, v6
	v_and_b32_e32 v6, 0xffff0000, v54
	v_fmac_f32_e32 v10, v84, v1
	v_fmac_f32_e32 v11, v78, v1
	v_dual_fmac_f32 v13, v80, v1 :: v_dual_and_b32 v40, 0xffff0000, v40
	v_fmac_f32_e32 v12, v82, v1
	s_delay_alu instid0(VALU_DEP_4) | instskip(SKIP_1) | instid1(VALU_DEP_4)
	v_dual_fmac_f32 v10, v46, v6 :: v_dual_and_b32 v41, 0xffff0000, v41
	v_lshlrev_b32_e32 v1, 16, v55
	v_fmac_f32_e32 v13, v42, v6
	v_fmac_f32_e32 v11, v40, v6
	;; [unrolled: 1-line block ×3, first 2 shown]
	v_and_b32_e32 v6, 0xffff0000, v55
	v_lshlrev_b32_e32 v83, 16, v45
	v_and_b32_e32 v43, 0xffff0000, v43
	v_dual_fmac_f32 v10, v85, v1 :: v_dual_and_b32 v47, 0xffff0000, v47
	v_and_b32_e32 v45, 0xffff0000, v45
	v_fmac_f32_e32 v11, v79, v1
	v_fmac_f32_e32 v13, v81, v1
	;; [unrolled: 1-line block ×4, first 2 shown]
	s_delay_alu instid0(VALU_DEP_4) | instskip(NEXT) | instid1(VALU_DEP_4)
	v_fmac_f32_e32 v11, v41, v6
	v_fmac_f32_e32 v13, v43, v6
	s_delay_alu instid0(VALU_DEP_4)
	v_fmac_f32_e32 v12, v45, v6
	s_wait_alu 0xfffe
	s_and_not1_b32 exec_lo, exec_lo, s7
	s_cbranch_execnz .LBB109_21
; %bb.22:
	s_or_b32 exec_lo, exec_lo, s7
.LBB109_23:
	s_wait_alu 0xfffe
	s_or_b32 exec_lo, exec_lo, s6
.LBB109_24:
	s_wait_alu 0xfffe
	s_or_b32 exec_lo, exec_lo, s3
	s_cbranch_execz .LBB109_26
	s_branch .LBB109_37
.LBB109_25:
                                        ; implicit-def: $vgpr10
                                        ; implicit-def: $vgpr12
                                        ; implicit-def: $vgpr13
                                        ; implicit-def: $vgpr11
.LBB109_26:
	v_dual_mov_b32 v10, 0 :: v_dual_mov_b32 v13, 0
	v_dual_mov_b32 v12, 0 :: v_dual_mov_b32 v11, 0
	s_and_saveexec_b32 s3, s2
	s_cbranch_execz .LBB109_36
; %bb.27:
	v_dual_mov_b32 v12, 0 :: v_dual_add_nc_u32 v1, v15, v9
	v_not_b32_e32 v5, v15
	v_mov_b32_e32 v11, 0
	v_mov_b32_e32 v13, 0
	s_delay_alu instid0(VALU_DEP_4) | instskip(SKIP_1) | instid1(VALU_DEP_1)
	v_subrev_nc_u32_e32 v1, s16, v1
	s_mov_b32 s2, exec_lo
	v_dual_mov_b32 v10, 0 :: v_dual_add_nc_u32 v1, 64, v1
	s_delay_alu instid0(VALU_DEP_1) | instskip(NEXT) | instid1(VALU_DEP_1)
	v_max_i32_e32 v1, v1, v14
	v_add3_u32 v1, s16, v1, v5
	s_delay_alu instid0(VALU_DEP_1) | instskip(NEXT) | instid1(VALU_DEP_1)
	v_sub_nc_u32_e32 v5, v1, v9
	v_and_b32_e32 v1, 0xc0, v5
	s_delay_alu instid0(VALU_DEP_1)
	v_cmpx_ne_u32_e32 0xc0, v1
	s_cbranch_execz .LBB109_31
; %bb.28:
	v_lshrrev_b32_e32 v1, 6, v5
	v_mov_b32_e32 v13, 0
	v_mov_b32_e32 v11, 0
	s_mov_b32 s6, 0
	s_delay_alu instid0(VALU_DEP_3) | instskip(NEXT) | instid1(VALU_DEP_1)
	v_dual_mov_b32 v10, 0 :: v_dual_add_nc_u32 v1, 1, v1
	v_dual_mov_b32 v12, 0 :: v_dual_and_b32 v1, 3, v1
	s_delay_alu instid0(VALU_DEP_1)
	v_sub_nc_u32_e32 v6, 0, v1
.LBB109_29:                             ; =>This Inner Loop Header: Depth=1
	v_ashrrev_i32_e32 v1, 31, v0
	s_delay_alu instid0(VALU_DEP_2) | instskip(SKIP_2) | instid1(VALU_DEP_2)
	v_add_co_u32 v6, s7, v6, 1
	s_wait_alu 0xfffe
	s_or_b32 s6, s7, s6
	v_lshlrev_b64_e32 v[7:8], 2, v[0:1]
	s_delay_alu instid0(VALU_DEP_1) | instskip(SKIP_1) | instid1(VALU_DEP_2)
	v_add_co_u32 v7, vcc_lo, s8, v7
	s_wait_alu 0xfffd
	v_add_co_ci_u32_e64 v8, null, s9, v8, vcc_lo
	global_load_b32 v1, v[7:8], off
	global_load_b128 v[15:18], v[2:3], off
	s_wait_loadcnt 0x1
	v_subrev_nc_u32_e32 v1, s16, v1
	s_wait_loadcnt 0x0
	v_lshlrev_b32_e32 v25, 16, v18
	v_lshlrev_b32_e32 v23, 16, v16
	s_delay_alu instid0(VALU_DEP_3) | instskip(NEXT) | instid1(VALU_DEP_1)
	v_lshlrev_b32_e32 v7, 2, v1
	v_ashrrev_i32_e32 v8, 31, v7
	s_delay_alu instid0(VALU_DEP_1) | instskip(SKIP_1) | instid1(VALU_DEP_1)
	v_lshlrev_b64_e32 v[7:8], 1, v[7:8]
	s_wait_kmcnt 0x0
	v_add_co_u32 v7, vcc_lo, s4, v7
	s_wait_alu 0xfffd
	s_delay_alu instid0(VALU_DEP_2)
	v_add_co_ci_u32_e64 v8, null, s5, v8, vcc_lo
	global_load_b64 v[7:8], v[7:8], off
	global_load_b128 v[19:22], v[2:3], off offset:16
	v_add_co_u32 v2, vcc_lo, 0x800, v2
	s_wait_alu 0xfffd
	v_add_co_ci_u32_e64 v3, null, 0, v3, vcc_lo
	s_wait_loadcnt 0x1
	v_lshlrev_b32_e32 v30, 16, v7
	v_and_b32_e32 v16, 0xffff0000, v16
	v_lshlrev_b32_e32 v1, 16, v15
	v_and_b32_e32 v7, 0xffff0000, v7
	s_wait_loadcnt 0x0
	v_lshlrev_b32_e32 v29, 16, v22
	v_dual_fmac_f32 v12, v23, v30 :: v_dual_lshlrev_b32 v27, 16, v20
	v_fmac_f32_e32 v10, v16, v30
	v_fmac_f32_e32 v11, v1, v30
	s_delay_alu instid0(VALU_DEP_3) | instskip(NEXT) | instid1(VALU_DEP_1)
	v_dual_fmac_f32 v12, v25, v7 :: v_dual_lshlrev_b32 v1, 16, v8
	v_dual_fmac_f32 v12, v27, v1 :: v_dual_and_b32 v15, 0xffff0000, v15
	s_delay_alu instid0(VALU_DEP_1) | instskip(NEXT) | instid1(VALU_DEP_1)
	v_dual_fmac_f32 v13, v15, v30 :: v_dual_lshlrev_b32 v24, 16, v17
	v_dual_fmac_f32 v11, v24, v7 :: v_dual_and_b32 v18, 0xffff0000, v18
	s_delay_alu instid0(VALU_DEP_1) | instskip(NEXT) | instid1(VALU_DEP_1)
	v_dual_fmac_f32 v10, v18, v7 :: v_dual_and_b32 v17, 0xffff0000, v17
	v_dual_fmac_f32 v13, v17, v7 :: v_dual_and_b32 v20, 0xffff0000, v20
	v_lshlrev_b32_e32 v26, 16, v19
	v_and_b32_e32 v19, 0xffff0000, v19
	s_delay_alu instid0(VALU_DEP_3) | instskip(NEXT) | instid1(VALU_DEP_2)
	v_dual_fmac_f32 v10, v20, v1 :: v_dual_and_b32 v7, 0xffff0000, v8
	v_fmac_f32_e32 v13, v19, v1
	v_lshlrev_b32_e32 v28, 16, v21
	v_dual_fmac_f32 v11, v26, v1 :: v_dual_and_b32 v22, 0xffff0000, v22
	s_delay_alu instid0(VALU_DEP_4) | instskip(NEXT) | instid1(VALU_DEP_2)
	v_dual_fmac_f32 v12, v29, v7 :: v_dual_and_b32 v21, 0xffff0000, v21
	v_fmac_f32_e32 v10, v22, v7
	s_delay_alu instid0(VALU_DEP_2) | instskip(NEXT) | instid1(VALU_DEP_4)
	v_dual_fmac_f32 v13, v21, v7 :: v_dual_add_nc_u32 v0, 64, v0
	v_fmac_f32_e32 v11, v28, v7
	s_wait_alu 0xfffe
	s_and_not1_b32 exec_lo, exec_lo, s6
	s_cbranch_execnz .LBB109_29
; %bb.30:
	s_or_b32 exec_lo, exec_lo, s6
.LBB109_31:
	s_wait_alu 0xfffe
	s_or_b32 exec_lo, exec_lo, s2
	s_delay_alu instid0(SALU_CYCLE_1)
	s_mov_b32 s2, exec_lo
	v_cmpx_lt_u32_e32 0xbf, v5
	s_cbranch_execz .LBB109_35
; %bb.32:
	s_mov_b32 s6, 0
.LBB109_33:                             ; =>This Inner Loop Header: Depth=1
	v_ashrrev_i32_e32 v1, 31, v0
	s_delay_alu instid0(VALU_DEP_1) | instskip(NEXT) | instid1(VALU_DEP_1)
	v_lshlrev_b64_e32 v[5:6], 2, v[0:1]
	v_add_co_u32 v5, vcc_lo, s8, v5
	s_wait_alu 0xfffd
	s_delay_alu instid0(VALU_DEP_2)
	v_add_co_ci_u32_e64 v6, null, s9, v6, vcc_lo
	s_clause 0x3
	global_load_b32 v1, v[5:6], off
	global_load_b32 v39, v[5:6], off offset:256
	global_load_b32 v40, v[5:6], off offset:512
	;; [unrolled: 1-line block ×3, first 2 shown]
	s_clause 0x6
	global_load_b128 v[5:8], v[2:3], off
	global_load_b128 v[15:18], v[2:3], off offset:16
	global_load_b128 v[19:22], v[2:3], off offset:2048
	;; [unrolled: 1-line block ×6, first 2 shown]
	s_wait_loadcnt 0xa
	v_subrev_nc_u32_e32 v1, s16, v1
	s_wait_loadcnt 0x9
	v_subrev_nc_u32_e32 v42, s16, v39
	s_wait_loadcnt 0x8
	v_subrev_nc_u32_e32 v40, s16, v40
	s_wait_loadcnt 0x7
	v_subrev_nc_u32_e32 v44, s16, v41
	s_wait_loadcnt 0x5
	v_lshlrev_b32_e32 v56, 16, v17
	v_and_b32_e32 v17, 0xffff0000, v17
	s_wait_loadcnt 0x3
	v_lshlrev_b32_e32 v65, 16, v26
	v_lshlrev_b32_e32 v63, 16, v24
	v_lshlrev_b32_e32 v61, 16, v22
	v_and_b32_e32 v22, 0xffff0000, v22
	v_lshlrev_b32_e32 v59, 16, v20
	v_lshlrev_b32_e32 v55, 16, v16
	v_lshlrev_b32_e32 v51, 16, v6
	v_lshlrev_b32_e32 v39, 2, v1
	v_and_b32_e32 v20, 0xffff0000, v20
	v_lshlrev_b32_e32 v57, 16, v18
	;; [unrolled: 5-line block ×3, first 2 shown]
	v_and_b32_e32 v6, 0xffff0000, v6
	v_lshlrev_b32_e32 v43, 2, v40
	v_ashrrev_i32_e32 v40, 31, v39
	v_and_b32_e32 v8, 0xffff0000, v8
	v_lshlrev_b32_e32 v45, 2, v44
	v_ashrrev_i32_e32 v42, 31, v41
	v_ashrrev_i32_e32 v44, 31, v43
	v_lshlrev_b64_e32 v[39:40], 1, v[39:40]
	s_wait_loadcnt 0x1
	v_lshlrev_b32_e32 v72, 16, v33
	v_ashrrev_i32_e32 v46, 31, v45
	v_lshlrev_b64_e32 v[41:42], 1, v[41:42]
	v_lshlrev_b64_e32 v[43:44], 1, v[43:44]
	v_and_b32_e32 v33, 0xffff0000, v33
	s_wait_kmcnt 0x0
	v_add_co_u32 v39, vcc_lo, s4, v39
	v_lshlrev_b64_e32 v[45:46], 1, v[45:46]
	s_wait_alu 0xfffd
	v_add_co_ci_u32_e64 v40, null, s5, v40, vcc_lo
	v_add_co_u32 v41, vcc_lo, s4, v41
	s_wait_alu 0xfffd
	v_add_co_ci_u32_e64 v42, null, s5, v42, vcc_lo
	v_add_co_u32 v43, vcc_lo, s4, v43
	;; [unrolled: 3-line block ×3, first 2 shown]
	s_wait_alu 0xfffd
	v_add_co_ci_u32_e64 v46, null, s5, v46, vcc_lo
	s_clause 0x3
	global_load_b64 v[47:48], v[39:40], off
	global_load_b64 v[49:50], v[41:42], off
	;; [unrolled: 1-line block ×4, first 2 shown]
	global_load_b128 v[39:42], v[2:3], off offset:6160
	v_lshlrev_b32_e32 v60, 16, v21
	v_and_b32_e32 v21, 0xffff0000, v21
	v_lshlrev_b32_e32 v64, 16, v25
	v_and_b32_e32 v25, 0xffff0000, v25
	v_lshlrev_b32_e32 v68, 16, v29
	v_and_b32_e32 v29, 0xffff0000, v29
	s_wait_loadcnt 0x5
	v_lshlrev_b32_e32 v76, 16, v37
	v_and_b32_e32 v37, 0xffff0000, v37
	v_add_co_u32 v2, vcc_lo, 0x2000, v2
	s_wait_alu 0xfffd
	v_add_co_ci_u32_e64 v3, null, 0, v3, vcc_lo
	s_wait_loadcnt 0x4
	v_lshlrev_b32_e32 v82, 16, v47
	v_add_nc_u32_e32 v0, 0x100, v0
	v_and_b32_e32 v47, 0xffff0000, v47
	s_wait_loadcnt 0x0
	s_delay_alu instid0(VALU_DEP_3) | instskip(SKIP_3) | instid1(VALU_DEP_4)
	v_dual_fmac_f32 v11, v1, v82 :: v_dual_lshlrev_b32 v80, 16, v41
	v_fmac_f32_e32 v13, v5, v82
	v_dual_fmac_f32 v12, v51, v82 :: v_dual_lshlrev_b32 v1, 16, v48
	v_and_b32_e32 v5, 0xffff0000, v48
	v_dual_fmac_f32 v11, v52, v47 :: v_dual_fmac_f32 v10, v6, v82
	v_and_b32_e32 v16, 0xffff0000, v16
	v_and_b32_e32 v18, 0xffff0000, v18
	v_dual_fmac_f32 v12, v53, v47 :: v_dual_and_b32 v41, 0xffff0000, v41
	s_delay_alu instid0(VALU_DEP_4) | instskip(SKIP_2) | instid1(VALU_DEP_4)
	v_fmac_f32_e32 v10, v8, v47
	v_and_b32_e32 v7, 0xffff0000, v7
	v_cmp_ge_i32_e32 vcc_lo, v0, v14
	v_fmac_f32_e32 v12, v55, v1
	s_delay_alu instid0(VALU_DEP_3)
	v_dual_fmac_f32 v10, v16, v1 :: v_dual_fmac_f32 v13, v7, v47
	v_lshlrev_b32_e32 v54, 16, v15
	v_and_b32_e32 v15, 0xffff0000, v15
	s_wait_alu 0xfffe
	s_or_b32 s6, vcc_lo, s6
	v_fmac_f32_e32 v10, v18, v5
	s_delay_alu instid0(VALU_DEP_2) | instskip(SKIP_2) | instid1(VALU_DEP_3)
	v_fmac_f32_e32 v13, v15, v1
	v_dual_fmac_f32 v11, v54, v1 :: v_dual_lshlrev_b32 v58, 16, v19
	v_lshlrev_b32_e32 v1, 16, v49
	v_fmac_f32_e32 v13, v17, v5
	s_delay_alu instid0(VALU_DEP_3) | instskip(NEXT) | instid1(VALU_DEP_1)
	v_fmac_f32_e32 v11, v56, v5
	v_fmac_f32_e32 v11, v58, v1
	;; [unrolled: 1-line block ×4, first 2 shown]
	v_and_b32_e32 v5, 0xffff0000, v49
	s_delay_alu instid0(VALU_DEP_1) | instskip(NEXT) | instid1(VALU_DEP_4)
	v_dual_fmac_f32 v11, v60, v5 :: v_dual_lshlrev_b32 v62, 16, v23
	v_fmac_f32_e32 v10, v22, v5
	s_delay_alu instid0(VALU_DEP_4) | instskip(NEXT) | instid1(VALU_DEP_1)
	v_dual_fmac_f32 v12, v59, v1 :: v_dual_and_b32 v19, 0xffff0000, v19
	v_fmac_f32_e32 v12, v61, v5
	s_delay_alu instid0(VALU_DEP_2) | instskip(SKIP_1) | instid1(VALU_DEP_2)
	v_dual_fmac_f32 v13, v19, v1 :: v_dual_and_b32 v24, 0xffff0000, v24
	v_lshlrev_b32_e32 v1, 16, v50
	v_dual_fmac_f32 v13, v21, v5 :: v_dual_and_b32 v26, 0xffff0000, v26
	s_delay_alu instid0(VALU_DEP_2) | instskip(SKIP_2) | instid1(VALU_DEP_3)
	v_dual_fmac_f32 v10, v24, v1 :: v_dual_and_b32 v23, 0xffff0000, v23
	v_and_b32_e32 v5, 0xffff0000, v50
	v_dual_fmac_f32 v11, v62, v1 :: v_dual_lshlrev_b32 v66, 16, v27
	v_fmac_f32_e32 v13, v23, v1
	v_dual_fmac_f32 v12, v63, v1 :: v_dual_lshlrev_b32 v1, 16, v43
	s_delay_alu instid0(VALU_DEP_4) | instskip(NEXT) | instid1(VALU_DEP_4)
	v_dual_fmac_f32 v10, v26, v5 :: v_dual_lshlrev_b32 v67, 16, v28
	v_dual_fmac_f32 v11, v64, v5 :: v_dual_and_b32 v28, 0xffff0000, v28
	s_delay_alu instid0(VALU_DEP_4) | instskip(NEXT) | instid1(VALU_DEP_4)
	v_dual_fmac_f32 v13, v25, v5 :: v_dual_lshlrev_b32 v70, 16, v31
	v_dual_fmac_f32 v12, v65, v5 :: v_dual_and_b32 v5, 0xffff0000, v43
	s_delay_alu instid0(VALU_DEP_3) | instskip(SKIP_2) | instid1(VALU_DEP_4)
	v_dual_fmac_f32 v10, v28, v1 :: v_dual_and_b32 v27, 0xffff0000, v27
	v_lshlrev_b32_e32 v69, 16, v30
	v_dual_fmac_f32 v11, v66, v1 :: v_dual_and_b32 v30, 0xffff0000, v30
	v_fmac_f32_e32 v12, v67, v1
	s_delay_alu instid0(VALU_DEP_4) | instskip(NEXT) | instid1(VALU_DEP_3)
	v_dual_fmac_f32 v13, v27, v1 :: v_dual_lshlrev_b32 v74, 16, v35
	v_dual_fmac_f32 v10, v30, v5 :: v_dual_lshlrev_b32 v1, 16, v44
	v_lshlrev_b32_e32 v71, 16, v32
	v_dual_fmac_f32 v11, v68, v5 :: v_dual_and_b32 v32, 0xffff0000, v32
	v_dual_fmac_f32 v12, v69, v5 :: v_dual_and_b32 v31, 0xffff0000, v31
	v_fmac_f32_e32 v13, v29, v5
	s_delay_alu instid0(VALU_DEP_3) | instskip(SKIP_1) | instid1(VALU_DEP_3)
	v_dual_fmac_f32 v10, v32, v1 :: v_dual_lshlrev_b32 v73, 16, v34
	v_and_b32_e32 v34, 0xffff0000, v34
	v_dual_fmac_f32 v13, v31, v1 :: v_dual_lshlrev_b32 v78, 16, v39
	v_and_b32_e32 v5, 0xffff0000, v44
	v_lshlrev_b32_e32 v75, 16, v36
	v_dual_fmac_f32 v11, v70, v1 :: v_dual_and_b32 v36, 0xffff0000, v36
	v_dual_fmac_f32 v12, v71, v1 :: v_dual_and_b32 v35, 0xffff0000, v35
	v_lshlrev_b32_e32 v1, 16, v45
	v_fmac_f32_e32 v13, v33, v5
	s_delay_alu instid0(VALU_DEP_4) | instskip(NEXT) | instid1(VALU_DEP_4)
	v_fmac_f32_e32 v11, v72, v5
	v_fmac_f32_e32 v12, v73, v5
	v_dual_fmac_f32 v10, v34, v5 :: v_dual_lshlrev_b32 v77, 16, v38
	v_and_b32_e32 v38, 0xffff0000, v38
	v_and_b32_e32 v39, 0xffff0000, v39
	v_and_b32_e32 v5, 0xffff0000, v45
	v_fmac_f32_e32 v11, v74, v1
	v_fmac_f32_e32 v13, v35, v1
	v_dual_fmac_f32 v12, v75, v1 :: v_dual_lshlrev_b32 v79, 16, v40
	v_and_b32_e32 v40, 0xffff0000, v40
	v_dual_fmac_f32 v10, v36, v1 :: v_dual_lshlrev_b32 v81, 16, v42
	v_and_b32_e32 v42, 0xffff0000, v42
	v_lshlrev_b32_e32 v1, 16, v46
	v_fmac_f32_e32 v11, v76, v5
	v_fmac_f32_e32 v13, v37, v5
	;; [unrolled: 1-line block ×3, first 2 shown]
	v_dual_fmac_f32 v10, v38, v5 :: v_dual_and_b32 v5, 0xffff0000, v46
	s_delay_alu instid0(VALU_DEP_4) | instskip(NEXT) | instid1(VALU_DEP_4)
	v_fmac_f32_e32 v11, v78, v1
	v_fmac_f32_e32 v13, v39, v1
	s_delay_alu instid0(VALU_DEP_4) | instskip(NEXT) | instid1(VALU_DEP_4)
	v_fmac_f32_e32 v12, v79, v1
	v_fmac_f32_e32 v10, v40, v1
	s_delay_alu instid0(VALU_DEP_4) | instskip(NEXT) | instid1(VALU_DEP_4)
	v_fmac_f32_e32 v11, v80, v5
	v_fmac_f32_e32 v13, v41, v5
	s_delay_alu instid0(VALU_DEP_4) | instskip(NEXT) | instid1(VALU_DEP_4)
	v_fmac_f32_e32 v12, v81, v5
	v_fmac_f32_e32 v10, v42, v5
	s_wait_alu 0xfffe
	s_and_not1_b32 exec_lo, exec_lo, s6
	s_cbranch_execnz .LBB109_33
; %bb.34:
	s_or_b32 exec_lo, exec_lo, s6
.LBB109_35:
	s_wait_alu 0xfffe
	s_or_b32 exec_lo, exec_lo, s2
.LBB109_36:
	s_wait_alu 0xfffe
	s_or_b32 exec_lo, exec_lo, s3
.LBB109_37:
	v_mbcnt_lo_u32_b32 v0, -1, 0
	s_mov_b32 s2, -1
	s_delay_alu instid0(VALU_DEP_1) | instskip(SKIP_1) | instid1(VALU_DEP_2)
	v_or_b32_e32 v1, 32, v0
	v_xor_b32_e32 v6, 16, v0
	v_cmp_gt_i32_e32 vcc_lo, 32, v1
	s_wait_alu 0xfffd
	v_cndmask_b32_e32 v1, v0, v1, vcc_lo
	s_delay_alu instid0(VALU_DEP_3) | instskip(SKIP_2) | instid1(VALU_DEP_1)
	v_cmp_gt_i32_e32 vcc_lo, 32, v6
	s_wait_alu 0xfffd
	v_cndmask_b32_e32 v6, v0, v6, vcc_lo
	v_lshlrev_b32_e32 v6, 2, v6
	v_lshlrev_b32_e32 v1, 2, v1
	ds_bpermute_b32 v2, v1, v11
	s_wait_dscnt 0x0
	v_add_f32_e32 v2, v11, v2
	ds_bpermute_b32 v3, v1, v13
	ds_bpermute_b32 v5, v1, v12
	;; [unrolled: 1-line block ×3, first 2 shown]
	v_xor_b32_e32 v11, 8, v0
	ds_bpermute_b32 v7, v6, v2
	v_cmp_gt_i32_e32 vcc_lo, 32, v11
	s_wait_dscnt 0x3
	v_add_f32_e32 v3, v13, v3
	s_wait_dscnt 0x2
	v_add_f32_e32 v5, v12, v5
	;; [unrolled: 2-line block ×4, first 2 shown]
	ds_bpermute_b32 v8, v6, v3
	ds_bpermute_b32 v10, v6, v5
	;; [unrolled: 1-line block ×3, first 2 shown]
	s_wait_alu 0xfffd
	v_cndmask_b32_e32 v11, v0, v11, vcc_lo
	s_delay_alu instid0(VALU_DEP_1)
	v_lshlrev_b32_e32 v11, 2, v11
	s_wait_dscnt 0x1
	v_add_f32_e32 v5, v5, v10
	s_wait_dscnt 0x0
	v_add_f32_e32 v1, v1, v6
	ds_bpermute_b32 v6, v11, v2
	ds_bpermute_b32 v10, v11, v1
	s_wait_dscnt 0x1
	v_add_f32_e32 v2, v2, v6
	s_wait_dscnt 0x0
	v_add_f32_e32 v1, v1, v10
	v_add_f32_e32 v3, v3, v8
	ds_bpermute_b32 v8, v11, v5
	ds_bpermute_b32 v7, v11, v3
	v_xor_b32_e32 v11, 4, v0
	s_delay_alu instid0(VALU_DEP_1) | instskip(SKIP_2) | instid1(VALU_DEP_1)
	v_cmp_gt_i32_e32 vcc_lo, 32, v11
	s_wait_alu 0xfffd
	v_cndmask_b32_e32 v11, v0, v11, vcc_lo
	v_lshlrev_b32_e32 v11, 2, v11
	s_wait_dscnt 0x1
	v_add_f32_e32 v5, v5, v8
	ds_bpermute_b32 v6, v11, v2
	ds_bpermute_b32 v10, v11, v1
	;; [unrolled: 1-line block ×3, first 2 shown]
	s_wait_dscnt 0x2
	v_add_f32_e32 v2, v2, v6
	s_wait_dscnt 0x1
	v_dual_add_f32 v6, v1, v10 :: v_dual_add_f32 v3, v3, v7
	s_wait_dscnt 0x0
	v_add_f32_e32 v5, v5, v8
	ds_bpermute_b32 v7, v11, v3
	v_xor_b32_e32 v11, 2, v0
	s_delay_alu instid0(VALU_DEP_1) | instskip(SKIP_2) | instid1(VALU_DEP_1)
	v_cmp_gt_i32_e32 vcc_lo, 32, v11
	s_wait_alu 0xfffd
	v_cndmask_b32_e32 v11, v0, v11, vcc_lo
	v_lshlrev_b32_e32 v11, 2, v11
	s_wait_dscnt 0x0
	v_add_f32_e32 v3, v3, v7
	ds_bpermute_b32 v1, v11, v2
	ds_bpermute_b32 v8, v11, v5
	;; [unrolled: 1-line block ×4, first 2 shown]
	v_xor_b32_e32 v11, 1, v0
	s_delay_alu instid0(VALU_DEP_1) | instskip(SKIP_4) | instid1(VALU_DEP_2)
	v_cmp_gt_i32_e32 vcc_lo, 32, v11
	s_wait_alu 0xfffd
	v_cndmask_b32_e32 v0, v0, v11, vcc_lo
	v_cmp_eq_u32_e32 vcc_lo, 63, v9
	s_wait_dscnt 0x3
	v_dual_add_f32 v0, v2, v1 :: v_dual_lshlrev_b32 v11, 2, v0
	s_wait_dscnt 0x0
	v_dual_add_f32 v2, v5, v8 :: v_dual_add_f32 v1, v3, v7
	v_add_f32_e32 v3, v6, v10
	ds_bpermute_b32 v5, v11, v0
	ds_bpermute_b32 v7, v11, v2
	;; [unrolled: 1-line block ×4, first 2 shown]
	s_and_b32 exec_lo, exec_lo, vcc_lo
	s_cbranch_execz .LBB109_10
; %bb.38:
	s_load_b64 s[0:1], s[0:1], 0x50
	s_wait_dscnt 0x1
	v_dual_add_f32 v0, v0, v5 :: v_dual_add_f32 v1, v1, v6
	s_wait_dscnt 0x0
	v_dual_add_f32 v2, v2, v7 :: v_dual_add_f32 v3, v3, v8
	v_lshlrev_b32_e32 v4, 2, v4
	s_delay_alu instid0(VALU_DEP_3) | instskip(NEXT) | instid1(VALU_DEP_3)
	v_dual_mul_f32 v0, s14, v0 :: v_dual_mul_f32 v1, s14, v1
	v_dual_mul_f32 v2, s14, v2 :: v_dual_mul_f32 v3, s14, v3
	s_cmp_eq_f32 s12, 0
	s_cbranch_scc0 .LBB109_40
; %bb.39:
	v_ashrrev_i32_e32 v5, 31, v4
	s_mov_b32 s2, 0
	s_delay_alu instid0(VALU_DEP_1) | instskip(SKIP_1) | instid1(VALU_DEP_1)
	v_lshlrev_b64_e32 v[5:6], 2, v[4:5]
	s_wait_kmcnt 0x0
	v_add_co_u32 v5, vcc_lo, s0, v5
	s_wait_alu 0xfffd
	s_delay_alu instid0(VALU_DEP_2)
	v_add_co_ci_u32_e64 v6, null, s1, v6, vcc_lo
	global_store_b128 v[5:6], v[0:3], off
.LBB109_40:
	s_wait_alu 0xfffe
	s_and_not1_b32 vcc_lo, exec_lo, s2
	s_wait_alu 0xfffe
	s_cbranch_vccnz .LBB109_10
; %bb.41:
	v_ashrrev_i32_e32 v5, 31, v4
	s_delay_alu instid0(VALU_DEP_1) | instskip(SKIP_1) | instid1(VALU_DEP_1)
	v_lshlrev_b64_e32 v[4:5], 2, v[4:5]
	s_wait_kmcnt 0x0
	v_add_co_u32 v8, vcc_lo, s0, v4
	s_wait_alu 0xfffd
	s_delay_alu instid0(VALU_DEP_2)
	v_add_co_ci_u32_e64 v9, null, s1, v5, vcc_lo
	global_load_b128 v[4:7], v[8:9], off
	s_wait_loadcnt 0x0
	v_dual_fmac_f32 v0, s12, v4 :: v_dual_fmac_f32 v1, s12, v5
	v_dual_fmac_f32 v2, s12, v6 :: v_dual_fmac_f32 v3, s12, v7
	global_store_b128 v[8:9], v[0:3], off
	s_endpgm
	.section	.rodata,"a",@progbits
	.p2align	6, 0x0
	.amdhsa_kernel _ZN9rocsparseL18bsrxmvn_4x4_kernelILj128ELj64Efii18rocsparse_bfloat16S1_fEEvT3_20rocsparse_direction_NS_24const_host_device_scalarIT1_EES2_PKS2_PKT2_SB_S8_PKT4_PKT5_S6_PT6_21rocsparse_index_base_b
		.amdhsa_group_segment_fixed_size 0
		.amdhsa_private_segment_fixed_size 0
		.amdhsa_kernarg_size 96
		.amdhsa_user_sgpr_count 2
		.amdhsa_user_sgpr_dispatch_ptr 0
		.amdhsa_user_sgpr_queue_ptr 0
		.amdhsa_user_sgpr_kernarg_segment_ptr 1
		.amdhsa_user_sgpr_dispatch_id 0
		.amdhsa_user_sgpr_private_segment_size 0
		.amdhsa_wavefront_size32 1
		.amdhsa_uses_dynamic_stack 0
		.amdhsa_enable_private_segment 0
		.amdhsa_system_sgpr_workgroup_id_x 1
		.amdhsa_system_sgpr_workgroup_id_y 0
		.amdhsa_system_sgpr_workgroup_id_z 0
		.amdhsa_system_sgpr_workgroup_info 0
		.amdhsa_system_vgpr_workitem_id 0
		.amdhsa_next_free_vgpr 87
		.amdhsa_next_free_sgpr 18
		.amdhsa_reserve_vcc 1
		.amdhsa_float_round_mode_32 0
		.amdhsa_float_round_mode_16_64 0
		.amdhsa_float_denorm_mode_32 3
		.amdhsa_float_denorm_mode_16_64 3
		.amdhsa_fp16_overflow 0
		.amdhsa_workgroup_processor_mode 1
		.amdhsa_memory_ordered 1
		.amdhsa_forward_progress 1
		.amdhsa_inst_pref_size 41
		.amdhsa_round_robin_scheduling 0
		.amdhsa_exception_fp_ieee_invalid_op 0
		.amdhsa_exception_fp_denorm_src 0
		.amdhsa_exception_fp_ieee_div_zero 0
		.amdhsa_exception_fp_ieee_overflow 0
		.amdhsa_exception_fp_ieee_underflow 0
		.amdhsa_exception_fp_ieee_inexact 0
		.amdhsa_exception_int_div_zero 0
	.end_amdhsa_kernel
	.section	.text._ZN9rocsparseL18bsrxmvn_4x4_kernelILj128ELj64Efii18rocsparse_bfloat16S1_fEEvT3_20rocsparse_direction_NS_24const_host_device_scalarIT1_EES2_PKS2_PKT2_SB_S8_PKT4_PKT5_S6_PT6_21rocsparse_index_base_b,"axG",@progbits,_ZN9rocsparseL18bsrxmvn_4x4_kernelILj128ELj64Efii18rocsparse_bfloat16S1_fEEvT3_20rocsparse_direction_NS_24const_host_device_scalarIT1_EES2_PKS2_PKT2_SB_S8_PKT4_PKT5_S6_PT6_21rocsparse_index_base_b,comdat
.Lfunc_end109:
	.size	_ZN9rocsparseL18bsrxmvn_4x4_kernelILj128ELj64Efii18rocsparse_bfloat16S1_fEEvT3_20rocsparse_direction_NS_24const_host_device_scalarIT1_EES2_PKS2_PKT2_SB_S8_PKT4_PKT5_S6_PT6_21rocsparse_index_base_b, .Lfunc_end109-_ZN9rocsparseL18bsrxmvn_4x4_kernelILj128ELj64Efii18rocsparse_bfloat16S1_fEEvT3_20rocsparse_direction_NS_24const_host_device_scalarIT1_EES2_PKS2_PKT2_SB_S8_PKT4_PKT5_S6_PT6_21rocsparse_index_base_b
                                        ; -- End function
	.set _ZN9rocsparseL18bsrxmvn_4x4_kernelILj128ELj64Efii18rocsparse_bfloat16S1_fEEvT3_20rocsparse_direction_NS_24const_host_device_scalarIT1_EES2_PKS2_PKT2_SB_S8_PKT4_PKT5_S6_PT6_21rocsparse_index_base_b.num_vgpr, 87
	.set _ZN9rocsparseL18bsrxmvn_4x4_kernelILj128ELj64Efii18rocsparse_bfloat16S1_fEEvT3_20rocsparse_direction_NS_24const_host_device_scalarIT1_EES2_PKS2_PKT2_SB_S8_PKT4_PKT5_S6_PT6_21rocsparse_index_base_b.num_agpr, 0
	.set _ZN9rocsparseL18bsrxmvn_4x4_kernelILj128ELj64Efii18rocsparse_bfloat16S1_fEEvT3_20rocsparse_direction_NS_24const_host_device_scalarIT1_EES2_PKS2_PKT2_SB_S8_PKT4_PKT5_S6_PT6_21rocsparse_index_base_b.numbered_sgpr, 18
	.set _ZN9rocsparseL18bsrxmvn_4x4_kernelILj128ELj64Efii18rocsparse_bfloat16S1_fEEvT3_20rocsparse_direction_NS_24const_host_device_scalarIT1_EES2_PKS2_PKT2_SB_S8_PKT4_PKT5_S6_PT6_21rocsparse_index_base_b.num_named_barrier, 0
	.set _ZN9rocsparseL18bsrxmvn_4x4_kernelILj128ELj64Efii18rocsparse_bfloat16S1_fEEvT3_20rocsparse_direction_NS_24const_host_device_scalarIT1_EES2_PKS2_PKT2_SB_S8_PKT4_PKT5_S6_PT6_21rocsparse_index_base_b.private_seg_size, 0
	.set _ZN9rocsparseL18bsrxmvn_4x4_kernelILj128ELj64Efii18rocsparse_bfloat16S1_fEEvT3_20rocsparse_direction_NS_24const_host_device_scalarIT1_EES2_PKS2_PKT2_SB_S8_PKT4_PKT5_S6_PT6_21rocsparse_index_base_b.uses_vcc, 1
	.set _ZN9rocsparseL18bsrxmvn_4x4_kernelILj128ELj64Efii18rocsparse_bfloat16S1_fEEvT3_20rocsparse_direction_NS_24const_host_device_scalarIT1_EES2_PKS2_PKT2_SB_S8_PKT4_PKT5_S6_PT6_21rocsparse_index_base_b.uses_flat_scratch, 0
	.set _ZN9rocsparseL18bsrxmvn_4x4_kernelILj128ELj64Efii18rocsparse_bfloat16S1_fEEvT3_20rocsparse_direction_NS_24const_host_device_scalarIT1_EES2_PKS2_PKT2_SB_S8_PKT4_PKT5_S6_PT6_21rocsparse_index_base_b.has_dyn_sized_stack, 0
	.set _ZN9rocsparseL18bsrxmvn_4x4_kernelILj128ELj64Efii18rocsparse_bfloat16S1_fEEvT3_20rocsparse_direction_NS_24const_host_device_scalarIT1_EES2_PKS2_PKT2_SB_S8_PKT4_PKT5_S6_PT6_21rocsparse_index_base_b.has_recursion, 0
	.set _ZN9rocsparseL18bsrxmvn_4x4_kernelILj128ELj64Efii18rocsparse_bfloat16S1_fEEvT3_20rocsparse_direction_NS_24const_host_device_scalarIT1_EES2_PKS2_PKT2_SB_S8_PKT4_PKT5_S6_PT6_21rocsparse_index_base_b.has_indirect_call, 0
	.section	.AMDGPU.csdata,"",@progbits
; Kernel info:
; codeLenInByte = 5140
; TotalNumSgprs: 20
; NumVgprs: 87
; ScratchSize: 0
; MemoryBound: 0
; FloatMode: 240
; IeeeMode: 1
; LDSByteSize: 0 bytes/workgroup (compile time only)
; SGPRBlocks: 0
; VGPRBlocks: 10
; NumSGPRsForWavesPerEU: 20
; NumVGPRsForWavesPerEU: 87
; Occupancy: 16
; WaveLimiterHint : 1
; COMPUTE_PGM_RSRC2:SCRATCH_EN: 0
; COMPUTE_PGM_RSRC2:USER_SGPR: 2
; COMPUTE_PGM_RSRC2:TRAP_HANDLER: 0
; COMPUTE_PGM_RSRC2:TGID_X_EN: 1
; COMPUTE_PGM_RSRC2:TGID_Y_EN: 0
; COMPUTE_PGM_RSRC2:TGID_Z_EN: 0
; COMPUTE_PGM_RSRC2:TIDIG_COMP_CNT: 0
	.section	.text._ZN9rocsparseL18bsrxmvn_4x4_kernelILj128ELj4Efli18rocsparse_bfloat16S1_fEEvT3_20rocsparse_direction_NS_24const_host_device_scalarIT1_EES2_PKS2_PKT2_SB_S8_PKT4_PKT5_S6_PT6_21rocsparse_index_base_b,"axG",@progbits,_ZN9rocsparseL18bsrxmvn_4x4_kernelILj128ELj4Efli18rocsparse_bfloat16S1_fEEvT3_20rocsparse_direction_NS_24const_host_device_scalarIT1_EES2_PKS2_PKT2_SB_S8_PKT4_PKT5_S6_PT6_21rocsparse_index_base_b,comdat
	.globl	_ZN9rocsparseL18bsrxmvn_4x4_kernelILj128ELj4Efli18rocsparse_bfloat16S1_fEEvT3_20rocsparse_direction_NS_24const_host_device_scalarIT1_EES2_PKS2_PKT2_SB_S8_PKT4_PKT5_S6_PT6_21rocsparse_index_base_b ; -- Begin function _ZN9rocsparseL18bsrxmvn_4x4_kernelILj128ELj4Efli18rocsparse_bfloat16S1_fEEvT3_20rocsparse_direction_NS_24const_host_device_scalarIT1_EES2_PKS2_PKT2_SB_S8_PKT4_PKT5_S6_PT6_21rocsparse_index_base_b
	.p2align	8
	.type	_ZN9rocsparseL18bsrxmvn_4x4_kernelILj128ELj4Efli18rocsparse_bfloat16S1_fEEvT3_20rocsparse_direction_NS_24const_host_device_scalarIT1_EES2_PKS2_PKT2_SB_S8_PKT4_PKT5_S6_PT6_21rocsparse_index_base_b,@function
_ZN9rocsparseL18bsrxmvn_4x4_kernelILj128ELj4Efli18rocsparse_bfloat16S1_fEEvT3_20rocsparse_direction_NS_24const_host_device_scalarIT1_EES2_PKS2_PKT2_SB_S8_PKT4_PKT5_S6_PT6_21rocsparse_index_base_b: ; @_ZN9rocsparseL18bsrxmvn_4x4_kernelILj128ELj4Efli18rocsparse_bfloat16S1_fEEvT3_20rocsparse_direction_NS_24const_host_device_scalarIT1_EES2_PKS2_PKT2_SB_S8_PKT4_PKT5_S6_PT6_21rocsparse_index_base_b
; %bb.0:
	s_clause 0x2
	s_load_b64 s[16:17], s[0:1], 0x58
	s_load_b64 s[14:15], s[0:1], 0x8
	;; [unrolled: 1-line block ×3, first 2 shown]
	s_wait_kmcnt 0x0
	s_bitcmp1_b32 s17, 0
	s_cselect_b32 s2, -1, 0
	s_delay_alu instid0(SALU_CYCLE_1)
	s_and_b32 vcc_lo, exec_lo, s2
	s_xor_b32 s2, s2, -1
	s_cbranch_vccnz .LBB110_2
; %bb.1:
	s_load_b32 s14, s[14:15], 0x0
.LBB110_2:
	s_and_not1_b32 vcc_lo, exec_lo, s2
	s_cbranch_vccnz .LBB110_4
; %bb.3:
	s_load_b32 s12, s[12:13], 0x0
.LBB110_4:
	s_wait_kmcnt 0x0
	s_cmp_neq_f32 s14, 0
	s_mov_b32 s6, 0
	s_cselect_b32 s2, -1, 0
	s_cmp_neq_f32 s12, 1.0
	s_cselect_b32 s3, -1, 0
	s_delay_alu instid0(SALU_CYCLE_1) | instskip(NEXT) | instid1(SALU_CYCLE_1)
	s_or_b32 s2, s2, s3
	s_and_not1_b32 vcc_lo, exec_lo, s2
	s_cbranch_vccnz .LBB110_10
; %bb.5:
	s_clause 0x1
	s_load_b64 s[4:5], s[0:1], 0x18
	s_load_b64 s[2:3], s[0:1], 0x0
	v_lshrrev_b32_e32 v1, 2, v0
	s_delay_alu instid0(VALU_DEP_1)
	v_lshl_or_b32 v4, ttmp9, 5, v1
	s_wait_kmcnt 0x0
	s_cmp_lg_u64 s[4:5], 0
	s_cbranch_scc0 .LBB110_11
; %bb.6:
	s_load_b32 s6, s[0:1], 0x10
	s_mov_b32 s7, 0
                                        ; implicit-def: $vgpr1
	s_wait_kmcnt 0x0
	v_cmp_gt_i32_e32 vcc_lo, s6, v4
	s_mov_b32 s6, 0
	s_and_saveexec_b32 s8, vcc_lo
	s_delay_alu instid0(SALU_CYCLE_1)
	s_xor_b32 s8, exec_lo, s8
	s_cbranch_execz .LBB110_8
; %bb.7:
	v_ashrrev_i32_e32 v5, 31, v4
	s_mov_b32 s6, exec_lo
	s_delay_alu instid0(VALU_DEP_1) | instskip(NEXT) | instid1(VALU_DEP_1)
	v_lshlrev_b64_e32 v[1:2], 2, v[4:5]
	v_add_co_u32 v1, vcc_lo, s4, v1
	s_delay_alu instid0(VALU_DEP_1)
	v_add_co_ci_u32_e64 v2, null, s5, v2, vcc_lo
	global_load_b32 v1, v[1:2], off
	s_wait_loadcnt 0x0
	v_subrev_nc_u32_e32 v1, s16, v1
.LBB110_8:
	s_or_b32 exec_lo, exec_lo, s8
	s_delay_alu instid0(SALU_CYCLE_1)
	s_and_b32 vcc_lo, exec_lo, s7
	s_wait_alu 0xfffe
	s_cbranch_vccz .LBB110_12
.LBB110_9:
	v_cmp_gt_i32_e32 vcc_lo, s2, v4
	s_and_not1_b32 s2, s6, exec_lo
	s_and_b32 s4, vcc_lo, exec_lo
	s_wait_alu 0xfffe
	s_or_b32 s6, s2, s4
	s_wait_alu 0xfffe
	s_and_saveexec_b32 s2, s6
	s_cbranch_execnz .LBB110_13
.LBB110_10:
	s_endpgm
.LBB110_11:
                                        ; implicit-def: $vgpr1
	s_cbranch_execnz .LBB110_9
.LBB110_12:
	v_mov_b32_e32 v4, v1
	s_and_saveexec_b32 s2, s6
	s_cbranch_execz .LBB110_10
.LBB110_13:
	s_load_b256 s[4:11], s[0:1], 0x20
	s_delay_alu instid0(VALU_DEP_1) | instskip(SKIP_1) | instid1(VALU_DEP_2)
	v_ashrrev_i32_e32 v5, 31, v4
	v_dual_mov_b32 v22, 0 :: v_dual_and_b32 v21, 3, v0
	v_lshlrev_b64_e32 v[1:2], 3, v[4:5]
	s_wait_kmcnt 0x0
	s_delay_alu instid0(VALU_DEP_1) | instskip(SKIP_1) | instid1(VALU_DEP_2)
	v_add_co_u32 v5, vcc_lo, s4, v1
	s_wait_alu 0xfffd
	v_add_co_ci_u32_e64 v6, null, s5, v2, vcc_lo
	v_add_co_u32 v1, vcc_lo, s6, v1
	s_wait_alu 0xfffd
	v_add_co_ci_u32_e64 v2, null, s7, v2, vcc_lo
	v_add_co_u32 v3, vcc_lo, v5, 8
	global_load_b64 v[9:10], v[5:6], off
	s_wait_alu 0xfffd
	v_add_co_ci_u32_e64 v7, null, 0, v6, vcc_lo
	s_cmp_eq_u64 s[6:7], 0
	s_load_b64 s[4:5], s[0:1], 0x40
	s_cselect_b32 vcc_lo, -1, 0
	s_cmp_eq_u32 s3, 1
	s_wait_alu 0xfffe
	v_cndmask_b32_e32 v2, v2, v7, vcc_lo
	v_cndmask_b32_e32 v1, v1, v3, vcc_lo
	global_load_b64 v[2:3], v[1:2], off
	s_wait_loadcnt 0x1
	v_sub_co_u32 v0, vcc_lo, v9, s16
	s_wait_alu 0xfffd
	v_subrev_co_ci_u32_e64 v1, null, 0, v10, vcc_lo
	s_delay_alu instid0(VALU_DEP_2) | instskip(SKIP_1) | instid1(VALU_DEP_2)
	v_add_co_u32 v0, vcc_lo, v0, v21
	s_wait_alu 0xfffd
	v_add_co_ci_u32_e64 v1, null, 0, v1, vcc_lo
	s_delay_alu instid0(VALU_DEP_1) | instskip(SKIP_4) | instid1(VALU_DEP_3)
	v_lshlrev_b64_e32 v[5:6], 5, v[0:1]
	s_wait_loadcnt 0x0
	v_sub_co_u32 v2, vcc_lo, v2, s16
	s_wait_alu 0xfffd
	v_subrev_co_ci_u32_e64 v3, null, 0, v3, vcc_lo
	v_add_co_u32 v5, vcc_lo, s10, v5
	s_delay_alu instid0(VALU_DEP_2)
	v_cmp_lt_i64_e64 s2, v[0:1], v[2:3]
	s_wait_alu 0xfffd
	v_add_co_ci_u32_e64 v6, null, s11, v6, vcc_lo
	s_cbranch_scc1 .LBB110_25
; %bb.14:
	v_dual_mov_b32 v23, 0 :: v_dual_mov_b32 v24, 0
	v_mov_b32_e32 v8, 0
	s_and_saveexec_b32 s3, s2
	s_cbranch_execz .LBB110_24
; %bb.15:
	v_or_b32_e32 v7, 4, v21
	v_not_b32_e32 v12, v9
	v_not_b32_e32 v11, v10
	s_delay_alu instid0(VALU_DEP_3) | instskip(SKIP_3) | instid1(VALU_DEP_3)
	v_sub_co_u32 v7, s6, v7, s16
	s_wait_alu 0xf1ff
	v_sub_co_ci_u32_e64 v8, null, 0, 0, s6
	v_sub_co_u32 v13, s6, s16, v21
	v_add_co_u32 v7, vcc_lo, v7, v9
	s_wait_alu 0xfffd
	s_delay_alu instid0(VALU_DEP_3)
	v_add_co_ci_u32_e64 v8, null, v8, v10, vcc_lo
	s_wait_alu 0xf1ff
	v_sub_co_ci_u32_e64 v14, null, 0, 0, s6
	s_mov_b32 s6, exec_lo
	v_cmp_gt_i64_e32 vcc_lo, v[7:8], v[2:3]
	s_wait_alu 0xfffd
	v_dual_cndmask_b32 v16, v3, v8 :: v_dual_cndmask_b32 v7, v2, v7
	v_add_co_u32 v8, vcc_lo, v13, v12
	s_wait_alu 0xfffd
	v_add_co_ci_u32_e64 v11, null, v14, v11, vcc_lo
	v_mov_b32_e32 v14, v6
	s_delay_alu instid0(VALU_DEP_3) | instskip(SKIP_4) | instid1(VALU_DEP_3)
	v_add_co_u32 v15, vcc_lo, v8, v7
	v_mov_b32_e32 v8, 0
	s_wait_alu 0xfffd
	v_add_co_ci_u32_e64 v16, null, v11, v16, vcc_lo
	v_dual_mov_b32 v12, v1 :: v_dual_mov_b32 v13, v5
	v_dual_mov_b32 v24, v8 :: v_dual_and_b32 v7, 12, v15
	v_dual_mov_b32 v23, v8 :: v_dual_mov_b32 v22, v8
	v_mov_b32_e32 v11, v0
	s_delay_alu instid0(VALU_DEP_3)
	v_cmpx_ne_u64_e32 12, v[7:8]
	s_cbranch_execz .LBB110_19
; %bb.16:
	v_lshrrev_b32_e32 v7, 2, v15
	v_mov_b32_e32 v22, 0
	v_dual_mov_b32 v14, v6 :: v_dual_mov_b32 v13, v5
	v_dual_mov_b32 v12, v1 :: v_dual_mov_b32 v11, v0
	s_delay_alu instid0(VALU_DEP_4) | instskip(SKIP_2) | instid1(VALU_DEP_3)
	v_add_nc_u32_e32 v17, 1, v7
	v_lshlrev_b64_e32 v[7:8], 2, v[0:1]
	v_dual_mov_b32 v23, 0 :: v_dual_mov_b32 v24, 0
	v_and_b32_e32 v19, 3, v17
	s_delay_alu instid0(VALU_DEP_3) | instskip(SKIP_1) | instid1(VALU_DEP_4)
	v_add_co_u32 v17, vcc_lo, s8, v7
	s_wait_alu 0xfffd
	v_add_co_ci_u32_e64 v18, null, s9, v8, vcc_lo
	v_mov_b32_e32 v8, 0
	v_sub_co_u32 v19, s7, 0, v19
	s_wait_alu 0xf1ff
	v_sub_co_ci_u32_e64 v20, null, 0, 0, s7
	s_mov_b32 s7, 0
.LBB110_17:                             ; =>This Inner Loop Header: Depth=1
	global_load_b32 v7, v[17:18], off
	global_load_b128 v[25:28], v[13:14], off
	s_wait_loadcnt 0x1
	v_subrev_nc_u32_e32 v7, s16, v7
	s_delay_alu instid0(VALU_DEP_1) | instskip(NEXT) | instid1(VALU_DEP_1)
	v_lshlrev_b32_e32 v29, 2, v7
	v_ashrrev_i32_e32 v30, 31, v29
	s_delay_alu instid0(VALU_DEP_1) | instskip(SKIP_1) | instid1(VALU_DEP_1)
	v_lshlrev_b64_e32 v[29:30], 1, v[29:30]
	s_wait_kmcnt 0x0
	v_add_co_u32 v33, vcc_lo, s4, v29
	s_wait_alu 0xfffd
	s_delay_alu instid0(VALU_DEP_2)
	v_add_co_ci_u32_e64 v34, null, s5, v30, vcc_lo
	global_load_b128 v[29:32], v[13:14], off offset:16
	global_load_b64 v[33:34], v[33:34], off
	v_add_co_u32 v13, vcc_lo, 0x80, v13
	s_wait_alu 0xfffd
	v_add_co_ci_u32_e64 v14, null, 0, v14, vcc_lo
	v_add_co_u32 v11, vcc_lo, v11, 4
	s_wait_alu 0xfffd
	v_add_co_ci_u32_e64 v12, null, 0, v12, vcc_lo
	;; [unrolled: 3-line block ×4, first 2 shown]
	s_delay_alu instid0(VALU_DEP_1)
	v_cmp_eq_u64_e32 vcc_lo, 0, v[19:20]
	s_wait_alu 0xfffe
	s_or_b32 s7, vcc_lo, s7
	s_wait_loadcnt 0x1
	v_lshlrev_b32_e32 v38, 16, v29
	s_wait_loadcnt 0x0
	v_lshlrev_b32_e32 v42, 16, v33
	v_lshlrev_b32_e32 v36, 16, v27
	s_delay_alu instid0(VALU_DEP_2) | instskip(NEXT) | instid1(VALU_DEP_2)
	v_dual_fmac_f32 v23, v38, v42 :: v_dual_lshlrev_b32 v40, 16, v31
	v_dual_fmac_f32 v24, v36, v42 :: v_dual_lshlrev_b32 v7, 16, v25
	s_delay_alu instid0(VALU_DEP_2) | instskip(NEXT) | instid1(VALU_DEP_2)
	v_dual_fmac_f32 v22, v40, v42 :: v_dual_and_b32 v25, 0xffff0000, v25
	v_fmac_f32_e32 v8, v7, v42
	v_lshlrev_b32_e32 v7, 16, v34
	v_and_b32_e32 v33, 0xffff0000, v33
	s_delay_alu instid0(VALU_DEP_1) | instskip(SKIP_1) | instid1(VALU_DEP_2)
	v_dual_fmac_f32 v8, v25, v33 :: v_dual_lshlrev_b32 v35, 16, v26
	v_and_b32_e32 v29, 0xffff0000, v29
	v_dual_fmac_f32 v8, v35, v7 :: v_dual_and_b32 v25, 0xffff0000, v34
	s_delay_alu instid0(VALU_DEP_2) | instskip(NEXT) | instid1(VALU_DEP_1)
	v_dual_fmac_f32 v23, v29, v33 :: v_dual_and_b32 v26, 0xffff0000, v26
	v_dual_fmac_f32 v8, v26, v25 :: v_dual_and_b32 v31, 0xffff0000, v31
	s_delay_alu instid0(VALU_DEP_1) | instskip(NEXT) | instid1(VALU_DEP_1)
	v_dual_fmac_f32 v22, v31, v33 :: v_dual_and_b32 v27, 0xffff0000, v27
	v_dual_fmac_f32 v24, v27, v33 :: v_dual_lshlrev_b32 v37, 16, v28
	v_lshlrev_b32_e32 v39, 16, v30
	v_and_b32_e32 v30, 0xffff0000, v30
	s_delay_alu instid0(VALU_DEP_3) | instskip(NEXT) | instid1(VALU_DEP_3)
	v_fmac_f32_e32 v24, v37, v7
	v_dual_fmac_f32 v23, v39, v7 :: v_dual_and_b32 v28, 0xffff0000, v28
	v_lshlrev_b32_e32 v41, 16, v32
	v_and_b32_e32 v32, 0xffff0000, v32
	s_delay_alu instid0(VALU_DEP_3) | instskip(NEXT) | instid1(VALU_DEP_3)
	v_fmac_f32_e32 v24, v28, v25
	v_dual_fmac_f32 v23, v30, v25 :: v_dual_fmac_f32 v22, v41, v7
	s_delay_alu instid0(VALU_DEP_1)
	v_fmac_f32_e32 v22, v32, v25
	s_wait_alu 0xfffe
	s_and_not1_b32 exec_lo, exec_lo, s7
	s_cbranch_execnz .LBB110_17
; %bb.18:
	s_or_b32 exec_lo, exec_lo, s7
.LBB110_19:
	s_wait_alu 0xfffe
	s_or_b32 exec_lo, exec_lo, s6
	s_delay_alu instid0(SALU_CYCLE_1)
	s_mov_b32 s6, exec_lo
	v_cmpx_lt_u64_e32 11, v[15:16]
	s_cbranch_execz .LBB110_23
; %bb.20:
	v_lshlrev_b64_e32 v[15:16], 2, v[11:12]
	s_mov_b32 s7, 0
	s_delay_alu instid0(VALU_DEP_1) | instskip(SKIP_1) | instid1(VALU_DEP_2)
	v_add_co_u32 v7, vcc_lo, s8, v15
	s_wait_alu 0xfffd
	v_add_co_ci_u32_e64 v16, null, s9, v16, vcc_lo
	s_delay_alu instid0(VALU_DEP_2) | instskip(SKIP_1) | instid1(VALU_DEP_2)
	v_add_co_u32 v15, vcc_lo, v7, 32
	s_wait_alu 0xfffd
	v_add_co_ci_u32_e64 v16, null, 0, v16, vcc_lo
.LBB110_21:                             ; =>This Inner Loop Header: Depth=1
	s_clause 0x3
	global_load_b32 v7, v[15:16], off offset:-32
	global_load_b32 v53, v[15:16], off offset:-16
	global_load_b32 v54, v[15:16], off
	global_load_b32 v55, v[15:16], off offset:16
	s_clause 0x7
	global_load_b128 v[17:20], v[13:14], off
	global_load_b128 v[25:28], v[13:14], off offset:16
	global_load_b128 v[29:32], v[13:14], off offset:128
	;; [unrolled: 1-line block ×7, first 2 shown]
	s_wait_loadcnt 0xb
	v_subrev_nc_u32_e32 v7, s16, v7
	s_wait_loadcnt 0xa
	v_subrev_nc_u32_e32 v56, s16, v53
	;; [unrolled: 2-line block ×4, first 2 shown]
	v_lshlrev_b32_e32 v53, 2, v7
	s_wait_loadcnt 0x7
	v_lshlrev_b32_e32 v7, 16, v17
	s_wait_loadcnt 0x6
	v_lshlrev_b32_e32 v66, 16, v27
	v_and_b32_e32 v27, 0xffff0000, v27
	v_lshlrev_b32_e32 v59, 2, v58
	s_wait_loadcnt 0x1
	v_lshlrev_b32_e32 v84, 16, v45
	s_wait_loadcnt 0x0
	v_lshlrev_b32_e32 v88, 16, v49
	v_lshlrev_b32_e32 v72, 16, v33
	;; [unrolled: 1-line block ×3, first 2 shown]
	v_and_b32_e32 v25, 0xffff0000, v25
	v_lshlrev_b32_e32 v62, 16, v19
	v_lshlrev_b32_e32 v57, 2, v54
	v_ashrrev_i32_e32 v54, 31, v53
	v_and_b32_e32 v19, 0xffff0000, v19
	v_lshlrev_b32_e32 v61, 16, v18
	v_and_b32_e32 v17, 0xffff0000, v17
	v_lshlrev_b32_e32 v55, 2, v56
	v_lshlrev_b64_e32 v[53:54], 1, v[53:54]
	v_ashrrev_i32_e32 v58, 31, v57
	v_ashrrev_i32_e32 v60, 31, v59
	v_lshlrev_b32_e32 v86, 16, v47
	v_ashrrev_i32_e32 v56, 31, v55
	v_lshlrev_b32_e32 v76, 16, v37
	s_wait_kmcnt 0x0
	v_add_co_u32 v53, vcc_lo, s4, v53
	s_wait_alu 0xfffd
	v_add_co_ci_u32_e64 v54, null, s5, v54, vcc_lo
	v_lshlrev_b64_e32 v[55:56], 1, v[55:56]
	v_lshlrev_b64_e32 v[57:58], 1, v[57:58]
	;; [unrolled: 1-line block ×3, first 2 shown]
	global_load_b64 v[53:54], v[53:54], off
	v_lshlrev_b32_e32 v80, 16, v41
	v_and_b32_e32 v41, 0xffff0000, v41
	v_add_co_u32 v55, vcc_lo, s4, v55
	s_wait_alu 0xfffd
	v_add_co_ci_u32_e64 v56, null, s5, v56, vcc_lo
	v_add_co_u32 v57, vcc_lo, s4, v57
	s_wait_alu 0xfffd
	v_add_co_ci_u32_e64 v58, null, s5, v58, vcc_lo
	global_load_b64 v[55:56], v[55:56], off
	v_add_co_u32 v59, vcc_lo, s4, v59
	global_load_b64 v[57:58], v[57:58], off
	s_wait_alu 0xfffd
	v_add_co_ci_u32_e64 v60, null, s5, v60, vcc_lo
	v_lshlrev_b32_e32 v70, 16, v31
	v_lshlrev_b32_e32 v68, 16, v29
	v_and_b32_e32 v49, 0xffff0000, v49
	global_load_b64 v[59:60], v[59:60], off
	v_lshlrev_b32_e32 v74, 16, v35
	v_lshlrev_b32_e32 v78, 16, v39
	;; [unrolled: 1-line block ×5, first 2 shown]
	v_and_b32_e32 v50, 0xffff0000, v50
	v_add_co_u32 v13, vcc_lo, 0x200, v13
	s_wait_alu 0xfffd
	v_add_co_ci_u32_e64 v14, null, 0, v14, vcc_lo
	v_add_co_u32 v11, vcc_lo, v11, 16
	s_wait_alu 0xfffd
	v_add_co_ci_u32_e64 v12, null, 0, v12, vcc_lo
	;; [unrolled: 3-line block ×3, first 2 shown]
	s_delay_alu instid0(VALU_DEP_3)
	v_cmp_ge_i64_e32 vcc_lo, v[11:12], v[2:3]
	s_wait_alu 0xfffe
	s_or_b32 s7, vcc_lo, s7
	s_wait_loadcnt 0x3
	v_lshlrev_b32_e32 v92, 16, v53
	v_and_b32_e32 v18, 0xffff0000, v18
	s_delay_alu instid0(VALU_DEP_2) | instskip(SKIP_2) | instid1(VALU_DEP_3)
	v_dual_fmac_f32 v8, v7, v92 :: v_dual_and_b32 v53, 0xffff0000, v53
	v_fmac_f32_e32 v23, v64, v92
	v_dual_fmac_f32 v22, v66, v92 :: v_dual_lshlrev_b32 v7, 16, v54
	v_fmac_f32_e32 v8, v17, v53
	s_delay_alu instid0(VALU_DEP_3) | instskip(NEXT) | instid1(VALU_DEP_3)
	v_dual_fmac_f32 v23, v25, v53 :: v_dual_fmac_f32 v24, v62, v92
	v_dual_fmac_f32 v22, v27, v53 :: v_dual_and_b32 v17, 0xffff0000, v54
	v_lshlrev_b32_e32 v67, 16, v28
	s_delay_alu instid0(VALU_DEP_3) | instskip(SKIP_1) | instid1(VALU_DEP_3)
	v_dual_fmac_f32 v24, v19, v53 :: v_dual_lshlrev_b32 v63, 16, v20
	v_dual_fmac_f32 v8, v61, v7 :: v_dual_lshlrev_b32 v65, 16, v26
	v_fmac_f32_e32 v22, v67, v7
	s_delay_alu instid0(VALU_DEP_3) | instskip(NEXT) | instid1(VALU_DEP_3)
	v_fmac_f32_e32 v24, v63, v7
	v_fmac_f32_e32 v8, v18, v17
	s_delay_alu instid0(VALU_DEP_4) | instskip(SKIP_3) | instid1(VALU_DEP_3)
	v_dual_fmac_f32 v23, v65, v7 :: v_dual_and_b32 v20, 0xffff0000, v20
	s_wait_loadcnt 0x2
	v_lshlrev_b32_e32 v7, 16, v55
	v_and_b32_e32 v29, 0xffff0000, v29
	v_dual_fmac_f32 v24, v20, v17 :: v_dual_lshlrev_b32 v69, 16, v30
	s_delay_alu instid0(VALU_DEP_3) | instskip(NEXT) | instid1(VALU_DEP_2)
	v_fmac_f32_e32 v8, v68, v7
	v_dual_fmac_f32 v24, v70, v7 :: v_dual_and_b32 v33, 0xffff0000, v33
	v_and_b32_e32 v26, 0xffff0000, v26
	v_lshlrev_b32_e32 v73, 16, v34
	s_delay_alu instid0(VALU_DEP_2) | instskip(NEXT) | instid1(VALU_DEP_1)
	v_dual_fmac_f32 v23, v26, v17 :: v_dual_and_b32 v28, 0xffff0000, v28
	v_dual_fmac_f32 v22, v28, v17 :: v_dual_and_b32 v17, 0xffff0000, v55
	v_and_b32_e32 v31, 0xffff0000, v31
	v_lshlrev_b32_e32 v71, 16, v32
	s_delay_alu instid0(VALU_DEP_4) | instskip(NEXT) | instid1(VALU_DEP_4)
	v_fmac_f32_e32 v23, v72, v7
	v_dual_fmac_f32 v22, v74, v7 :: v_dual_lshlrev_b32 v7, 16, v56
	v_fmac_f32_e32 v8, v29, v17
	v_fmac_f32_e32 v24, v31, v17
	s_delay_alu instid0(VALU_DEP_2) | instskip(SKIP_4) | instid1(VALU_DEP_4)
	v_dual_fmac_f32 v8, v69, v7 :: v_dual_and_b32 v37, 0xffff0000, v37
	v_and_b32_e32 v35, 0xffff0000, v35
	v_lshlrev_b32_e32 v75, 16, v36
	v_dual_fmac_f32 v23, v33, v17 :: v_dual_and_b32 v36, 0xffff0000, v36
	v_fmac_f32_e32 v24, v71, v7
	v_dual_fmac_f32 v22, v35, v17 :: v_dual_lshlrev_b32 v77, 16, v38
	v_and_b32_e32 v17, 0xffff0000, v56
	s_delay_alu instid0(VALU_DEP_4) | instskip(SKIP_1) | instid1(VALU_DEP_3)
	v_dual_fmac_f32 v23, v73, v7 :: v_dual_and_b32 v38, 0xffff0000, v38
	s_wait_loadcnt 0x1
	v_dual_fmac_f32 v22, v75, v7 :: v_dual_lshlrev_b32 v7, 16, v57
	v_lshlrev_b32_e32 v81, 16, v42
	v_and_b32_e32 v32, 0xffff0000, v32
	v_and_b32_e32 v42, 0xffff0000, v42
	;; [unrolled: 1-line block ×4, first 2 shown]
	s_delay_alu instid0(VALU_DEP_4) | instskip(SKIP_1) | instid1(VALU_DEP_4)
	v_dual_fmac_f32 v24, v32, v17 :: v_dual_and_b32 v39, 0xffff0000, v39
	v_dual_fmac_f32 v22, v36, v17 :: v_dual_lshlrev_b32 v79, 16, v40
	v_fmac_f32_e32 v23, v34, v17
	s_delay_alu instid0(VALU_DEP_4) | instskip(NEXT) | instid1(VALU_DEP_4)
	v_dual_fmac_f32 v8, v30, v17 :: v_dual_lshlrev_b32 v83, 16, v44
	v_dual_fmac_f32 v24, v78, v7 :: v_dual_and_b32 v17, 0xffff0000, v57
	s_delay_alu instid0(VALU_DEP_3) | instskip(NEXT) | instid1(VALU_DEP_3)
	v_fmac_f32_e32 v23, v80, v7
	v_fmac_f32_e32 v8, v76, v7
	v_and_b32_e32 v43, 0xffff0000, v43
	v_dual_fmac_f32 v22, v82, v7 :: v_dual_lshlrev_b32 v85, 16, v46
	v_fmac_f32_e32 v24, v39, v17
	v_and_b32_e32 v46, 0xffff0000, v46
	v_dual_fmac_f32 v8, v37, v17 :: v_dual_lshlrev_b32 v7, 16, v58
	s_delay_alu instid0(VALU_DEP_4) | instskip(SKIP_2) | instid1(VALU_DEP_4)
	v_dual_fmac_f32 v22, v43, v17 :: v_dual_and_b32 v47, 0xffff0000, v47
	v_dual_fmac_f32 v23, v41, v17 :: v_dual_and_b32 v40, 0xffff0000, v40
	v_and_b32_e32 v44, 0xffff0000, v44
	v_dual_fmac_f32 v8, v77, v7 :: v_dual_and_b32 v45, 0xffff0000, v45
	v_dual_fmac_f32 v24, v79, v7 :: v_dual_lshlrev_b32 v87, 16, v48
	v_and_b32_e32 v17, 0xffff0000, v58
	v_fmac_f32_e32 v23, v81, v7
	v_fmac_f32_e32 v22, v83, v7
	v_and_b32_e32 v48, 0xffff0000, v48
	s_delay_alu instid0(VALU_DEP_4) | instskip(NEXT) | instid1(VALU_DEP_3)
	v_dual_fmac_f32 v24, v40, v17 :: v_dual_and_b32 v51, 0xffff0000, v51
	v_dual_fmac_f32 v22, v44, v17 :: v_dual_lshlrev_b32 v91, 16, v52
	s_wait_loadcnt 0x0
	v_dual_fmac_f32 v8, v38, v17 :: v_dual_lshlrev_b32 v7, 16, v59
	v_fmac_f32_e32 v23, v42, v17
	v_and_b32_e32 v17, 0xffff0000, v59
	v_and_b32_e32 v52, 0xffff0000, v52
	s_delay_alu instid0(VALU_DEP_4) | instskip(SKIP_3) | instid1(VALU_DEP_4)
	v_fmac_f32_e32 v24, v86, v7
	v_fmac_f32_e32 v8, v84, v7
	;; [unrolled: 1-line block ×5, first 2 shown]
	s_delay_alu instid0(VALU_DEP_4) | instskip(NEXT) | instid1(VALU_DEP_4)
	v_fmac_f32_e32 v8, v45, v17
	v_fmac_f32_e32 v23, v49, v17
	s_delay_alu instid0(VALU_DEP_4) | instskip(SKIP_1) | instid1(VALU_DEP_1)
	v_dual_fmac_f32 v22, v51, v17 :: v_dual_and_b32 v17, 0xffff0000, v60
	v_lshlrev_b32_e32 v7, 16, v60
	v_fmac_f32_e32 v22, v91, v7
	s_delay_alu instid0(VALU_DEP_1) | instskip(SKIP_2) | instid1(VALU_DEP_2)
	v_fmac_f32_e32 v22, v52, v17
	v_fmac_f32_e32 v8, v85, v7
	;; [unrolled: 1-line block ×3, first 2 shown]
	v_dual_fmac_f32 v23, v89, v7 :: v_dual_fmac_f32 v8, v46, v17
	s_delay_alu instid0(VALU_DEP_2) | instskip(NEXT) | instid1(VALU_DEP_2)
	v_fmac_f32_e32 v24, v48, v17
	v_fmac_f32_e32 v23, v50, v17
	s_wait_alu 0xfffe
	s_and_not1_b32 exec_lo, exec_lo, s7
	s_cbranch_execnz .LBB110_21
; %bb.22:
	s_or_b32 exec_lo, exec_lo, s7
.LBB110_23:
	s_wait_alu 0xfffe
	s_or_b32 exec_lo, exec_lo, s6
.LBB110_24:
	s_wait_alu 0xfffe
	s_or_b32 exec_lo, exec_lo, s3
	s_cbranch_execz .LBB110_26
	s_branch .LBB110_37
.LBB110_25:
                                        ; implicit-def: $vgpr22
                                        ; implicit-def: $vgpr23
                                        ; implicit-def: $vgpr24
                                        ; implicit-def: $vgpr8
.LBB110_26:
	v_dual_mov_b32 v22, 0 :: v_dual_mov_b32 v23, 0
	v_mov_b32_e32 v24, 0
	v_mov_b32_e32 v8, 0
	s_and_saveexec_b32 s3, s2
	s_cbranch_execz .LBB110_36
; %bb.27:
	v_or_b32_e32 v7, 4, v21
	s_delay_alu instid0(VALU_DEP_1) | instskip(SKIP_3) | instid1(VALU_DEP_3)
	v_sub_co_u32 v7, s2, v7, s16
	s_wait_alu 0xf1ff
	v_sub_co_ci_u32_e64 v8, null, 0, 0, s2
	v_sub_co_u32 v11, s2, s16, v21
	v_add_co_u32 v7, vcc_lo, v7, v9
	s_wait_alu 0xfffd
	s_delay_alu instid0(VALU_DEP_3)
	v_add_co_ci_u32_e64 v8, null, v8, v10, vcc_lo
	v_not_b32_e32 v9, v9
	v_not_b32_e32 v10, v10
	s_wait_alu 0xf1ff
	v_sub_co_ci_u32_e64 v12, null, 0, 0, s2
	v_cmp_gt_i64_e32 vcc_lo, v[7:8], v[2:3]
	s_mov_b32 s2, exec_lo
	s_wait_alu 0xfffd
	v_cndmask_b32_e32 v13, v3, v8, vcc_lo
	v_cndmask_b32_e32 v7, v2, v7, vcc_lo
	v_add_co_u32 v8, vcc_lo, v11, v9
	s_wait_alu 0xfffd
	v_add_co_ci_u32_e64 v10, null, v12, v10, vcc_lo
	s_delay_alu instid0(VALU_DEP_2) | instskip(SKIP_2) | instid1(VALU_DEP_3)
	v_add_co_u32 v9, vcc_lo, v8, v7
	v_mov_b32_e32 v8, 0
	s_wait_alu 0xfffd
	v_add_co_ci_u32_e64 v10, null, v10, v13, vcc_lo
	s_delay_alu instid0(VALU_DEP_2) | instskip(SKIP_1) | instid1(VALU_DEP_2)
	v_dual_mov_b32 v22, v8 :: v_dual_and_b32 v7, 12, v9
	v_dual_mov_b32 v24, v8 :: v_dual_mov_b32 v23, v8
	v_cmpx_ne_u64_e32 12, v[7:8]
	s_cbranch_execz .LBB110_31
; %bb.28:
	v_lshrrev_b32_e32 v7, 2, v9
	v_dual_mov_b32 v23, 0 :: v_dual_mov_b32 v24, 0
	s_delay_alu instid0(VALU_DEP_2) | instskip(SKIP_1) | instid1(VALU_DEP_2)
	v_dual_mov_b32 v22, 0 :: v_dual_add_nc_u32 v11, 1, v7
	v_lshlrev_b64_e32 v[7:8], 2, v[0:1]
	v_and_b32_e32 v13, 3, v11
	s_delay_alu instid0(VALU_DEP_2) | instskip(SKIP_1) | instid1(VALU_DEP_3)
	v_add_co_u32 v11, vcc_lo, s8, v7
	s_wait_alu 0xfffd
	v_add_co_ci_u32_e64 v12, null, s9, v8, vcc_lo
	v_mov_b32_e32 v8, 0
	v_sub_co_u32 v13, s6, 0, v13
	s_wait_alu 0xf1ff
	v_sub_co_ci_u32_e64 v14, null, 0, 0, s6
	s_mov_b32 s6, 0
.LBB110_29:                             ; =>This Inner Loop Header: Depth=1
	global_load_b32 v7, v[11:12], off
	global_load_b128 v[15:18], v[5:6], off
	s_wait_loadcnt 0x1
	v_subrev_nc_u32_e32 v7, s16, v7
	s_delay_alu instid0(VALU_DEP_1) | instskip(NEXT) | instid1(VALU_DEP_1)
	v_lshlrev_b32_e32 v19, 2, v7
	v_ashrrev_i32_e32 v20, 31, v19
	s_delay_alu instid0(VALU_DEP_1) | instskip(SKIP_1) | instid1(VALU_DEP_1)
	v_lshlrev_b64_e32 v[19:20], 1, v[19:20]
	s_wait_kmcnt 0x0
	v_add_co_u32 v19, vcc_lo, s4, v19
	s_wait_alu 0xfffd
	s_delay_alu instid0(VALU_DEP_2)
	v_add_co_ci_u32_e64 v20, null, s5, v20, vcc_lo
	global_load_b64 v[19:20], v[19:20], off
	global_load_b128 v[25:28], v[5:6], off offset:16
	v_add_co_u32 v5, vcc_lo, 0x80, v5
	s_wait_alu 0xfffd
	v_add_co_ci_u32_e64 v6, null, 0, v6, vcc_lo
	v_add_co_u32 v0, vcc_lo, v0, 4
	s_wait_alu 0xfffd
	v_add_co_ci_u32_e64 v1, null, 0, v1, vcc_lo
	;; [unrolled: 3-line block ×4, first 2 shown]
	s_delay_alu instid0(VALU_DEP_1)
	v_cmp_eq_u64_e32 vcc_lo, 0, v[13:14]
	s_wait_alu 0xfffe
	s_or_b32 s6, vcc_lo, s6
	s_wait_loadcnt 0x1
	v_lshlrev_b32_e32 v36, 16, v19
	v_lshlrev_b32_e32 v7, 16, v15
	;; [unrolled: 1-line block ×3, first 2 shown]
	v_and_b32_e32 v19, 0xffff0000, v19
	v_lshlrev_b32_e32 v29, 16, v16
	v_lshlrev_b32_e32 v31, 16, v18
	v_and_b32_e32 v16, 0xffff0000, v16
	v_and_b32_e32 v15, 0xffff0000, v15
	s_wait_loadcnt 0x0
	v_lshlrev_b32_e32 v34, 16, v27
	s_delay_alu instid0(VALU_DEP_3) | instskip(NEXT) | instid1(VALU_DEP_3)
	v_dual_fmac_f32 v22, v16, v36 :: v_dual_and_b32 v27, 0xffff0000, v27
	v_fmac_f32_e32 v24, v15, v36
	v_fmac_f32_e32 v8, v7, v36
	v_and_b32_e32 v15, 0xffff0000, v20
	v_lshlrev_b32_e32 v7, 16, v20
	v_lshlrev_b32_e32 v33, 16, v26
	v_and_b32_e32 v18, 0xffff0000, v18
	v_dual_fmac_f32 v8, v30, v19 :: v_dual_and_b32 v17, 0xffff0000, v17
	v_dual_fmac_f32 v23, v29, v36 :: v_dual_and_b32 v26, 0xffff0000, v26
	s_delay_alu instid0(VALU_DEP_3) | instskip(NEXT) | instid1(VALU_DEP_3)
	v_fmac_f32_e32 v22, v18, v19
	v_dual_fmac_f32 v24, v17, v19 :: v_dual_lshlrev_b32 v35, 16, v28
	s_delay_alu instid0(VALU_DEP_3) | instskip(NEXT) | instid1(VALU_DEP_3)
	v_dual_fmac_f32 v23, v31, v19 :: v_dual_and_b32 v28, 0xffff0000, v28
	v_fmac_f32_e32 v22, v26, v7
	s_delay_alu instid0(VALU_DEP_2) | instskip(NEXT) | instid1(VALU_DEP_2)
	v_dual_fmac_f32 v23, v33, v7 :: v_dual_lshlrev_b32 v32, 16, v25
	v_fmac_f32_e32 v22, v28, v15
	s_delay_alu instid0(VALU_DEP_2) | instskip(NEXT) | instid1(VALU_DEP_3)
	v_fmac_f32_e32 v23, v35, v15
	v_dual_fmac_f32 v8, v32, v7 :: v_dual_and_b32 v25, 0xffff0000, v25
	s_delay_alu instid0(VALU_DEP_1) | instskip(NEXT) | instid1(VALU_DEP_2)
	v_fmac_f32_e32 v8, v34, v15
	v_fmac_f32_e32 v24, v25, v7
	s_delay_alu instid0(VALU_DEP_1)
	v_fmac_f32_e32 v24, v27, v15
	s_wait_alu 0xfffe
	s_and_not1_b32 exec_lo, exec_lo, s6
	s_cbranch_execnz .LBB110_29
; %bb.30:
	s_or_b32 exec_lo, exec_lo, s6
.LBB110_31:
	s_wait_alu 0xfffe
	s_or_b32 exec_lo, exec_lo, s2
	s_delay_alu instid0(SALU_CYCLE_1)
	s_mov_b32 s2, exec_lo
	v_cmpx_lt_u64_e32 11, v[9:10]
	s_cbranch_execz .LBB110_35
; %bb.32:
	v_lshlrev_b64_e32 v[9:10], 2, v[0:1]
	s_mov_b32 s6, 0
	s_delay_alu instid0(VALU_DEP_1) | instskip(SKIP_1) | instid1(VALU_DEP_2)
	v_add_co_u32 v7, vcc_lo, s8, v9
	s_wait_alu 0xfffd
	v_add_co_ci_u32_e64 v10, null, s9, v10, vcc_lo
	s_delay_alu instid0(VALU_DEP_2) | instskip(SKIP_1) | instid1(VALU_DEP_2)
	v_add_co_u32 v9, vcc_lo, v7, 32
	s_wait_alu 0xfffd
	v_add_co_ci_u32_e64 v10, null, 0, v10, vcc_lo
.LBB110_33:                             ; =>This Inner Loop Header: Depth=1
	s_clause 0x3
	global_load_b32 v7, v[9:10], off offset:-32
	global_load_b32 v19, v[9:10], off offset:-16
	global_load_b32 v20, v[9:10], off
	global_load_b32 v45, v[9:10], off offset:16
	s_clause 0x6
	global_load_b128 v[11:14], v[5:6], off
	global_load_b128 v[15:18], v[5:6], off offset:16
	global_load_b128 v[25:28], v[5:6], off offset:128
	;; [unrolled: 1-line block ×6, first 2 shown]
	s_wait_loadcnt 0xa
	v_subrev_nc_u32_e32 v7, s16, v7
	s_wait_loadcnt 0x9
	v_subrev_nc_u32_e32 v46, s16, v19
	;; [unrolled: 2-line block ×4, first 2 shown]
	v_lshlrev_b32_e32 v19, 2, v7
	s_wait_loadcnt 0x5
	v_lshlrev_b32_e32 v58, 16, v15
	v_lshlrev_b32_e32 v57, 16, v14
	;; [unrolled: 1-line block ×5, first 2 shown]
	v_and_b32_e32 v11, 0xffff0000, v11
	v_lshlrev_b32_e32 v47, 2, v20
	v_ashrrev_i32_e32 v20, 31, v19
	v_and_b32_e32 v15, 0xffff0000, v15
	v_lshlrev_b32_e32 v59, 16, v16
	v_and_b32_e32 v14, 0xffff0000, v14
	v_and_b32_e32 v13, 0xffff0000, v13
	v_lshlrev_b32_e32 v55, 16, v12
	v_and_b32_e32 v12, 0xffff0000, v12
	v_lshlrev_b32_e32 v49, 2, v48
	v_ashrrev_i32_e32 v46, 31, v45
	v_ashrrev_i32_e32 v48, 31, v47
	v_lshlrev_b64_e32 v[19:20], 1, v[19:20]
	s_wait_loadcnt 0x2
	v_lshlrev_b32_e32 v72, 16, v35
	v_ashrrev_i32_e32 v50, 31, v49
	v_lshlrev_b64_e32 v[45:46], 1, v[45:46]
	v_lshlrev_b64_e32 v[47:48], 1, v[47:48]
	v_and_b32_e32 v35, 0xffff0000, v35
	s_wait_kmcnt 0x0
	v_add_co_u32 v19, vcc_lo, s4, v19
	v_lshlrev_b64_e32 v[49:50], 1, v[49:50]
	s_wait_alu 0xfffd
	v_add_co_ci_u32_e64 v20, null, s5, v20, vcc_lo
	v_add_co_u32 v45, vcc_lo, s4, v45
	s_wait_alu 0xfffd
	v_add_co_ci_u32_e64 v46, null, s5, v46, vcc_lo
	v_add_co_u32 v47, vcc_lo, s4, v47
	;; [unrolled: 3-line block ×3, first 2 shown]
	s_wait_alu 0xfffd
	v_add_co_ci_u32_e64 v50, null, s5, v50, vcc_lo
	s_clause 0x3
	global_load_b64 v[19:20], v[19:20], off
	global_load_b64 v[51:52], v[45:46], off
	global_load_b64 v[53:54], v[47:48], off
	global_load_b64 v[49:50], v[49:50], off
	global_load_b128 v[45:48], v[5:6], off offset:400
	v_lshlrev_b32_e32 v64, 16, v27
	v_and_b32_e32 v27, 0xffff0000, v27
	v_lshlrev_b32_e32 v68, 16, v31
	v_and_b32_e32 v31, 0xffff0000, v31
	s_wait_loadcnt 0x6
	v_lshlrev_b32_e32 v76, 16, v39
	s_wait_loadcnt 0x5
	v_lshlrev_b32_e32 v78, 16, v41
	v_and_b32_e32 v39, 0xffff0000, v39
	v_lshlrev_b32_e32 v80, 16, v43
	v_and_b32_e32 v43, 0xffff0000, v43
	v_add_co_u32 v5, vcc_lo, 0x200, v5
	s_wait_alu 0xfffd
	v_add_co_ci_u32_e64 v6, null, 0, v6, vcc_lo
	v_add_co_u32 v0, vcc_lo, v0, 16
	s_wait_alu 0xfffd
	v_add_co_ci_u32_e64 v1, null, 0, v1, vcc_lo
	;; [unrolled: 3-line block ×3, first 2 shown]
	s_delay_alu instid0(VALU_DEP_3)
	v_cmp_ge_i64_e32 vcc_lo, v[0:1], v[2:3]
	s_wait_alu 0xfffe
	s_or_b32 s6, vcc_lo, s6
	s_wait_loadcnt 0x4
	v_lshlrev_b32_e32 v86, 16, v19
	v_and_b32_e32 v19, 0xffff0000, v19
	s_wait_loadcnt 0x0
	s_delay_alu instid0(VALU_DEP_2) | instskip(SKIP_2) | instid1(VALU_DEP_3)
	v_dual_fmac_f32 v24, v11, v86 :: v_dual_lshlrev_b32 v85, 16, v48
	v_dual_fmac_f32 v8, v7, v86 :: v_dual_lshlrev_b32 v7, 16, v20
	v_lshlrev_b32_e32 v74, 16, v37
	v_dual_fmac_f32 v24, v13, v19 :: v_dual_and_b32 v11, 0xffff0000, v20
	v_fmac_f32_e32 v23, v55, v86
	v_fmac_f32_e32 v22, v12, v86
	v_lshlrev_b32_e32 v82, 16, v45
	v_lshlrev_b32_e32 v84, 16, v47
	v_fmac_f32_e32 v24, v15, v7
	v_fmac_f32_e32 v23, v57, v19
	v_dual_fmac_f32 v8, v56, v19 :: v_dual_lshlrev_b32 v63, 16, v26
	v_and_b32_e32 v47, 0xffff0000, v47
	s_delay_alu instid0(VALU_DEP_3) | instskip(SKIP_3) | instid1(VALU_DEP_3)
	v_dual_fmac_f32 v23, v59, v7 :: v_dual_and_b32 v48, 0xffff0000, v48
	v_dual_fmac_f32 v22, v14, v19 :: v_dual_lshlrev_b32 v61, 16, v18
	v_and_b32_e32 v16, 0xffff0000, v16
	v_fmac_f32_e32 v8, v58, v7
	v_fmac_f32_e32 v23, v61, v11
	s_delay_alu instid0(VALU_DEP_3) | instskip(SKIP_3) | instid1(VALU_DEP_3)
	v_fmac_f32_e32 v22, v16, v7
	v_lshlrev_b32_e32 v7, 16, v51
	v_lshlrev_b32_e32 v60, 16, v17
	v_lshlrev_b32_e32 v65, 16, v28
	v_fmac_f32_e32 v23, v63, v7
	s_delay_alu instid0(VALU_DEP_3) | instskip(SKIP_1) | instid1(VALU_DEP_2)
	v_dual_fmac_f32 v8, v60, v11 :: v_dual_and_b32 v17, 0xffff0000, v17
	v_and_b32_e32 v18, 0xffff0000, v18
	v_fmac_f32_e32 v24, v17, v11
	s_delay_alu instid0(VALU_DEP_2) | instskip(SKIP_4) | instid1(VALU_DEP_4)
	v_fmac_f32_e32 v22, v18, v11
	v_and_b32_e32 v11, 0xffff0000, v51
	v_lshlrev_b32_e32 v69, 16, v32
	v_and_b32_e32 v26, 0xffff0000, v26
	v_lshlrev_b32_e32 v67, 16, v30
	v_fmac_f32_e32 v23, v65, v11
	s_delay_alu instid0(VALU_DEP_3) | instskip(SKIP_4) | instid1(VALU_DEP_4)
	v_fmac_f32_e32 v22, v26, v7
	v_lshlrev_b32_e32 v62, 16, v25
	v_and_b32_e32 v25, 0xffff0000, v25
	v_lshlrev_b32_e32 v71, 16, v34
	v_and_b32_e32 v28, 0xffff0000, v28
	v_fmac_f32_e32 v8, v62, v7
	s_delay_alu instid0(VALU_DEP_4) | instskip(NEXT) | instid1(VALU_DEP_3)
	v_dual_fmac_f32 v24, v25, v7 :: v_dual_lshlrev_b32 v7, 16, v52
	v_dual_fmac_f32 v22, v28, v11 :: v_dual_lshlrev_b32 v75, 16, v38
	v_and_b32_e32 v30, 0xffff0000, v30
	s_delay_alu instid0(VALU_DEP_4) | instskip(SKIP_2) | instid1(VALU_DEP_4)
	v_dual_fmac_f32 v8, v64, v11 :: v_dual_lshlrev_b32 v73, 16, v36
	v_lshlrev_b32_e32 v66, 16, v29
	v_dual_fmac_f32 v24, v27, v11 :: v_dual_and_b32 v29, 0xffff0000, v29
	v_dual_fmac_f32 v22, v30, v7 :: v_dual_lshlrev_b32 v79, 16, v42
	v_lshlrev_b32_e32 v70, 16, v33
	v_and_b32_e32 v33, 0xffff0000, v33
	s_delay_alu instid0(VALU_DEP_4) | instskip(SKIP_4) | instid1(VALU_DEP_4)
	v_dual_fmac_f32 v24, v29, v7 :: v_dual_and_b32 v37, 0xffff0000, v37
	v_dual_fmac_f32 v8, v66, v7 :: v_dual_and_b32 v11, 0xffff0000, v52
	v_lshlrev_b32_e32 v77, 16, v40
	v_fmac_f32_e32 v23, v67, v7
	v_lshlrev_b32_e32 v7, 16, v53
	v_dual_fmac_f32 v24, v31, v11 :: v_dual_and_b32 v41, 0xffff0000, v41
	v_fmac_f32_e32 v8, v68, v11
	v_and_b32_e32 v32, 0xffff0000, v32
	v_lshlrev_b32_e32 v81, 16, v44
	v_dual_fmac_f32 v23, v69, v11 :: v_dual_and_b32 v38, 0xffff0000, v38
	s_delay_alu instid0(VALU_DEP_4) | instskip(SKIP_4) | instid1(VALU_DEP_3)
	v_fmac_f32_e32 v8, v70, v7
	v_and_b32_e32 v34, 0xffff0000, v34
	v_dual_fmac_f32 v22, v32, v11 :: v_dual_and_b32 v45, 0xffff0000, v45
	v_dual_fmac_f32 v24, v33, v7 :: v_dual_lshlrev_b32 v83, 16, v46
	v_fmac_f32_e32 v23, v71, v7
	v_fmac_f32_e32 v22, v34, v7
	v_and_b32_e32 v36, 0xffff0000, v36
	v_lshlrev_b32_e32 v7, 16, v54
	v_and_b32_e32 v11, 0xffff0000, v53
	v_and_b32_e32 v40, 0xffff0000, v40
	;; [unrolled: 1-line block ×5, first 2 shown]
	v_fmac_f32_e32 v22, v36, v11
	s_delay_alu instid0(VALU_DEP_1) | instskip(SKIP_3) | instid1(VALU_DEP_3)
	v_fmac_f32_e32 v22, v38, v7
	v_fmac_f32_e32 v24, v35, v11
	;; [unrolled: 1-line block ×4, first 2 shown]
	v_dual_fmac_f32 v24, v37, v7 :: v_dual_and_b32 v11, 0xffff0000, v54
	s_delay_alu instid0(VALU_DEP_1) | instskip(NEXT) | instid1(VALU_DEP_4)
	v_fmac_f32_e32 v24, v39, v11
	v_fmac_f32_e32 v8, v74, v7
	s_delay_alu instid0(VALU_DEP_4) | instskip(NEXT) | instid1(VALU_DEP_2)
	v_fmac_f32_e32 v23, v75, v7
	v_dual_fmac_f32 v8, v76, v11 :: v_dual_lshlrev_b32 v7, 16, v49
	s_delay_alu instid0(VALU_DEP_1) | instskip(NEXT) | instid1(VALU_DEP_3)
	v_fmac_f32_e32 v8, v78, v7
	v_fmac_f32_e32 v23, v77, v11
	v_dual_fmac_f32 v22, v40, v11 :: v_dual_and_b32 v11, 0xffff0000, v49
	v_fmac_f32_e32 v24, v41, v7
	s_delay_alu instid0(VALU_DEP_3) | instskip(NEXT) | instid1(VALU_DEP_3)
	v_fmac_f32_e32 v23, v79, v7
	v_dual_fmac_f32 v22, v42, v7 :: v_dual_lshlrev_b32 v7, 16, v50
	s_delay_alu instid0(VALU_DEP_4) | instskip(NEXT) | instid1(VALU_DEP_4)
	v_fmac_f32_e32 v8, v80, v11
	v_fmac_f32_e32 v24, v43, v11
	s_delay_alu instid0(VALU_DEP_4) | instskip(NEXT) | instid1(VALU_DEP_4)
	v_fmac_f32_e32 v23, v81, v11
	v_dual_fmac_f32 v22, v44, v11 :: v_dual_and_b32 v11, 0xffff0000, v50
	s_delay_alu instid0(VALU_DEP_4) | instskip(NEXT) | instid1(VALU_DEP_4)
	v_fmac_f32_e32 v8, v82, v7
	v_fmac_f32_e32 v24, v45, v7
	s_delay_alu instid0(VALU_DEP_4) | instskip(NEXT) | instid1(VALU_DEP_4)
	v_fmac_f32_e32 v23, v83, v7
	v_fmac_f32_e32 v22, v46, v7
	;; [unrolled: 3-line block ×4, first 2 shown]
	s_wait_alu 0xfffe
	s_and_not1_b32 exec_lo, exec_lo, s6
	s_cbranch_execnz .LBB110_33
; %bb.34:
	s_or_b32 exec_lo, exec_lo, s6
.LBB110_35:
	s_wait_alu 0xfffe
	s_or_b32 exec_lo, exec_lo, s2
.LBB110_36:
	s_wait_alu 0xfffe
	s_or_b32 exec_lo, exec_lo, s3
.LBB110_37:
	v_mbcnt_lo_u32_b32 v0, -1, 0
	s_mov_b32 s2, -1
	s_delay_alu instid0(VALU_DEP_1) | instskip(NEXT) | instid1(VALU_DEP_1)
	v_xor_b32_e32 v1, 2, v0
	v_cmp_gt_i32_e32 vcc_lo, 32, v1
	s_wait_alu 0xfffd
	v_cndmask_b32_e32 v1, v0, v1, vcc_lo
	s_delay_alu instid0(VALU_DEP_1)
	v_lshlrev_b32_e32 v1, 2, v1
	ds_bpermute_b32 v2, v1, v8
	ds_bpermute_b32 v3, v1, v24
	;; [unrolled: 1-line block ×4, first 2 shown]
	v_xor_b32_e32 v1, 1, v0
	s_delay_alu instid0(VALU_DEP_1)
	v_cmp_gt_i32_e32 vcc_lo, 32, v1
	s_wait_alu 0xfffd
	v_cndmask_b32_e32 v0, v0, v1, vcc_lo
	v_cmp_eq_u32_e32 vcc_lo, 3, v21
	s_wait_dscnt 0x2
	v_add_f32_e32 v1, v24, v3
	s_wait_dscnt 0x0
	v_add_f32_e32 v3, v22, v6
	v_dual_add_f32 v0, v8, v2 :: v_dual_lshlrev_b32 v9, 2, v0
	v_add_f32_e32 v2, v23, v5
	ds_bpermute_b32 v6, v9, v1
	ds_bpermute_b32 v5, v9, v0
	;; [unrolled: 1-line block ×4, first 2 shown]
	s_and_b32 exec_lo, exec_lo, vcc_lo
	s_cbranch_execz .LBB110_10
; %bb.38:
	s_load_b64 s[0:1], s[0:1], 0x50
	s_wait_dscnt 0x2
	v_dual_add_f32 v0, v0, v5 :: v_dual_add_f32 v1, v1, v6
	s_wait_dscnt 0x0
	v_dual_add_f32 v2, v2, v7 :: v_dual_add_f32 v3, v3, v8
	v_lshlrev_b32_e32 v4, 2, v4
	s_delay_alu instid0(VALU_DEP_3) | instskip(NEXT) | instid1(VALU_DEP_3)
	v_dual_mul_f32 v0, s14, v0 :: v_dual_mul_f32 v1, s14, v1
	v_dual_mul_f32 v2, s14, v2 :: v_dual_mul_f32 v3, s14, v3
	s_cmp_eq_f32 s12, 0
	s_cbranch_scc0 .LBB110_40
; %bb.39:
	v_ashrrev_i32_e32 v5, 31, v4
	s_mov_b32 s2, 0
	s_delay_alu instid0(VALU_DEP_1) | instskip(SKIP_1) | instid1(VALU_DEP_1)
	v_lshlrev_b64_e32 v[5:6], 2, v[4:5]
	s_wait_kmcnt 0x0
	v_add_co_u32 v5, vcc_lo, s0, v5
	s_wait_alu 0xfffd
	s_delay_alu instid0(VALU_DEP_2)
	v_add_co_ci_u32_e64 v6, null, s1, v6, vcc_lo
	global_store_b128 v[5:6], v[0:3], off
.LBB110_40:
	s_wait_alu 0xfffe
	s_and_not1_b32 vcc_lo, exec_lo, s2
	s_wait_alu 0xfffe
	s_cbranch_vccnz .LBB110_10
; %bb.41:
	v_ashrrev_i32_e32 v5, 31, v4
	s_delay_alu instid0(VALU_DEP_1) | instskip(SKIP_1) | instid1(VALU_DEP_1)
	v_lshlrev_b64_e32 v[4:5], 2, v[4:5]
	s_wait_kmcnt 0x0
	v_add_co_u32 v8, vcc_lo, s0, v4
	s_wait_alu 0xfffd
	s_delay_alu instid0(VALU_DEP_2)
	v_add_co_ci_u32_e64 v9, null, s1, v5, vcc_lo
	global_load_b128 v[4:7], v[8:9], off
	s_wait_loadcnt 0x0
	v_dual_fmac_f32 v0, s12, v4 :: v_dual_fmac_f32 v1, s12, v5
	v_dual_fmac_f32 v2, s12, v6 :: v_dual_fmac_f32 v3, s12, v7
	global_store_b128 v[8:9], v[0:3], off
	s_endpgm
	.section	.rodata,"a",@progbits
	.p2align	6, 0x0
	.amdhsa_kernel _ZN9rocsparseL18bsrxmvn_4x4_kernelILj128ELj4Efli18rocsparse_bfloat16S1_fEEvT3_20rocsparse_direction_NS_24const_host_device_scalarIT1_EES2_PKS2_PKT2_SB_S8_PKT4_PKT5_S6_PT6_21rocsparse_index_base_b
		.amdhsa_group_segment_fixed_size 0
		.amdhsa_private_segment_fixed_size 0
		.amdhsa_kernarg_size 96
		.amdhsa_user_sgpr_count 2
		.amdhsa_user_sgpr_dispatch_ptr 0
		.amdhsa_user_sgpr_queue_ptr 0
		.amdhsa_user_sgpr_kernarg_segment_ptr 1
		.amdhsa_user_sgpr_dispatch_id 0
		.amdhsa_user_sgpr_private_segment_size 0
		.amdhsa_wavefront_size32 1
		.amdhsa_uses_dynamic_stack 0
		.amdhsa_enable_private_segment 0
		.amdhsa_system_sgpr_workgroup_id_x 1
		.amdhsa_system_sgpr_workgroup_id_y 0
		.amdhsa_system_sgpr_workgroup_id_z 0
		.amdhsa_system_sgpr_workgroup_info 0
		.amdhsa_system_vgpr_workitem_id 0
		.amdhsa_next_free_vgpr 93
		.amdhsa_next_free_sgpr 18
		.amdhsa_reserve_vcc 1
		.amdhsa_float_round_mode_32 0
		.amdhsa_float_round_mode_16_64 0
		.amdhsa_float_denorm_mode_32 3
		.amdhsa_float_denorm_mode_16_64 3
		.amdhsa_fp16_overflow 0
		.amdhsa_workgroup_processor_mode 1
		.amdhsa_memory_ordered 1
		.amdhsa_forward_progress 1
		.amdhsa_inst_pref_size 42
		.amdhsa_round_robin_scheduling 0
		.amdhsa_exception_fp_ieee_invalid_op 0
		.amdhsa_exception_fp_denorm_src 0
		.amdhsa_exception_fp_ieee_div_zero 0
		.amdhsa_exception_fp_ieee_overflow 0
		.amdhsa_exception_fp_ieee_underflow 0
		.amdhsa_exception_fp_ieee_inexact 0
		.amdhsa_exception_int_div_zero 0
	.end_amdhsa_kernel
	.section	.text._ZN9rocsparseL18bsrxmvn_4x4_kernelILj128ELj4Efli18rocsparse_bfloat16S1_fEEvT3_20rocsparse_direction_NS_24const_host_device_scalarIT1_EES2_PKS2_PKT2_SB_S8_PKT4_PKT5_S6_PT6_21rocsparse_index_base_b,"axG",@progbits,_ZN9rocsparseL18bsrxmvn_4x4_kernelILj128ELj4Efli18rocsparse_bfloat16S1_fEEvT3_20rocsparse_direction_NS_24const_host_device_scalarIT1_EES2_PKS2_PKT2_SB_S8_PKT4_PKT5_S6_PT6_21rocsparse_index_base_b,comdat
.Lfunc_end110:
	.size	_ZN9rocsparseL18bsrxmvn_4x4_kernelILj128ELj4Efli18rocsparse_bfloat16S1_fEEvT3_20rocsparse_direction_NS_24const_host_device_scalarIT1_EES2_PKS2_PKT2_SB_S8_PKT4_PKT5_S6_PT6_21rocsparse_index_base_b, .Lfunc_end110-_ZN9rocsparseL18bsrxmvn_4x4_kernelILj128ELj4Efli18rocsparse_bfloat16S1_fEEvT3_20rocsparse_direction_NS_24const_host_device_scalarIT1_EES2_PKS2_PKT2_SB_S8_PKT4_PKT5_S6_PT6_21rocsparse_index_base_b
                                        ; -- End function
	.set _ZN9rocsparseL18bsrxmvn_4x4_kernelILj128ELj4Efli18rocsparse_bfloat16S1_fEEvT3_20rocsparse_direction_NS_24const_host_device_scalarIT1_EES2_PKS2_PKT2_SB_S8_PKT4_PKT5_S6_PT6_21rocsparse_index_base_b.num_vgpr, 93
	.set _ZN9rocsparseL18bsrxmvn_4x4_kernelILj128ELj4Efli18rocsparse_bfloat16S1_fEEvT3_20rocsparse_direction_NS_24const_host_device_scalarIT1_EES2_PKS2_PKT2_SB_S8_PKT4_PKT5_S6_PT6_21rocsparse_index_base_b.num_agpr, 0
	.set _ZN9rocsparseL18bsrxmvn_4x4_kernelILj128ELj4Efli18rocsparse_bfloat16S1_fEEvT3_20rocsparse_direction_NS_24const_host_device_scalarIT1_EES2_PKS2_PKT2_SB_S8_PKT4_PKT5_S6_PT6_21rocsparse_index_base_b.numbered_sgpr, 18
	.set _ZN9rocsparseL18bsrxmvn_4x4_kernelILj128ELj4Efli18rocsparse_bfloat16S1_fEEvT3_20rocsparse_direction_NS_24const_host_device_scalarIT1_EES2_PKS2_PKT2_SB_S8_PKT4_PKT5_S6_PT6_21rocsparse_index_base_b.num_named_barrier, 0
	.set _ZN9rocsparseL18bsrxmvn_4x4_kernelILj128ELj4Efli18rocsparse_bfloat16S1_fEEvT3_20rocsparse_direction_NS_24const_host_device_scalarIT1_EES2_PKS2_PKT2_SB_S8_PKT4_PKT5_S6_PT6_21rocsparse_index_base_b.private_seg_size, 0
	.set _ZN9rocsparseL18bsrxmvn_4x4_kernelILj128ELj4Efli18rocsparse_bfloat16S1_fEEvT3_20rocsparse_direction_NS_24const_host_device_scalarIT1_EES2_PKS2_PKT2_SB_S8_PKT4_PKT5_S6_PT6_21rocsparse_index_base_b.uses_vcc, 1
	.set _ZN9rocsparseL18bsrxmvn_4x4_kernelILj128ELj4Efli18rocsparse_bfloat16S1_fEEvT3_20rocsparse_direction_NS_24const_host_device_scalarIT1_EES2_PKS2_PKT2_SB_S8_PKT4_PKT5_S6_PT6_21rocsparse_index_base_b.uses_flat_scratch, 0
	.set _ZN9rocsparseL18bsrxmvn_4x4_kernelILj128ELj4Efli18rocsparse_bfloat16S1_fEEvT3_20rocsparse_direction_NS_24const_host_device_scalarIT1_EES2_PKS2_PKT2_SB_S8_PKT4_PKT5_S6_PT6_21rocsparse_index_base_b.has_dyn_sized_stack, 0
	.set _ZN9rocsparseL18bsrxmvn_4x4_kernelILj128ELj4Efli18rocsparse_bfloat16S1_fEEvT3_20rocsparse_direction_NS_24const_host_device_scalarIT1_EES2_PKS2_PKT2_SB_S8_PKT4_PKT5_S6_PT6_21rocsparse_index_base_b.has_recursion, 0
	.set _ZN9rocsparseL18bsrxmvn_4x4_kernelILj128ELj4Efli18rocsparse_bfloat16S1_fEEvT3_20rocsparse_direction_NS_24const_host_device_scalarIT1_EES2_PKS2_PKT2_SB_S8_PKT4_PKT5_S6_PT6_21rocsparse_index_base_b.has_indirect_call, 0
	.section	.AMDGPU.csdata,"",@progbits
; Kernel info:
; codeLenInByte = 5288
; TotalNumSgprs: 20
; NumVgprs: 93
; ScratchSize: 0
; MemoryBound: 0
; FloatMode: 240
; IeeeMode: 1
; LDSByteSize: 0 bytes/workgroup (compile time only)
; SGPRBlocks: 0
; VGPRBlocks: 11
; NumSGPRsForWavesPerEU: 20
; NumVGPRsForWavesPerEU: 93
; Occupancy: 16
; WaveLimiterHint : 1
; COMPUTE_PGM_RSRC2:SCRATCH_EN: 0
; COMPUTE_PGM_RSRC2:USER_SGPR: 2
; COMPUTE_PGM_RSRC2:TRAP_HANDLER: 0
; COMPUTE_PGM_RSRC2:TGID_X_EN: 1
; COMPUTE_PGM_RSRC2:TGID_Y_EN: 0
; COMPUTE_PGM_RSRC2:TGID_Z_EN: 0
; COMPUTE_PGM_RSRC2:TIDIG_COMP_CNT: 0
	.section	.text._ZN9rocsparseL18bsrxmvn_4x4_kernelILj128ELj8Efli18rocsparse_bfloat16S1_fEEvT3_20rocsparse_direction_NS_24const_host_device_scalarIT1_EES2_PKS2_PKT2_SB_S8_PKT4_PKT5_S6_PT6_21rocsparse_index_base_b,"axG",@progbits,_ZN9rocsparseL18bsrxmvn_4x4_kernelILj128ELj8Efli18rocsparse_bfloat16S1_fEEvT3_20rocsparse_direction_NS_24const_host_device_scalarIT1_EES2_PKS2_PKT2_SB_S8_PKT4_PKT5_S6_PT6_21rocsparse_index_base_b,comdat
	.globl	_ZN9rocsparseL18bsrxmvn_4x4_kernelILj128ELj8Efli18rocsparse_bfloat16S1_fEEvT3_20rocsparse_direction_NS_24const_host_device_scalarIT1_EES2_PKS2_PKT2_SB_S8_PKT4_PKT5_S6_PT6_21rocsparse_index_base_b ; -- Begin function _ZN9rocsparseL18bsrxmvn_4x4_kernelILj128ELj8Efli18rocsparse_bfloat16S1_fEEvT3_20rocsparse_direction_NS_24const_host_device_scalarIT1_EES2_PKS2_PKT2_SB_S8_PKT4_PKT5_S6_PT6_21rocsparse_index_base_b
	.p2align	8
	.type	_ZN9rocsparseL18bsrxmvn_4x4_kernelILj128ELj8Efli18rocsparse_bfloat16S1_fEEvT3_20rocsparse_direction_NS_24const_host_device_scalarIT1_EES2_PKS2_PKT2_SB_S8_PKT4_PKT5_S6_PT6_21rocsparse_index_base_b,@function
_ZN9rocsparseL18bsrxmvn_4x4_kernelILj128ELj8Efli18rocsparse_bfloat16S1_fEEvT3_20rocsparse_direction_NS_24const_host_device_scalarIT1_EES2_PKS2_PKT2_SB_S8_PKT4_PKT5_S6_PT6_21rocsparse_index_base_b: ; @_ZN9rocsparseL18bsrxmvn_4x4_kernelILj128ELj8Efli18rocsparse_bfloat16S1_fEEvT3_20rocsparse_direction_NS_24const_host_device_scalarIT1_EES2_PKS2_PKT2_SB_S8_PKT4_PKT5_S6_PT6_21rocsparse_index_base_b
; %bb.0:
	s_clause 0x2
	s_load_b64 s[16:17], s[0:1], 0x58
	s_load_b64 s[14:15], s[0:1], 0x8
	;; [unrolled: 1-line block ×3, first 2 shown]
	s_wait_kmcnt 0x0
	s_bitcmp1_b32 s17, 0
	s_cselect_b32 s2, -1, 0
	s_delay_alu instid0(SALU_CYCLE_1)
	s_and_b32 vcc_lo, exec_lo, s2
	s_xor_b32 s2, s2, -1
	s_cbranch_vccnz .LBB111_2
; %bb.1:
	s_load_b32 s14, s[14:15], 0x0
.LBB111_2:
	s_and_not1_b32 vcc_lo, exec_lo, s2
	s_cbranch_vccnz .LBB111_4
; %bb.3:
	s_load_b32 s12, s[12:13], 0x0
.LBB111_4:
	s_wait_kmcnt 0x0
	s_cmp_neq_f32 s14, 0
	s_mov_b32 s6, 0
	s_cselect_b32 s2, -1, 0
	s_cmp_neq_f32 s12, 1.0
	s_cselect_b32 s3, -1, 0
	s_delay_alu instid0(SALU_CYCLE_1) | instskip(NEXT) | instid1(SALU_CYCLE_1)
	s_or_b32 s2, s2, s3
	s_and_not1_b32 vcc_lo, exec_lo, s2
	s_cbranch_vccnz .LBB111_10
; %bb.5:
	s_clause 0x1
	s_load_b64 s[4:5], s[0:1], 0x18
	s_load_b64 s[2:3], s[0:1], 0x0
	v_lshrrev_b32_e32 v1, 3, v0
	s_delay_alu instid0(VALU_DEP_1)
	v_lshl_or_b32 v4, ttmp9, 4, v1
	s_wait_kmcnt 0x0
	s_cmp_lg_u64 s[4:5], 0
	s_cbranch_scc0 .LBB111_11
; %bb.6:
	s_load_b32 s6, s[0:1], 0x10
	s_mov_b32 s7, 0
                                        ; implicit-def: $vgpr1
	s_wait_kmcnt 0x0
	v_cmp_gt_i32_e32 vcc_lo, s6, v4
	s_mov_b32 s6, 0
	s_and_saveexec_b32 s8, vcc_lo
	s_delay_alu instid0(SALU_CYCLE_1)
	s_xor_b32 s8, exec_lo, s8
	s_cbranch_execz .LBB111_8
; %bb.7:
	v_ashrrev_i32_e32 v5, 31, v4
	s_mov_b32 s6, exec_lo
	s_delay_alu instid0(VALU_DEP_1) | instskip(NEXT) | instid1(VALU_DEP_1)
	v_lshlrev_b64_e32 v[1:2], 2, v[4:5]
	v_add_co_u32 v1, vcc_lo, s4, v1
	s_delay_alu instid0(VALU_DEP_1)
	v_add_co_ci_u32_e64 v2, null, s5, v2, vcc_lo
	global_load_b32 v1, v[1:2], off
	s_wait_loadcnt 0x0
	v_subrev_nc_u32_e32 v1, s16, v1
.LBB111_8:
	s_or_b32 exec_lo, exec_lo, s8
	s_delay_alu instid0(SALU_CYCLE_1)
	s_and_b32 vcc_lo, exec_lo, s7
	s_wait_alu 0xfffe
	s_cbranch_vccz .LBB111_12
.LBB111_9:
	v_cmp_gt_i32_e32 vcc_lo, s2, v4
	s_and_not1_b32 s2, s6, exec_lo
	s_and_b32 s4, vcc_lo, exec_lo
	s_wait_alu 0xfffe
	s_or_b32 s6, s2, s4
	s_wait_alu 0xfffe
	s_and_saveexec_b32 s2, s6
	s_cbranch_execnz .LBB111_13
.LBB111_10:
	s_endpgm
.LBB111_11:
                                        ; implicit-def: $vgpr1
	s_cbranch_execnz .LBB111_9
.LBB111_12:
	v_mov_b32_e32 v4, v1
	s_and_saveexec_b32 s2, s6
	s_cbranch_execz .LBB111_10
.LBB111_13:
	s_load_b256 s[4:11], s[0:1], 0x20
	s_delay_alu instid0(VALU_DEP_1) | instskip(SKIP_1) | instid1(VALU_DEP_2)
	v_ashrrev_i32_e32 v5, 31, v4
	v_dual_mov_b32 v22, 0 :: v_dual_and_b32 v21, 7, v0
	v_lshlrev_b64_e32 v[1:2], 3, v[4:5]
	s_wait_kmcnt 0x0
	s_delay_alu instid0(VALU_DEP_1) | instskip(SKIP_1) | instid1(VALU_DEP_2)
	v_add_co_u32 v5, vcc_lo, s4, v1
	s_wait_alu 0xfffd
	v_add_co_ci_u32_e64 v6, null, s5, v2, vcc_lo
	v_add_co_u32 v1, vcc_lo, s6, v1
	s_wait_alu 0xfffd
	v_add_co_ci_u32_e64 v2, null, s7, v2, vcc_lo
	v_add_co_u32 v3, vcc_lo, v5, 8
	global_load_b64 v[9:10], v[5:6], off
	s_wait_alu 0xfffd
	v_add_co_ci_u32_e64 v7, null, 0, v6, vcc_lo
	s_cmp_eq_u64 s[6:7], 0
	s_load_b64 s[4:5], s[0:1], 0x40
	s_cselect_b32 vcc_lo, -1, 0
	s_cmp_eq_u32 s3, 1
	s_wait_alu 0xfffe
	v_cndmask_b32_e32 v2, v2, v7, vcc_lo
	v_cndmask_b32_e32 v1, v1, v3, vcc_lo
	global_load_b64 v[2:3], v[1:2], off
	s_wait_loadcnt 0x1
	v_sub_co_u32 v0, vcc_lo, v9, s16
	s_wait_alu 0xfffd
	v_subrev_co_ci_u32_e64 v1, null, 0, v10, vcc_lo
	s_delay_alu instid0(VALU_DEP_2) | instskip(SKIP_1) | instid1(VALU_DEP_2)
	v_add_co_u32 v0, vcc_lo, v0, v21
	s_wait_alu 0xfffd
	v_add_co_ci_u32_e64 v1, null, 0, v1, vcc_lo
	s_delay_alu instid0(VALU_DEP_1) | instskip(SKIP_4) | instid1(VALU_DEP_3)
	v_lshlrev_b64_e32 v[5:6], 5, v[0:1]
	s_wait_loadcnt 0x0
	v_sub_co_u32 v2, vcc_lo, v2, s16
	s_wait_alu 0xfffd
	v_subrev_co_ci_u32_e64 v3, null, 0, v3, vcc_lo
	v_add_co_u32 v5, vcc_lo, s10, v5
	s_delay_alu instid0(VALU_DEP_2)
	v_cmp_lt_i64_e64 s2, v[0:1], v[2:3]
	s_wait_alu 0xfffd
	v_add_co_ci_u32_e64 v6, null, s11, v6, vcc_lo
	s_cbranch_scc1 .LBB111_25
; %bb.14:
	v_dual_mov_b32 v23, 0 :: v_dual_mov_b32 v24, 0
	v_mov_b32_e32 v8, 0
	s_and_saveexec_b32 s3, s2
	s_cbranch_execz .LBB111_24
; %bb.15:
	v_or_b32_e32 v7, 8, v21
	v_not_b32_e32 v12, v9
	v_not_b32_e32 v11, v10
	s_delay_alu instid0(VALU_DEP_3) | instskip(SKIP_3) | instid1(VALU_DEP_3)
	v_sub_co_u32 v7, s6, v7, s16
	s_wait_alu 0xf1ff
	v_sub_co_ci_u32_e64 v8, null, 0, 0, s6
	v_sub_co_u32 v13, s6, s16, v21
	v_add_co_u32 v7, vcc_lo, v7, v9
	s_wait_alu 0xfffd
	s_delay_alu instid0(VALU_DEP_3)
	v_add_co_ci_u32_e64 v8, null, v8, v10, vcc_lo
	s_wait_alu 0xf1ff
	v_sub_co_ci_u32_e64 v14, null, 0, 0, s6
	s_mov_b32 s6, exec_lo
	v_cmp_gt_i64_e32 vcc_lo, v[7:8], v[2:3]
	s_wait_alu 0xfffd
	v_dual_cndmask_b32 v16, v3, v8 :: v_dual_cndmask_b32 v7, v2, v7
	v_add_co_u32 v8, vcc_lo, v13, v12
	s_wait_alu 0xfffd
	v_add_co_ci_u32_e64 v11, null, v14, v11, vcc_lo
	v_mov_b32_e32 v14, v6
	s_delay_alu instid0(VALU_DEP_3) | instskip(SKIP_4) | instid1(VALU_DEP_3)
	v_add_co_u32 v15, vcc_lo, v8, v7
	v_mov_b32_e32 v8, 0
	s_wait_alu 0xfffd
	v_add_co_ci_u32_e64 v16, null, v11, v16, vcc_lo
	v_dual_mov_b32 v12, v1 :: v_dual_mov_b32 v13, v5
	v_dual_mov_b32 v24, v8 :: v_dual_and_b32 v7, 24, v15
	v_dual_mov_b32 v23, v8 :: v_dual_mov_b32 v22, v8
	v_mov_b32_e32 v11, v0
	s_delay_alu instid0(VALU_DEP_3)
	v_cmpx_ne_u64_e32 24, v[7:8]
	s_cbranch_execz .LBB111_19
; %bb.16:
	v_lshrrev_b32_e32 v7, 3, v15
	v_mov_b32_e32 v22, 0
	v_dual_mov_b32 v14, v6 :: v_dual_mov_b32 v13, v5
	v_dual_mov_b32 v12, v1 :: v_dual_mov_b32 v11, v0
	s_delay_alu instid0(VALU_DEP_4) | instskip(SKIP_2) | instid1(VALU_DEP_3)
	v_add_nc_u32_e32 v17, 1, v7
	v_lshlrev_b64_e32 v[7:8], 2, v[0:1]
	v_dual_mov_b32 v23, 0 :: v_dual_mov_b32 v24, 0
	v_and_b32_e32 v19, 3, v17
	s_delay_alu instid0(VALU_DEP_3) | instskip(SKIP_1) | instid1(VALU_DEP_4)
	v_add_co_u32 v17, vcc_lo, s8, v7
	s_wait_alu 0xfffd
	v_add_co_ci_u32_e64 v18, null, s9, v8, vcc_lo
	v_mov_b32_e32 v8, 0
	v_sub_co_u32 v19, s7, 0, v19
	s_wait_alu 0xf1ff
	v_sub_co_ci_u32_e64 v20, null, 0, 0, s7
	s_mov_b32 s7, 0
.LBB111_17:                             ; =>This Inner Loop Header: Depth=1
	global_load_b32 v7, v[17:18], off
	global_load_b128 v[25:28], v[13:14], off
	s_wait_loadcnt 0x1
	v_subrev_nc_u32_e32 v7, s16, v7
	s_delay_alu instid0(VALU_DEP_1) | instskip(NEXT) | instid1(VALU_DEP_1)
	v_lshlrev_b32_e32 v29, 2, v7
	v_ashrrev_i32_e32 v30, 31, v29
	s_delay_alu instid0(VALU_DEP_1) | instskip(SKIP_1) | instid1(VALU_DEP_1)
	v_lshlrev_b64_e32 v[29:30], 1, v[29:30]
	s_wait_kmcnt 0x0
	v_add_co_u32 v33, vcc_lo, s4, v29
	s_wait_alu 0xfffd
	s_delay_alu instid0(VALU_DEP_2)
	v_add_co_ci_u32_e64 v34, null, s5, v30, vcc_lo
	global_load_b128 v[29:32], v[13:14], off offset:16
	global_load_b64 v[33:34], v[33:34], off
	v_add_co_u32 v13, vcc_lo, 0x100, v13
	s_wait_alu 0xfffd
	v_add_co_ci_u32_e64 v14, null, 0, v14, vcc_lo
	v_add_co_u32 v11, vcc_lo, v11, 8
	s_wait_alu 0xfffd
	v_add_co_ci_u32_e64 v12, null, 0, v12, vcc_lo
	;; [unrolled: 3-line block ×4, first 2 shown]
	s_delay_alu instid0(VALU_DEP_1)
	v_cmp_eq_u64_e32 vcc_lo, 0, v[19:20]
	s_wait_alu 0xfffe
	s_or_b32 s7, vcc_lo, s7
	s_wait_loadcnt 0x1
	v_lshlrev_b32_e32 v38, 16, v29
	s_wait_loadcnt 0x0
	v_lshlrev_b32_e32 v42, 16, v33
	v_lshlrev_b32_e32 v36, 16, v27
	s_delay_alu instid0(VALU_DEP_2) | instskip(NEXT) | instid1(VALU_DEP_2)
	v_dual_fmac_f32 v23, v38, v42 :: v_dual_lshlrev_b32 v40, 16, v31
	v_dual_fmac_f32 v24, v36, v42 :: v_dual_lshlrev_b32 v7, 16, v25
	s_delay_alu instid0(VALU_DEP_2) | instskip(NEXT) | instid1(VALU_DEP_2)
	v_dual_fmac_f32 v22, v40, v42 :: v_dual_and_b32 v25, 0xffff0000, v25
	v_fmac_f32_e32 v8, v7, v42
	v_lshlrev_b32_e32 v7, 16, v34
	v_and_b32_e32 v33, 0xffff0000, v33
	s_delay_alu instid0(VALU_DEP_1) | instskip(SKIP_1) | instid1(VALU_DEP_2)
	v_dual_fmac_f32 v8, v25, v33 :: v_dual_lshlrev_b32 v35, 16, v26
	v_and_b32_e32 v29, 0xffff0000, v29
	v_dual_fmac_f32 v8, v35, v7 :: v_dual_and_b32 v25, 0xffff0000, v34
	s_delay_alu instid0(VALU_DEP_2) | instskip(NEXT) | instid1(VALU_DEP_1)
	v_dual_fmac_f32 v23, v29, v33 :: v_dual_and_b32 v26, 0xffff0000, v26
	v_dual_fmac_f32 v8, v26, v25 :: v_dual_and_b32 v31, 0xffff0000, v31
	s_delay_alu instid0(VALU_DEP_1) | instskip(NEXT) | instid1(VALU_DEP_1)
	v_dual_fmac_f32 v22, v31, v33 :: v_dual_and_b32 v27, 0xffff0000, v27
	v_dual_fmac_f32 v24, v27, v33 :: v_dual_lshlrev_b32 v37, 16, v28
	v_lshlrev_b32_e32 v39, 16, v30
	v_and_b32_e32 v30, 0xffff0000, v30
	s_delay_alu instid0(VALU_DEP_3) | instskip(NEXT) | instid1(VALU_DEP_3)
	v_fmac_f32_e32 v24, v37, v7
	v_dual_fmac_f32 v23, v39, v7 :: v_dual_and_b32 v28, 0xffff0000, v28
	v_lshlrev_b32_e32 v41, 16, v32
	v_and_b32_e32 v32, 0xffff0000, v32
	s_delay_alu instid0(VALU_DEP_3) | instskip(NEXT) | instid1(VALU_DEP_3)
	v_fmac_f32_e32 v24, v28, v25
	v_dual_fmac_f32 v23, v30, v25 :: v_dual_fmac_f32 v22, v41, v7
	s_delay_alu instid0(VALU_DEP_1)
	v_fmac_f32_e32 v22, v32, v25
	s_wait_alu 0xfffe
	s_and_not1_b32 exec_lo, exec_lo, s7
	s_cbranch_execnz .LBB111_17
; %bb.18:
	s_or_b32 exec_lo, exec_lo, s7
.LBB111_19:
	s_wait_alu 0xfffe
	s_or_b32 exec_lo, exec_lo, s6
	s_delay_alu instid0(SALU_CYCLE_1)
	s_mov_b32 s6, exec_lo
	v_cmpx_lt_u64_e32 23, v[15:16]
	s_cbranch_execz .LBB111_23
; %bb.20:
	v_lshlrev_b64_e32 v[15:16], 2, v[11:12]
	s_mov_b32 s7, 0
	s_delay_alu instid0(VALU_DEP_1) | instskip(SKIP_1) | instid1(VALU_DEP_2)
	v_add_co_u32 v7, vcc_lo, s8, v15
	s_wait_alu 0xfffd
	v_add_co_ci_u32_e64 v16, null, s9, v16, vcc_lo
	s_delay_alu instid0(VALU_DEP_2) | instskip(SKIP_1) | instid1(VALU_DEP_2)
	v_add_co_u32 v15, vcc_lo, v7, 64
	s_wait_alu 0xfffd
	v_add_co_ci_u32_e64 v16, null, 0, v16, vcc_lo
.LBB111_21:                             ; =>This Inner Loop Header: Depth=1
	s_clause 0x3
	global_load_b32 v7, v[15:16], off offset:-64
	global_load_b32 v53, v[15:16], off offset:-32
	global_load_b32 v54, v[15:16], off
	global_load_b32 v55, v[15:16], off offset:32
	s_clause 0x7
	global_load_b128 v[17:20], v[13:14], off
	global_load_b128 v[25:28], v[13:14], off offset:16
	global_load_b128 v[29:32], v[13:14], off offset:256
	;; [unrolled: 1-line block ×7, first 2 shown]
	s_wait_loadcnt 0xb
	v_subrev_nc_u32_e32 v7, s16, v7
	s_wait_loadcnt 0xa
	v_subrev_nc_u32_e32 v56, s16, v53
	s_wait_loadcnt 0x9
	v_subrev_nc_u32_e32 v54, s16, v54
	s_wait_loadcnt 0x8
	v_subrev_nc_u32_e32 v58, s16, v55
	v_lshlrev_b32_e32 v53, 2, v7
	s_wait_loadcnt 0x7
	v_lshlrev_b32_e32 v7, 16, v17
	s_wait_loadcnt 0x6
	v_lshlrev_b32_e32 v66, 16, v27
	v_and_b32_e32 v27, 0xffff0000, v27
	v_lshlrev_b32_e32 v59, 2, v58
	s_wait_loadcnt 0x1
	v_lshlrev_b32_e32 v84, 16, v45
	s_wait_loadcnt 0x0
	v_lshlrev_b32_e32 v88, 16, v49
	v_lshlrev_b32_e32 v72, 16, v33
	;; [unrolled: 1-line block ×3, first 2 shown]
	v_and_b32_e32 v25, 0xffff0000, v25
	v_lshlrev_b32_e32 v62, 16, v19
	v_lshlrev_b32_e32 v57, 2, v54
	v_ashrrev_i32_e32 v54, 31, v53
	v_and_b32_e32 v19, 0xffff0000, v19
	v_lshlrev_b32_e32 v61, 16, v18
	v_and_b32_e32 v17, 0xffff0000, v17
	v_lshlrev_b32_e32 v55, 2, v56
	v_lshlrev_b64_e32 v[53:54], 1, v[53:54]
	v_ashrrev_i32_e32 v58, 31, v57
	v_ashrrev_i32_e32 v60, 31, v59
	v_lshlrev_b32_e32 v86, 16, v47
	v_ashrrev_i32_e32 v56, 31, v55
	v_lshlrev_b32_e32 v76, 16, v37
	s_wait_kmcnt 0x0
	v_add_co_u32 v53, vcc_lo, s4, v53
	s_wait_alu 0xfffd
	v_add_co_ci_u32_e64 v54, null, s5, v54, vcc_lo
	v_lshlrev_b64_e32 v[55:56], 1, v[55:56]
	v_lshlrev_b64_e32 v[57:58], 1, v[57:58]
	;; [unrolled: 1-line block ×3, first 2 shown]
	global_load_b64 v[53:54], v[53:54], off
	v_lshlrev_b32_e32 v80, 16, v41
	v_and_b32_e32 v41, 0xffff0000, v41
	v_add_co_u32 v55, vcc_lo, s4, v55
	s_wait_alu 0xfffd
	v_add_co_ci_u32_e64 v56, null, s5, v56, vcc_lo
	v_add_co_u32 v57, vcc_lo, s4, v57
	s_wait_alu 0xfffd
	v_add_co_ci_u32_e64 v58, null, s5, v58, vcc_lo
	global_load_b64 v[55:56], v[55:56], off
	v_add_co_u32 v59, vcc_lo, s4, v59
	global_load_b64 v[57:58], v[57:58], off
	s_wait_alu 0xfffd
	v_add_co_ci_u32_e64 v60, null, s5, v60, vcc_lo
	v_lshlrev_b32_e32 v70, 16, v31
	v_lshlrev_b32_e32 v68, 16, v29
	v_and_b32_e32 v49, 0xffff0000, v49
	global_load_b64 v[59:60], v[59:60], off
	v_lshlrev_b32_e32 v74, 16, v35
	v_lshlrev_b32_e32 v78, 16, v39
	;; [unrolled: 1-line block ×5, first 2 shown]
	v_and_b32_e32 v50, 0xffff0000, v50
	v_add_co_u32 v13, vcc_lo, 0x400, v13
	s_wait_alu 0xfffd
	v_add_co_ci_u32_e64 v14, null, 0, v14, vcc_lo
	v_add_co_u32 v11, vcc_lo, v11, 32
	s_wait_alu 0xfffd
	v_add_co_ci_u32_e64 v12, null, 0, v12, vcc_lo
	;; [unrolled: 3-line block ×3, first 2 shown]
	s_delay_alu instid0(VALU_DEP_3)
	v_cmp_ge_i64_e32 vcc_lo, v[11:12], v[2:3]
	s_wait_alu 0xfffe
	s_or_b32 s7, vcc_lo, s7
	s_wait_loadcnt 0x3
	v_lshlrev_b32_e32 v92, 16, v53
	v_and_b32_e32 v18, 0xffff0000, v18
	s_delay_alu instid0(VALU_DEP_2) | instskip(SKIP_2) | instid1(VALU_DEP_3)
	v_dual_fmac_f32 v8, v7, v92 :: v_dual_and_b32 v53, 0xffff0000, v53
	v_fmac_f32_e32 v23, v64, v92
	v_dual_fmac_f32 v22, v66, v92 :: v_dual_lshlrev_b32 v7, 16, v54
	v_fmac_f32_e32 v8, v17, v53
	s_delay_alu instid0(VALU_DEP_3) | instskip(NEXT) | instid1(VALU_DEP_3)
	v_dual_fmac_f32 v23, v25, v53 :: v_dual_fmac_f32 v24, v62, v92
	v_dual_fmac_f32 v22, v27, v53 :: v_dual_and_b32 v17, 0xffff0000, v54
	v_lshlrev_b32_e32 v67, 16, v28
	s_delay_alu instid0(VALU_DEP_3) | instskip(SKIP_1) | instid1(VALU_DEP_3)
	v_dual_fmac_f32 v24, v19, v53 :: v_dual_lshlrev_b32 v63, 16, v20
	v_dual_fmac_f32 v8, v61, v7 :: v_dual_lshlrev_b32 v65, 16, v26
	v_fmac_f32_e32 v22, v67, v7
	s_delay_alu instid0(VALU_DEP_3) | instskip(NEXT) | instid1(VALU_DEP_3)
	v_fmac_f32_e32 v24, v63, v7
	v_fmac_f32_e32 v8, v18, v17
	s_delay_alu instid0(VALU_DEP_4) | instskip(SKIP_3) | instid1(VALU_DEP_3)
	v_dual_fmac_f32 v23, v65, v7 :: v_dual_and_b32 v20, 0xffff0000, v20
	s_wait_loadcnt 0x2
	v_lshlrev_b32_e32 v7, 16, v55
	v_and_b32_e32 v29, 0xffff0000, v29
	v_dual_fmac_f32 v24, v20, v17 :: v_dual_lshlrev_b32 v69, 16, v30
	s_delay_alu instid0(VALU_DEP_3) | instskip(NEXT) | instid1(VALU_DEP_2)
	v_fmac_f32_e32 v8, v68, v7
	v_dual_fmac_f32 v24, v70, v7 :: v_dual_and_b32 v33, 0xffff0000, v33
	v_and_b32_e32 v26, 0xffff0000, v26
	v_lshlrev_b32_e32 v73, 16, v34
	s_delay_alu instid0(VALU_DEP_2) | instskip(NEXT) | instid1(VALU_DEP_1)
	v_dual_fmac_f32 v23, v26, v17 :: v_dual_and_b32 v28, 0xffff0000, v28
	v_dual_fmac_f32 v22, v28, v17 :: v_dual_and_b32 v17, 0xffff0000, v55
	v_and_b32_e32 v31, 0xffff0000, v31
	v_lshlrev_b32_e32 v71, 16, v32
	s_delay_alu instid0(VALU_DEP_4) | instskip(NEXT) | instid1(VALU_DEP_4)
	v_fmac_f32_e32 v23, v72, v7
	v_dual_fmac_f32 v22, v74, v7 :: v_dual_lshlrev_b32 v7, 16, v56
	v_fmac_f32_e32 v8, v29, v17
	v_fmac_f32_e32 v24, v31, v17
	s_delay_alu instid0(VALU_DEP_2) | instskip(SKIP_4) | instid1(VALU_DEP_4)
	v_dual_fmac_f32 v8, v69, v7 :: v_dual_and_b32 v37, 0xffff0000, v37
	v_and_b32_e32 v35, 0xffff0000, v35
	v_lshlrev_b32_e32 v75, 16, v36
	v_dual_fmac_f32 v23, v33, v17 :: v_dual_and_b32 v36, 0xffff0000, v36
	v_fmac_f32_e32 v24, v71, v7
	v_dual_fmac_f32 v22, v35, v17 :: v_dual_lshlrev_b32 v77, 16, v38
	v_and_b32_e32 v17, 0xffff0000, v56
	s_delay_alu instid0(VALU_DEP_4) | instskip(SKIP_1) | instid1(VALU_DEP_3)
	v_dual_fmac_f32 v23, v73, v7 :: v_dual_and_b32 v38, 0xffff0000, v38
	s_wait_loadcnt 0x1
	v_dual_fmac_f32 v22, v75, v7 :: v_dual_lshlrev_b32 v7, 16, v57
	v_lshlrev_b32_e32 v81, 16, v42
	v_and_b32_e32 v32, 0xffff0000, v32
	v_and_b32_e32 v42, 0xffff0000, v42
	;; [unrolled: 1-line block ×4, first 2 shown]
	s_delay_alu instid0(VALU_DEP_4) | instskip(SKIP_1) | instid1(VALU_DEP_4)
	v_dual_fmac_f32 v24, v32, v17 :: v_dual_and_b32 v39, 0xffff0000, v39
	v_dual_fmac_f32 v22, v36, v17 :: v_dual_lshlrev_b32 v79, 16, v40
	v_fmac_f32_e32 v23, v34, v17
	s_delay_alu instid0(VALU_DEP_4) | instskip(NEXT) | instid1(VALU_DEP_4)
	v_dual_fmac_f32 v8, v30, v17 :: v_dual_lshlrev_b32 v83, 16, v44
	v_dual_fmac_f32 v24, v78, v7 :: v_dual_and_b32 v17, 0xffff0000, v57
	s_delay_alu instid0(VALU_DEP_3) | instskip(NEXT) | instid1(VALU_DEP_3)
	v_fmac_f32_e32 v23, v80, v7
	v_fmac_f32_e32 v8, v76, v7
	v_and_b32_e32 v43, 0xffff0000, v43
	v_dual_fmac_f32 v22, v82, v7 :: v_dual_lshlrev_b32 v85, 16, v46
	v_fmac_f32_e32 v24, v39, v17
	v_and_b32_e32 v46, 0xffff0000, v46
	v_dual_fmac_f32 v8, v37, v17 :: v_dual_lshlrev_b32 v7, 16, v58
	s_delay_alu instid0(VALU_DEP_4) | instskip(SKIP_2) | instid1(VALU_DEP_4)
	v_dual_fmac_f32 v22, v43, v17 :: v_dual_and_b32 v47, 0xffff0000, v47
	v_dual_fmac_f32 v23, v41, v17 :: v_dual_and_b32 v40, 0xffff0000, v40
	v_and_b32_e32 v44, 0xffff0000, v44
	v_dual_fmac_f32 v8, v77, v7 :: v_dual_and_b32 v45, 0xffff0000, v45
	v_dual_fmac_f32 v24, v79, v7 :: v_dual_lshlrev_b32 v87, 16, v48
	v_and_b32_e32 v17, 0xffff0000, v58
	v_fmac_f32_e32 v23, v81, v7
	v_fmac_f32_e32 v22, v83, v7
	v_and_b32_e32 v48, 0xffff0000, v48
	s_delay_alu instid0(VALU_DEP_4) | instskip(NEXT) | instid1(VALU_DEP_3)
	v_dual_fmac_f32 v24, v40, v17 :: v_dual_and_b32 v51, 0xffff0000, v51
	v_dual_fmac_f32 v22, v44, v17 :: v_dual_lshlrev_b32 v91, 16, v52
	s_wait_loadcnt 0x0
	v_dual_fmac_f32 v8, v38, v17 :: v_dual_lshlrev_b32 v7, 16, v59
	v_fmac_f32_e32 v23, v42, v17
	v_and_b32_e32 v17, 0xffff0000, v59
	v_and_b32_e32 v52, 0xffff0000, v52
	s_delay_alu instid0(VALU_DEP_4) | instskip(SKIP_3) | instid1(VALU_DEP_4)
	v_fmac_f32_e32 v24, v86, v7
	v_fmac_f32_e32 v8, v84, v7
	;; [unrolled: 1-line block ×5, first 2 shown]
	s_delay_alu instid0(VALU_DEP_4) | instskip(NEXT) | instid1(VALU_DEP_4)
	v_fmac_f32_e32 v8, v45, v17
	v_fmac_f32_e32 v23, v49, v17
	s_delay_alu instid0(VALU_DEP_4) | instskip(SKIP_1) | instid1(VALU_DEP_1)
	v_dual_fmac_f32 v22, v51, v17 :: v_dual_and_b32 v17, 0xffff0000, v60
	v_lshlrev_b32_e32 v7, 16, v60
	v_fmac_f32_e32 v22, v91, v7
	s_delay_alu instid0(VALU_DEP_1) | instskip(SKIP_2) | instid1(VALU_DEP_2)
	v_fmac_f32_e32 v22, v52, v17
	v_fmac_f32_e32 v8, v85, v7
	;; [unrolled: 1-line block ×3, first 2 shown]
	v_dual_fmac_f32 v23, v89, v7 :: v_dual_fmac_f32 v8, v46, v17
	s_delay_alu instid0(VALU_DEP_2) | instskip(NEXT) | instid1(VALU_DEP_2)
	v_fmac_f32_e32 v24, v48, v17
	v_fmac_f32_e32 v23, v50, v17
	s_wait_alu 0xfffe
	s_and_not1_b32 exec_lo, exec_lo, s7
	s_cbranch_execnz .LBB111_21
; %bb.22:
	s_or_b32 exec_lo, exec_lo, s7
.LBB111_23:
	s_wait_alu 0xfffe
	s_or_b32 exec_lo, exec_lo, s6
.LBB111_24:
	s_wait_alu 0xfffe
	s_or_b32 exec_lo, exec_lo, s3
	s_cbranch_execz .LBB111_26
	s_branch .LBB111_37
.LBB111_25:
                                        ; implicit-def: $vgpr22
                                        ; implicit-def: $vgpr23
                                        ; implicit-def: $vgpr24
                                        ; implicit-def: $vgpr8
.LBB111_26:
	v_dual_mov_b32 v22, 0 :: v_dual_mov_b32 v23, 0
	v_mov_b32_e32 v24, 0
	v_mov_b32_e32 v8, 0
	s_and_saveexec_b32 s3, s2
	s_cbranch_execz .LBB111_36
; %bb.27:
	v_or_b32_e32 v7, 8, v21
	s_delay_alu instid0(VALU_DEP_1) | instskip(SKIP_3) | instid1(VALU_DEP_3)
	v_sub_co_u32 v7, s2, v7, s16
	s_wait_alu 0xf1ff
	v_sub_co_ci_u32_e64 v8, null, 0, 0, s2
	v_sub_co_u32 v11, s2, s16, v21
	v_add_co_u32 v7, vcc_lo, v7, v9
	s_wait_alu 0xfffd
	s_delay_alu instid0(VALU_DEP_3)
	v_add_co_ci_u32_e64 v8, null, v8, v10, vcc_lo
	v_not_b32_e32 v9, v9
	v_not_b32_e32 v10, v10
	s_wait_alu 0xf1ff
	v_sub_co_ci_u32_e64 v12, null, 0, 0, s2
	v_cmp_gt_i64_e32 vcc_lo, v[7:8], v[2:3]
	s_mov_b32 s2, exec_lo
	s_wait_alu 0xfffd
	v_cndmask_b32_e32 v13, v3, v8, vcc_lo
	v_cndmask_b32_e32 v7, v2, v7, vcc_lo
	v_add_co_u32 v8, vcc_lo, v11, v9
	s_wait_alu 0xfffd
	v_add_co_ci_u32_e64 v10, null, v12, v10, vcc_lo
	s_delay_alu instid0(VALU_DEP_2) | instskip(SKIP_2) | instid1(VALU_DEP_3)
	v_add_co_u32 v9, vcc_lo, v8, v7
	v_mov_b32_e32 v8, 0
	s_wait_alu 0xfffd
	v_add_co_ci_u32_e64 v10, null, v10, v13, vcc_lo
	s_delay_alu instid0(VALU_DEP_2) | instskip(SKIP_1) | instid1(VALU_DEP_2)
	v_dual_mov_b32 v22, v8 :: v_dual_and_b32 v7, 24, v9
	v_dual_mov_b32 v24, v8 :: v_dual_mov_b32 v23, v8
	v_cmpx_ne_u64_e32 24, v[7:8]
	s_cbranch_execz .LBB111_31
; %bb.28:
	v_lshrrev_b32_e32 v7, 3, v9
	v_dual_mov_b32 v23, 0 :: v_dual_mov_b32 v24, 0
	s_delay_alu instid0(VALU_DEP_2) | instskip(SKIP_1) | instid1(VALU_DEP_2)
	v_dual_mov_b32 v22, 0 :: v_dual_add_nc_u32 v11, 1, v7
	v_lshlrev_b64_e32 v[7:8], 2, v[0:1]
	v_and_b32_e32 v13, 3, v11
	s_delay_alu instid0(VALU_DEP_2) | instskip(SKIP_1) | instid1(VALU_DEP_3)
	v_add_co_u32 v11, vcc_lo, s8, v7
	s_wait_alu 0xfffd
	v_add_co_ci_u32_e64 v12, null, s9, v8, vcc_lo
	v_mov_b32_e32 v8, 0
	v_sub_co_u32 v13, s6, 0, v13
	s_wait_alu 0xf1ff
	v_sub_co_ci_u32_e64 v14, null, 0, 0, s6
	s_mov_b32 s6, 0
.LBB111_29:                             ; =>This Inner Loop Header: Depth=1
	global_load_b32 v7, v[11:12], off
	global_load_b128 v[15:18], v[5:6], off
	s_wait_loadcnt 0x1
	v_subrev_nc_u32_e32 v7, s16, v7
	s_delay_alu instid0(VALU_DEP_1) | instskip(NEXT) | instid1(VALU_DEP_1)
	v_lshlrev_b32_e32 v19, 2, v7
	v_ashrrev_i32_e32 v20, 31, v19
	s_delay_alu instid0(VALU_DEP_1) | instskip(SKIP_1) | instid1(VALU_DEP_1)
	v_lshlrev_b64_e32 v[19:20], 1, v[19:20]
	s_wait_kmcnt 0x0
	v_add_co_u32 v19, vcc_lo, s4, v19
	s_wait_alu 0xfffd
	s_delay_alu instid0(VALU_DEP_2)
	v_add_co_ci_u32_e64 v20, null, s5, v20, vcc_lo
	global_load_b64 v[19:20], v[19:20], off
	global_load_b128 v[25:28], v[5:6], off offset:16
	v_add_co_u32 v5, vcc_lo, 0x100, v5
	s_wait_alu 0xfffd
	v_add_co_ci_u32_e64 v6, null, 0, v6, vcc_lo
	v_add_co_u32 v0, vcc_lo, v0, 8
	s_wait_alu 0xfffd
	v_add_co_ci_u32_e64 v1, null, 0, v1, vcc_lo
	;; [unrolled: 3-line block ×4, first 2 shown]
	s_delay_alu instid0(VALU_DEP_1)
	v_cmp_eq_u64_e32 vcc_lo, 0, v[13:14]
	s_wait_alu 0xfffe
	s_or_b32 s6, vcc_lo, s6
	s_wait_loadcnt 0x1
	v_lshlrev_b32_e32 v36, 16, v19
	v_lshlrev_b32_e32 v7, 16, v15
	;; [unrolled: 1-line block ×3, first 2 shown]
	v_and_b32_e32 v19, 0xffff0000, v19
	v_lshlrev_b32_e32 v29, 16, v16
	v_lshlrev_b32_e32 v31, 16, v18
	v_and_b32_e32 v16, 0xffff0000, v16
	v_and_b32_e32 v15, 0xffff0000, v15
	s_wait_loadcnt 0x0
	v_lshlrev_b32_e32 v34, 16, v27
	s_delay_alu instid0(VALU_DEP_3) | instskip(NEXT) | instid1(VALU_DEP_3)
	v_dual_fmac_f32 v22, v16, v36 :: v_dual_and_b32 v27, 0xffff0000, v27
	v_fmac_f32_e32 v24, v15, v36
	v_fmac_f32_e32 v8, v7, v36
	v_and_b32_e32 v15, 0xffff0000, v20
	v_lshlrev_b32_e32 v7, 16, v20
	v_lshlrev_b32_e32 v33, 16, v26
	v_and_b32_e32 v18, 0xffff0000, v18
	v_dual_fmac_f32 v8, v30, v19 :: v_dual_and_b32 v17, 0xffff0000, v17
	v_dual_fmac_f32 v23, v29, v36 :: v_dual_and_b32 v26, 0xffff0000, v26
	s_delay_alu instid0(VALU_DEP_3) | instskip(NEXT) | instid1(VALU_DEP_3)
	v_fmac_f32_e32 v22, v18, v19
	v_dual_fmac_f32 v24, v17, v19 :: v_dual_lshlrev_b32 v35, 16, v28
	s_delay_alu instid0(VALU_DEP_3) | instskip(NEXT) | instid1(VALU_DEP_3)
	v_dual_fmac_f32 v23, v31, v19 :: v_dual_and_b32 v28, 0xffff0000, v28
	v_fmac_f32_e32 v22, v26, v7
	s_delay_alu instid0(VALU_DEP_2) | instskip(NEXT) | instid1(VALU_DEP_2)
	v_dual_fmac_f32 v23, v33, v7 :: v_dual_lshlrev_b32 v32, 16, v25
	v_fmac_f32_e32 v22, v28, v15
	s_delay_alu instid0(VALU_DEP_2) | instskip(NEXT) | instid1(VALU_DEP_3)
	v_fmac_f32_e32 v23, v35, v15
	v_dual_fmac_f32 v8, v32, v7 :: v_dual_and_b32 v25, 0xffff0000, v25
	s_delay_alu instid0(VALU_DEP_1) | instskip(NEXT) | instid1(VALU_DEP_2)
	v_fmac_f32_e32 v8, v34, v15
	v_fmac_f32_e32 v24, v25, v7
	s_delay_alu instid0(VALU_DEP_1)
	v_fmac_f32_e32 v24, v27, v15
	s_wait_alu 0xfffe
	s_and_not1_b32 exec_lo, exec_lo, s6
	s_cbranch_execnz .LBB111_29
; %bb.30:
	s_or_b32 exec_lo, exec_lo, s6
.LBB111_31:
	s_wait_alu 0xfffe
	s_or_b32 exec_lo, exec_lo, s2
	s_delay_alu instid0(SALU_CYCLE_1)
	s_mov_b32 s2, exec_lo
	v_cmpx_lt_u64_e32 23, v[9:10]
	s_cbranch_execz .LBB111_35
; %bb.32:
	v_lshlrev_b64_e32 v[9:10], 2, v[0:1]
	s_mov_b32 s6, 0
	s_delay_alu instid0(VALU_DEP_1) | instskip(SKIP_1) | instid1(VALU_DEP_2)
	v_add_co_u32 v7, vcc_lo, s8, v9
	s_wait_alu 0xfffd
	v_add_co_ci_u32_e64 v10, null, s9, v10, vcc_lo
	s_delay_alu instid0(VALU_DEP_2) | instskip(SKIP_1) | instid1(VALU_DEP_2)
	v_add_co_u32 v9, vcc_lo, v7, 64
	s_wait_alu 0xfffd
	v_add_co_ci_u32_e64 v10, null, 0, v10, vcc_lo
.LBB111_33:                             ; =>This Inner Loop Header: Depth=1
	s_clause 0x3
	global_load_b32 v7, v[9:10], off offset:-64
	global_load_b32 v19, v[9:10], off offset:-32
	global_load_b32 v20, v[9:10], off
	global_load_b32 v45, v[9:10], off offset:32
	s_clause 0x6
	global_load_b128 v[11:14], v[5:6], off
	global_load_b128 v[15:18], v[5:6], off offset:16
	global_load_b128 v[25:28], v[5:6], off offset:256
	;; [unrolled: 1-line block ×6, first 2 shown]
	s_wait_loadcnt 0xa
	v_subrev_nc_u32_e32 v7, s16, v7
	s_wait_loadcnt 0x9
	v_subrev_nc_u32_e32 v46, s16, v19
	;; [unrolled: 2-line block ×4, first 2 shown]
	v_lshlrev_b32_e32 v19, 2, v7
	s_wait_loadcnt 0x5
	v_lshlrev_b32_e32 v58, 16, v15
	v_lshlrev_b32_e32 v57, 16, v14
	;; [unrolled: 1-line block ×5, first 2 shown]
	v_and_b32_e32 v11, 0xffff0000, v11
	v_lshlrev_b32_e32 v47, 2, v20
	v_ashrrev_i32_e32 v20, 31, v19
	v_and_b32_e32 v15, 0xffff0000, v15
	v_lshlrev_b32_e32 v59, 16, v16
	v_and_b32_e32 v14, 0xffff0000, v14
	v_and_b32_e32 v13, 0xffff0000, v13
	v_lshlrev_b32_e32 v55, 16, v12
	v_and_b32_e32 v12, 0xffff0000, v12
	v_lshlrev_b32_e32 v49, 2, v48
	v_ashrrev_i32_e32 v46, 31, v45
	v_ashrrev_i32_e32 v48, 31, v47
	v_lshlrev_b64_e32 v[19:20], 1, v[19:20]
	s_wait_loadcnt 0x2
	v_lshlrev_b32_e32 v72, 16, v35
	v_ashrrev_i32_e32 v50, 31, v49
	v_lshlrev_b64_e32 v[45:46], 1, v[45:46]
	v_lshlrev_b64_e32 v[47:48], 1, v[47:48]
	v_and_b32_e32 v35, 0xffff0000, v35
	s_wait_kmcnt 0x0
	v_add_co_u32 v19, vcc_lo, s4, v19
	v_lshlrev_b64_e32 v[49:50], 1, v[49:50]
	s_wait_alu 0xfffd
	v_add_co_ci_u32_e64 v20, null, s5, v20, vcc_lo
	v_add_co_u32 v45, vcc_lo, s4, v45
	s_wait_alu 0xfffd
	v_add_co_ci_u32_e64 v46, null, s5, v46, vcc_lo
	v_add_co_u32 v47, vcc_lo, s4, v47
	s_wait_alu 0xfffd
	v_add_co_ci_u32_e64 v48, null, s5, v48, vcc_lo
	v_add_co_u32 v49, vcc_lo, s4, v49
	s_wait_alu 0xfffd
	v_add_co_ci_u32_e64 v50, null, s5, v50, vcc_lo
	s_clause 0x3
	global_load_b64 v[19:20], v[19:20], off
	global_load_b64 v[51:52], v[45:46], off
	;; [unrolled: 1-line block ×4, first 2 shown]
	global_load_b128 v[45:48], v[5:6], off offset:784
	v_lshlrev_b32_e32 v64, 16, v27
	v_and_b32_e32 v27, 0xffff0000, v27
	v_lshlrev_b32_e32 v68, 16, v31
	v_and_b32_e32 v31, 0xffff0000, v31
	s_wait_loadcnt 0x6
	v_lshlrev_b32_e32 v76, 16, v39
	s_wait_loadcnt 0x5
	v_lshlrev_b32_e32 v78, 16, v41
	v_and_b32_e32 v39, 0xffff0000, v39
	v_lshlrev_b32_e32 v80, 16, v43
	v_and_b32_e32 v43, 0xffff0000, v43
	v_add_co_u32 v5, vcc_lo, 0x400, v5
	s_wait_alu 0xfffd
	v_add_co_ci_u32_e64 v6, null, 0, v6, vcc_lo
	v_add_co_u32 v0, vcc_lo, v0, 32
	s_wait_alu 0xfffd
	v_add_co_ci_u32_e64 v1, null, 0, v1, vcc_lo
	;; [unrolled: 3-line block ×3, first 2 shown]
	s_delay_alu instid0(VALU_DEP_3)
	v_cmp_ge_i64_e32 vcc_lo, v[0:1], v[2:3]
	s_wait_alu 0xfffe
	s_or_b32 s6, vcc_lo, s6
	s_wait_loadcnt 0x4
	v_lshlrev_b32_e32 v86, 16, v19
	v_and_b32_e32 v19, 0xffff0000, v19
	s_wait_loadcnt 0x0
	s_delay_alu instid0(VALU_DEP_2) | instskip(SKIP_2) | instid1(VALU_DEP_3)
	v_dual_fmac_f32 v24, v11, v86 :: v_dual_lshlrev_b32 v85, 16, v48
	v_dual_fmac_f32 v8, v7, v86 :: v_dual_lshlrev_b32 v7, 16, v20
	v_lshlrev_b32_e32 v74, 16, v37
	v_dual_fmac_f32 v24, v13, v19 :: v_dual_and_b32 v11, 0xffff0000, v20
	v_fmac_f32_e32 v23, v55, v86
	v_fmac_f32_e32 v22, v12, v86
	v_lshlrev_b32_e32 v82, 16, v45
	v_lshlrev_b32_e32 v84, 16, v47
	v_fmac_f32_e32 v24, v15, v7
	v_fmac_f32_e32 v23, v57, v19
	v_dual_fmac_f32 v8, v56, v19 :: v_dual_lshlrev_b32 v63, 16, v26
	v_and_b32_e32 v47, 0xffff0000, v47
	s_delay_alu instid0(VALU_DEP_3) | instskip(SKIP_3) | instid1(VALU_DEP_3)
	v_dual_fmac_f32 v23, v59, v7 :: v_dual_and_b32 v48, 0xffff0000, v48
	v_dual_fmac_f32 v22, v14, v19 :: v_dual_lshlrev_b32 v61, 16, v18
	v_and_b32_e32 v16, 0xffff0000, v16
	v_fmac_f32_e32 v8, v58, v7
	v_fmac_f32_e32 v23, v61, v11
	s_delay_alu instid0(VALU_DEP_3) | instskip(SKIP_3) | instid1(VALU_DEP_3)
	v_fmac_f32_e32 v22, v16, v7
	v_lshlrev_b32_e32 v7, 16, v51
	v_lshlrev_b32_e32 v60, 16, v17
	;; [unrolled: 1-line block ×3, first 2 shown]
	v_fmac_f32_e32 v23, v63, v7
	s_delay_alu instid0(VALU_DEP_3) | instskip(SKIP_1) | instid1(VALU_DEP_2)
	v_dual_fmac_f32 v8, v60, v11 :: v_dual_and_b32 v17, 0xffff0000, v17
	v_and_b32_e32 v18, 0xffff0000, v18
	v_fmac_f32_e32 v24, v17, v11
	s_delay_alu instid0(VALU_DEP_2) | instskip(SKIP_4) | instid1(VALU_DEP_4)
	v_fmac_f32_e32 v22, v18, v11
	v_and_b32_e32 v11, 0xffff0000, v51
	v_lshlrev_b32_e32 v69, 16, v32
	v_and_b32_e32 v26, 0xffff0000, v26
	v_lshlrev_b32_e32 v67, 16, v30
	v_fmac_f32_e32 v23, v65, v11
	s_delay_alu instid0(VALU_DEP_3) | instskip(SKIP_4) | instid1(VALU_DEP_4)
	v_fmac_f32_e32 v22, v26, v7
	v_lshlrev_b32_e32 v62, 16, v25
	v_and_b32_e32 v25, 0xffff0000, v25
	v_lshlrev_b32_e32 v71, 16, v34
	v_and_b32_e32 v28, 0xffff0000, v28
	v_fmac_f32_e32 v8, v62, v7
	s_delay_alu instid0(VALU_DEP_4) | instskip(NEXT) | instid1(VALU_DEP_3)
	v_dual_fmac_f32 v24, v25, v7 :: v_dual_lshlrev_b32 v7, 16, v52
	v_dual_fmac_f32 v22, v28, v11 :: v_dual_lshlrev_b32 v75, 16, v38
	v_and_b32_e32 v30, 0xffff0000, v30
	s_delay_alu instid0(VALU_DEP_4) | instskip(SKIP_2) | instid1(VALU_DEP_4)
	v_dual_fmac_f32 v8, v64, v11 :: v_dual_lshlrev_b32 v73, 16, v36
	v_lshlrev_b32_e32 v66, 16, v29
	v_dual_fmac_f32 v24, v27, v11 :: v_dual_and_b32 v29, 0xffff0000, v29
	v_dual_fmac_f32 v22, v30, v7 :: v_dual_lshlrev_b32 v79, 16, v42
	v_lshlrev_b32_e32 v70, 16, v33
	v_and_b32_e32 v33, 0xffff0000, v33
	s_delay_alu instid0(VALU_DEP_4) | instskip(SKIP_4) | instid1(VALU_DEP_4)
	v_dual_fmac_f32 v24, v29, v7 :: v_dual_and_b32 v37, 0xffff0000, v37
	v_dual_fmac_f32 v8, v66, v7 :: v_dual_and_b32 v11, 0xffff0000, v52
	v_lshlrev_b32_e32 v77, 16, v40
	v_fmac_f32_e32 v23, v67, v7
	v_lshlrev_b32_e32 v7, 16, v53
	v_dual_fmac_f32 v24, v31, v11 :: v_dual_and_b32 v41, 0xffff0000, v41
	v_fmac_f32_e32 v8, v68, v11
	v_and_b32_e32 v32, 0xffff0000, v32
	v_lshlrev_b32_e32 v81, 16, v44
	v_dual_fmac_f32 v23, v69, v11 :: v_dual_and_b32 v38, 0xffff0000, v38
	s_delay_alu instid0(VALU_DEP_4) | instskip(SKIP_4) | instid1(VALU_DEP_3)
	v_fmac_f32_e32 v8, v70, v7
	v_and_b32_e32 v34, 0xffff0000, v34
	v_dual_fmac_f32 v22, v32, v11 :: v_dual_and_b32 v45, 0xffff0000, v45
	v_dual_fmac_f32 v24, v33, v7 :: v_dual_lshlrev_b32 v83, 16, v46
	v_fmac_f32_e32 v23, v71, v7
	v_fmac_f32_e32 v22, v34, v7
	v_and_b32_e32 v36, 0xffff0000, v36
	v_lshlrev_b32_e32 v7, 16, v54
	v_and_b32_e32 v11, 0xffff0000, v53
	v_and_b32_e32 v40, 0xffff0000, v40
	;; [unrolled: 1-line block ×5, first 2 shown]
	v_fmac_f32_e32 v22, v36, v11
	s_delay_alu instid0(VALU_DEP_1) | instskip(SKIP_3) | instid1(VALU_DEP_3)
	v_fmac_f32_e32 v22, v38, v7
	v_fmac_f32_e32 v24, v35, v11
	;; [unrolled: 1-line block ×4, first 2 shown]
	v_dual_fmac_f32 v24, v37, v7 :: v_dual_and_b32 v11, 0xffff0000, v54
	s_delay_alu instid0(VALU_DEP_1) | instskip(NEXT) | instid1(VALU_DEP_4)
	v_fmac_f32_e32 v24, v39, v11
	v_fmac_f32_e32 v8, v74, v7
	s_delay_alu instid0(VALU_DEP_4) | instskip(NEXT) | instid1(VALU_DEP_2)
	v_fmac_f32_e32 v23, v75, v7
	v_dual_fmac_f32 v8, v76, v11 :: v_dual_lshlrev_b32 v7, 16, v49
	s_delay_alu instid0(VALU_DEP_1) | instskip(NEXT) | instid1(VALU_DEP_3)
	v_fmac_f32_e32 v8, v78, v7
	v_fmac_f32_e32 v23, v77, v11
	v_dual_fmac_f32 v22, v40, v11 :: v_dual_and_b32 v11, 0xffff0000, v49
	v_fmac_f32_e32 v24, v41, v7
	s_delay_alu instid0(VALU_DEP_3) | instskip(NEXT) | instid1(VALU_DEP_3)
	v_fmac_f32_e32 v23, v79, v7
	v_dual_fmac_f32 v22, v42, v7 :: v_dual_lshlrev_b32 v7, 16, v50
	s_delay_alu instid0(VALU_DEP_4) | instskip(NEXT) | instid1(VALU_DEP_4)
	v_fmac_f32_e32 v8, v80, v11
	v_fmac_f32_e32 v24, v43, v11
	s_delay_alu instid0(VALU_DEP_4) | instskip(NEXT) | instid1(VALU_DEP_4)
	v_fmac_f32_e32 v23, v81, v11
	v_dual_fmac_f32 v22, v44, v11 :: v_dual_and_b32 v11, 0xffff0000, v50
	s_delay_alu instid0(VALU_DEP_4) | instskip(NEXT) | instid1(VALU_DEP_4)
	v_fmac_f32_e32 v8, v82, v7
	v_fmac_f32_e32 v24, v45, v7
	s_delay_alu instid0(VALU_DEP_4) | instskip(NEXT) | instid1(VALU_DEP_4)
	v_fmac_f32_e32 v23, v83, v7
	v_fmac_f32_e32 v22, v46, v7
	;; [unrolled: 3-line block ×4, first 2 shown]
	s_wait_alu 0xfffe
	s_and_not1_b32 exec_lo, exec_lo, s6
	s_cbranch_execnz .LBB111_33
; %bb.34:
	s_or_b32 exec_lo, exec_lo, s6
.LBB111_35:
	s_wait_alu 0xfffe
	s_or_b32 exec_lo, exec_lo, s2
.LBB111_36:
	s_wait_alu 0xfffe
	s_or_b32 exec_lo, exec_lo, s3
.LBB111_37:
	v_mbcnt_lo_u32_b32 v0, -1, 0
	s_mov_b32 s2, -1
	s_delay_alu instid0(VALU_DEP_1) | instskip(SKIP_2) | instid1(VALU_DEP_3)
	v_xor_b32_e32 v1, 4, v0
	v_xor_b32_e32 v6, 2, v0
	;; [unrolled: 1-line block ×3, first 2 shown]
	v_cmp_gt_i32_e32 vcc_lo, 32, v1
	s_wait_alu 0xfffd
	v_cndmask_b32_e32 v1, v0, v1, vcc_lo
	v_cmp_gt_i32_e32 vcc_lo, 32, v6
	s_wait_alu 0xfffd
	v_cndmask_b32_e32 v6, v0, v6, vcc_lo
	v_cmp_gt_i32_e32 vcc_lo, 32, v10
	s_delay_alu instid0(VALU_DEP_2)
	v_lshlrev_b32_e32 v6, 2, v6
	s_wait_alu 0xfffd
	v_dual_cndmask_b32 v0, v0, v10 :: v_dual_lshlrev_b32 v1, 2, v1
	v_cmp_eq_u32_e32 vcc_lo, 7, v21
	ds_bpermute_b32 v2, v1, v8
	v_lshlrev_b32_e32 v10, 2, v0
	s_wait_dscnt 0x0
	v_add_f32_e32 v2, v8, v2
	ds_bpermute_b32 v3, v1, v24
	ds_bpermute_b32 v5, v1, v23
	;; [unrolled: 1-line block ×3, first 2 shown]
	s_wait_dscnt 0x2
	v_add_f32_e32 v3, v24, v3
	s_wait_dscnt 0x1
	v_add_f32_e32 v5, v23, v5
	;; [unrolled: 2-line block ×3, first 2 shown]
	ds_bpermute_b32 v1, v6, v2
	ds_bpermute_b32 v8, v6, v3
	;; [unrolled: 1-line block ×4, first 2 shown]
	s_wait_dscnt 0x2
	v_dual_add_f32 v0, v2, v1 :: v_dual_add_f32 v1, v3, v8
	s_wait_dscnt 0x0
	v_dual_add_f32 v2, v5, v9 :: v_dual_add_f32 v3, v7, v6
	ds_bpermute_b32 v5, v10, v0
	ds_bpermute_b32 v6, v10, v1
	ds_bpermute_b32 v7, v10, v2
	ds_bpermute_b32 v8, v10, v3
	s_and_b32 exec_lo, exec_lo, vcc_lo
	s_cbranch_execz .LBB111_10
; %bb.38:
	s_load_b64 s[0:1], s[0:1], 0x50
	s_wait_dscnt 0x2
	v_dual_add_f32 v0, v0, v5 :: v_dual_add_f32 v1, v1, v6
	s_wait_dscnt 0x0
	v_dual_add_f32 v2, v2, v7 :: v_dual_add_f32 v3, v3, v8
	v_lshlrev_b32_e32 v4, 2, v4
	s_delay_alu instid0(VALU_DEP_3) | instskip(NEXT) | instid1(VALU_DEP_3)
	v_dual_mul_f32 v0, s14, v0 :: v_dual_mul_f32 v1, s14, v1
	v_dual_mul_f32 v2, s14, v2 :: v_dual_mul_f32 v3, s14, v3
	s_cmp_eq_f32 s12, 0
	s_cbranch_scc0 .LBB111_40
; %bb.39:
	v_ashrrev_i32_e32 v5, 31, v4
	s_mov_b32 s2, 0
	s_delay_alu instid0(VALU_DEP_1) | instskip(SKIP_1) | instid1(VALU_DEP_1)
	v_lshlrev_b64_e32 v[5:6], 2, v[4:5]
	s_wait_kmcnt 0x0
	v_add_co_u32 v5, vcc_lo, s0, v5
	s_wait_alu 0xfffd
	s_delay_alu instid0(VALU_DEP_2)
	v_add_co_ci_u32_e64 v6, null, s1, v6, vcc_lo
	global_store_b128 v[5:6], v[0:3], off
.LBB111_40:
	s_wait_alu 0xfffe
	s_and_not1_b32 vcc_lo, exec_lo, s2
	s_wait_alu 0xfffe
	s_cbranch_vccnz .LBB111_10
; %bb.41:
	v_ashrrev_i32_e32 v5, 31, v4
	s_delay_alu instid0(VALU_DEP_1) | instskip(SKIP_1) | instid1(VALU_DEP_1)
	v_lshlrev_b64_e32 v[4:5], 2, v[4:5]
	s_wait_kmcnt 0x0
	v_add_co_u32 v8, vcc_lo, s0, v4
	s_wait_alu 0xfffd
	s_delay_alu instid0(VALU_DEP_2)
	v_add_co_ci_u32_e64 v9, null, s1, v5, vcc_lo
	global_load_b128 v[4:7], v[8:9], off
	s_wait_loadcnt 0x0
	v_dual_fmac_f32 v0, s12, v4 :: v_dual_fmac_f32 v1, s12, v5
	v_dual_fmac_f32 v2, s12, v6 :: v_dual_fmac_f32 v3, s12, v7
	global_store_b128 v[8:9], v[0:3], off
	s_endpgm
	.section	.rodata,"a",@progbits
	.p2align	6, 0x0
	.amdhsa_kernel _ZN9rocsparseL18bsrxmvn_4x4_kernelILj128ELj8Efli18rocsparse_bfloat16S1_fEEvT3_20rocsparse_direction_NS_24const_host_device_scalarIT1_EES2_PKS2_PKT2_SB_S8_PKT4_PKT5_S6_PT6_21rocsparse_index_base_b
		.amdhsa_group_segment_fixed_size 0
		.amdhsa_private_segment_fixed_size 0
		.amdhsa_kernarg_size 96
		.amdhsa_user_sgpr_count 2
		.amdhsa_user_sgpr_dispatch_ptr 0
		.amdhsa_user_sgpr_queue_ptr 0
		.amdhsa_user_sgpr_kernarg_segment_ptr 1
		.amdhsa_user_sgpr_dispatch_id 0
		.amdhsa_user_sgpr_private_segment_size 0
		.amdhsa_wavefront_size32 1
		.amdhsa_uses_dynamic_stack 0
		.amdhsa_enable_private_segment 0
		.amdhsa_system_sgpr_workgroup_id_x 1
		.amdhsa_system_sgpr_workgroup_id_y 0
		.amdhsa_system_sgpr_workgroup_id_z 0
		.amdhsa_system_sgpr_workgroup_info 0
		.amdhsa_system_vgpr_workitem_id 0
		.amdhsa_next_free_vgpr 93
		.amdhsa_next_free_sgpr 18
		.amdhsa_reserve_vcc 1
		.amdhsa_float_round_mode_32 0
		.amdhsa_float_round_mode_16_64 0
		.amdhsa_float_denorm_mode_32 3
		.amdhsa_float_denorm_mode_16_64 3
		.amdhsa_fp16_overflow 0
		.amdhsa_workgroup_processor_mode 1
		.amdhsa_memory_ordered 1
		.amdhsa_forward_progress 1
		.amdhsa_inst_pref_size 42
		.amdhsa_round_robin_scheduling 0
		.amdhsa_exception_fp_ieee_invalid_op 0
		.amdhsa_exception_fp_denorm_src 0
		.amdhsa_exception_fp_ieee_div_zero 0
		.amdhsa_exception_fp_ieee_overflow 0
		.amdhsa_exception_fp_ieee_underflow 0
		.amdhsa_exception_fp_ieee_inexact 0
		.amdhsa_exception_int_div_zero 0
	.end_amdhsa_kernel
	.section	.text._ZN9rocsparseL18bsrxmvn_4x4_kernelILj128ELj8Efli18rocsparse_bfloat16S1_fEEvT3_20rocsparse_direction_NS_24const_host_device_scalarIT1_EES2_PKS2_PKT2_SB_S8_PKT4_PKT5_S6_PT6_21rocsparse_index_base_b,"axG",@progbits,_ZN9rocsparseL18bsrxmvn_4x4_kernelILj128ELj8Efli18rocsparse_bfloat16S1_fEEvT3_20rocsparse_direction_NS_24const_host_device_scalarIT1_EES2_PKS2_PKT2_SB_S8_PKT4_PKT5_S6_PT6_21rocsparse_index_base_b,comdat
.Lfunc_end111:
	.size	_ZN9rocsparseL18bsrxmvn_4x4_kernelILj128ELj8Efli18rocsparse_bfloat16S1_fEEvT3_20rocsparse_direction_NS_24const_host_device_scalarIT1_EES2_PKS2_PKT2_SB_S8_PKT4_PKT5_S6_PT6_21rocsparse_index_base_b, .Lfunc_end111-_ZN9rocsparseL18bsrxmvn_4x4_kernelILj128ELj8Efli18rocsparse_bfloat16S1_fEEvT3_20rocsparse_direction_NS_24const_host_device_scalarIT1_EES2_PKS2_PKT2_SB_S8_PKT4_PKT5_S6_PT6_21rocsparse_index_base_b
                                        ; -- End function
	.set _ZN9rocsparseL18bsrxmvn_4x4_kernelILj128ELj8Efli18rocsparse_bfloat16S1_fEEvT3_20rocsparse_direction_NS_24const_host_device_scalarIT1_EES2_PKS2_PKT2_SB_S8_PKT4_PKT5_S6_PT6_21rocsparse_index_base_b.num_vgpr, 93
	.set _ZN9rocsparseL18bsrxmvn_4x4_kernelILj128ELj8Efli18rocsparse_bfloat16S1_fEEvT3_20rocsparse_direction_NS_24const_host_device_scalarIT1_EES2_PKS2_PKT2_SB_S8_PKT4_PKT5_S6_PT6_21rocsparse_index_base_b.num_agpr, 0
	.set _ZN9rocsparseL18bsrxmvn_4x4_kernelILj128ELj8Efli18rocsparse_bfloat16S1_fEEvT3_20rocsparse_direction_NS_24const_host_device_scalarIT1_EES2_PKS2_PKT2_SB_S8_PKT4_PKT5_S6_PT6_21rocsparse_index_base_b.numbered_sgpr, 18
	.set _ZN9rocsparseL18bsrxmvn_4x4_kernelILj128ELj8Efli18rocsparse_bfloat16S1_fEEvT3_20rocsparse_direction_NS_24const_host_device_scalarIT1_EES2_PKS2_PKT2_SB_S8_PKT4_PKT5_S6_PT6_21rocsparse_index_base_b.num_named_barrier, 0
	.set _ZN9rocsparseL18bsrxmvn_4x4_kernelILj128ELj8Efli18rocsparse_bfloat16S1_fEEvT3_20rocsparse_direction_NS_24const_host_device_scalarIT1_EES2_PKS2_PKT2_SB_S8_PKT4_PKT5_S6_PT6_21rocsparse_index_base_b.private_seg_size, 0
	.set _ZN9rocsparseL18bsrxmvn_4x4_kernelILj128ELj8Efli18rocsparse_bfloat16S1_fEEvT3_20rocsparse_direction_NS_24const_host_device_scalarIT1_EES2_PKS2_PKT2_SB_S8_PKT4_PKT5_S6_PT6_21rocsparse_index_base_b.uses_vcc, 1
	.set _ZN9rocsparseL18bsrxmvn_4x4_kernelILj128ELj8Efli18rocsparse_bfloat16S1_fEEvT3_20rocsparse_direction_NS_24const_host_device_scalarIT1_EES2_PKS2_PKT2_SB_S8_PKT4_PKT5_S6_PT6_21rocsparse_index_base_b.uses_flat_scratch, 0
	.set _ZN9rocsparseL18bsrxmvn_4x4_kernelILj128ELj8Efli18rocsparse_bfloat16S1_fEEvT3_20rocsparse_direction_NS_24const_host_device_scalarIT1_EES2_PKS2_PKT2_SB_S8_PKT4_PKT5_S6_PT6_21rocsparse_index_base_b.has_dyn_sized_stack, 0
	.set _ZN9rocsparseL18bsrxmvn_4x4_kernelILj128ELj8Efli18rocsparse_bfloat16S1_fEEvT3_20rocsparse_direction_NS_24const_host_device_scalarIT1_EES2_PKS2_PKT2_SB_S8_PKT4_PKT5_S6_PT6_21rocsparse_index_base_b.has_recursion, 0
	.set _ZN9rocsparseL18bsrxmvn_4x4_kernelILj128ELj8Efli18rocsparse_bfloat16S1_fEEvT3_20rocsparse_direction_NS_24const_host_device_scalarIT1_EES2_PKS2_PKT2_SB_S8_PKT4_PKT5_S6_PT6_21rocsparse_index_base_b.has_indirect_call, 0
	.section	.AMDGPU.csdata,"",@progbits
; Kernel info:
; codeLenInByte = 5376
; TotalNumSgprs: 20
; NumVgprs: 93
; ScratchSize: 0
; MemoryBound: 0
; FloatMode: 240
; IeeeMode: 1
; LDSByteSize: 0 bytes/workgroup (compile time only)
; SGPRBlocks: 0
; VGPRBlocks: 11
; NumSGPRsForWavesPerEU: 20
; NumVGPRsForWavesPerEU: 93
; Occupancy: 16
; WaveLimiterHint : 1
; COMPUTE_PGM_RSRC2:SCRATCH_EN: 0
; COMPUTE_PGM_RSRC2:USER_SGPR: 2
; COMPUTE_PGM_RSRC2:TRAP_HANDLER: 0
; COMPUTE_PGM_RSRC2:TGID_X_EN: 1
; COMPUTE_PGM_RSRC2:TGID_Y_EN: 0
; COMPUTE_PGM_RSRC2:TGID_Z_EN: 0
; COMPUTE_PGM_RSRC2:TIDIG_COMP_CNT: 0
	.section	.text._ZN9rocsparseL18bsrxmvn_4x4_kernelILj128ELj16Efli18rocsparse_bfloat16S1_fEEvT3_20rocsparse_direction_NS_24const_host_device_scalarIT1_EES2_PKS2_PKT2_SB_S8_PKT4_PKT5_S6_PT6_21rocsparse_index_base_b,"axG",@progbits,_ZN9rocsparseL18bsrxmvn_4x4_kernelILj128ELj16Efli18rocsparse_bfloat16S1_fEEvT3_20rocsparse_direction_NS_24const_host_device_scalarIT1_EES2_PKS2_PKT2_SB_S8_PKT4_PKT5_S6_PT6_21rocsparse_index_base_b,comdat
	.globl	_ZN9rocsparseL18bsrxmvn_4x4_kernelILj128ELj16Efli18rocsparse_bfloat16S1_fEEvT3_20rocsparse_direction_NS_24const_host_device_scalarIT1_EES2_PKS2_PKT2_SB_S8_PKT4_PKT5_S6_PT6_21rocsparse_index_base_b ; -- Begin function _ZN9rocsparseL18bsrxmvn_4x4_kernelILj128ELj16Efli18rocsparse_bfloat16S1_fEEvT3_20rocsparse_direction_NS_24const_host_device_scalarIT1_EES2_PKS2_PKT2_SB_S8_PKT4_PKT5_S6_PT6_21rocsparse_index_base_b
	.p2align	8
	.type	_ZN9rocsparseL18bsrxmvn_4x4_kernelILj128ELj16Efli18rocsparse_bfloat16S1_fEEvT3_20rocsparse_direction_NS_24const_host_device_scalarIT1_EES2_PKS2_PKT2_SB_S8_PKT4_PKT5_S6_PT6_21rocsparse_index_base_b,@function
_ZN9rocsparseL18bsrxmvn_4x4_kernelILj128ELj16Efli18rocsparse_bfloat16S1_fEEvT3_20rocsparse_direction_NS_24const_host_device_scalarIT1_EES2_PKS2_PKT2_SB_S8_PKT4_PKT5_S6_PT6_21rocsparse_index_base_b: ; @_ZN9rocsparseL18bsrxmvn_4x4_kernelILj128ELj16Efli18rocsparse_bfloat16S1_fEEvT3_20rocsparse_direction_NS_24const_host_device_scalarIT1_EES2_PKS2_PKT2_SB_S8_PKT4_PKT5_S6_PT6_21rocsparse_index_base_b
; %bb.0:
	s_clause 0x2
	s_load_b64 s[16:17], s[0:1], 0x58
	s_load_b64 s[14:15], s[0:1], 0x8
	;; [unrolled: 1-line block ×3, first 2 shown]
	s_wait_kmcnt 0x0
	s_bitcmp1_b32 s17, 0
	s_cselect_b32 s2, -1, 0
	s_delay_alu instid0(SALU_CYCLE_1)
	s_and_b32 vcc_lo, exec_lo, s2
	s_xor_b32 s2, s2, -1
	s_cbranch_vccnz .LBB112_2
; %bb.1:
	s_load_b32 s14, s[14:15], 0x0
.LBB112_2:
	s_and_not1_b32 vcc_lo, exec_lo, s2
	s_cbranch_vccnz .LBB112_4
; %bb.3:
	s_load_b32 s12, s[12:13], 0x0
.LBB112_4:
	s_wait_kmcnt 0x0
	s_cmp_neq_f32 s14, 0
	s_mov_b32 s6, 0
	s_cselect_b32 s2, -1, 0
	s_cmp_neq_f32 s12, 1.0
	s_cselect_b32 s3, -1, 0
	s_delay_alu instid0(SALU_CYCLE_1) | instskip(NEXT) | instid1(SALU_CYCLE_1)
	s_or_b32 s2, s2, s3
	s_and_not1_b32 vcc_lo, exec_lo, s2
	s_cbranch_vccnz .LBB112_10
; %bb.5:
	s_clause 0x1
	s_load_b64 s[4:5], s[0:1], 0x18
	s_load_b64 s[2:3], s[0:1], 0x0
	v_lshrrev_b32_e32 v1, 4, v0
	s_delay_alu instid0(VALU_DEP_1)
	v_lshl_or_b32 v4, ttmp9, 3, v1
	s_wait_kmcnt 0x0
	s_cmp_lg_u64 s[4:5], 0
	s_cbranch_scc0 .LBB112_11
; %bb.6:
	s_load_b32 s6, s[0:1], 0x10
	s_mov_b32 s7, 0
                                        ; implicit-def: $vgpr1
	s_wait_kmcnt 0x0
	v_cmp_gt_i32_e32 vcc_lo, s6, v4
	s_mov_b32 s6, 0
	s_and_saveexec_b32 s8, vcc_lo
	s_delay_alu instid0(SALU_CYCLE_1)
	s_xor_b32 s8, exec_lo, s8
	s_cbranch_execz .LBB112_8
; %bb.7:
	v_ashrrev_i32_e32 v5, 31, v4
	s_mov_b32 s6, exec_lo
	s_delay_alu instid0(VALU_DEP_1) | instskip(NEXT) | instid1(VALU_DEP_1)
	v_lshlrev_b64_e32 v[1:2], 2, v[4:5]
	v_add_co_u32 v1, vcc_lo, s4, v1
	s_delay_alu instid0(VALU_DEP_1)
	v_add_co_ci_u32_e64 v2, null, s5, v2, vcc_lo
	global_load_b32 v1, v[1:2], off
	s_wait_loadcnt 0x0
	v_subrev_nc_u32_e32 v1, s16, v1
.LBB112_8:
	s_or_b32 exec_lo, exec_lo, s8
	s_delay_alu instid0(SALU_CYCLE_1)
	s_and_b32 vcc_lo, exec_lo, s7
	s_wait_alu 0xfffe
	s_cbranch_vccz .LBB112_12
.LBB112_9:
	v_cmp_gt_i32_e32 vcc_lo, s2, v4
	s_and_not1_b32 s2, s6, exec_lo
	s_and_b32 s4, vcc_lo, exec_lo
	s_wait_alu 0xfffe
	s_or_b32 s6, s2, s4
	s_wait_alu 0xfffe
	s_and_saveexec_b32 s2, s6
	s_cbranch_execnz .LBB112_13
.LBB112_10:
	s_endpgm
.LBB112_11:
                                        ; implicit-def: $vgpr1
	s_cbranch_execnz .LBB112_9
.LBB112_12:
	v_mov_b32_e32 v4, v1
	s_and_saveexec_b32 s2, s6
	s_cbranch_execz .LBB112_10
.LBB112_13:
	s_load_b256 s[4:11], s[0:1], 0x20
	s_delay_alu instid0(VALU_DEP_1) | instskip(SKIP_1) | instid1(VALU_DEP_2)
	v_ashrrev_i32_e32 v5, 31, v4
	v_dual_mov_b32 v22, 0 :: v_dual_and_b32 v21, 15, v0
	v_lshlrev_b64_e32 v[1:2], 3, v[4:5]
	s_wait_kmcnt 0x0
	s_delay_alu instid0(VALU_DEP_1) | instskip(SKIP_1) | instid1(VALU_DEP_2)
	v_add_co_u32 v5, vcc_lo, s4, v1
	s_wait_alu 0xfffd
	v_add_co_ci_u32_e64 v6, null, s5, v2, vcc_lo
	v_add_co_u32 v1, vcc_lo, s6, v1
	s_wait_alu 0xfffd
	v_add_co_ci_u32_e64 v2, null, s7, v2, vcc_lo
	v_add_co_u32 v3, vcc_lo, v5, 8
	global_load_b64 v[9:10], v[5:6], off
	s_wait_alu 0xfffd
	v_add_co_ci_u32_e64 v7, null, 0, v6, vcc_lo
	s_cmp_eq_u64 s[6:7], 0
	s_load_b64 s[4:5], s[0:1], 0x40
	s_cselect_b32 vcc_lo, -1, 0
	s_cmp_eq_u32 s3, 1
	s_wait_alu 0xfffe
	v_cndmask_b32_e32 v2, v2, v7, vcc_lo
	v_cndmask_b32_e32 v1, v1, v3, vcc_lo
	global_load_b64 v[2:3], v[1:2], off
	s_wait_loadcnt 0x1
	v_sub_co_u32 v0, vcc_lo, v9, s16
	s_wait_alu 0xfffd
	v_subrev_co_ci_u32_e64 v1, null, 0, v10, vcc_lo
	s_delay_alu instid0(VALU_DEP_2) | instskip(SKIP_1) | instid1(VALU_DEP_2)
	v_add_co_u32 v0, vcc_lo, v0, v21
	s_wait_alu 0xfffd
	v_add_co_ci_u32_e64 v1, null, 0, v1, vcc_lo
	s_delay_alu instid0(VALU_DEP_1) | instskip(SKIP_4) | instid1(VALU_DEP_3)
	v_lshlrev_b64_e32 v[5:6], 5, v[0:1]
	s_wait_loadcnt 0x0
	v_sub_co_u32 v2, vcc_lo, v2, s16
	s_wait_alu 0xfffd
	v_subrev_co_ci_u32_e64 v3, null, 0, v3, vcc_lo
	v_add_co_u32 v5, vcc_lo, s10, v5
	s_delay_alu instid0(VALU_DEP_2)
	v_cmp_lt_i64_e64 s2, v[0:1], v[2:3]
	s_wait_alu 0xfffd
	v_add_co_ci_u32_e64 v6, null, s11, v6, vcc_lo
	s_cbranch_scc1 .LBB112_25
; %bb.14:
	v_dual_mov_b32 v23, 0 :: v_dual_mov_b32 v24, 0
	v_mov_b32_e32 v8, 0
	s_and_saveexec_b32 s3, s2
	s_cbranch_execz .LBB112_24
; %bb.15:
	v_or_b32_e32 v7, 16, v21
	v_not_b32_e32 v12, v9
	v_not_b32_e32 v11, v10
	s_delay_alu instid0(VALU_DEP_3) | instskip(SKIP_3) | instid1(VALU_DEP_3)
	v_sub_co_u32 v7, s6, v7, s16
	s_wait_alu 0xf1ff
	v_sub_co_ci_u32_e64 v8, null, 0, 0, s6
	v_sub_co_u32 v13, s6, s16, v21
	v_add_co_u32 v7, vcc_lo, v7, v9
	s_wait_alu 0xfffd
	s_delay_alu instid0(VALU_DEP_3)
	v_add_co_ci_u32_e64 v8, null, v8, v10, vcc_lo
	s_wait_alu 0xf1ff
	v_sub_co_ci_u32_e64 v14, null, 0, 0, s6
	s_mov_b32 s6, exec_lo
	v_cmp_gt_i64_e32 vcc_lo, v[7:8], v[2:3]
	s_wait_alu 0xfffd
	v_dual_cndmask_b32 v16, v3, v8 :: v_dual_cndmask_b32 v7, v2, v7
	v_add_co_u32 v8, vcc_lo, v13, v12
	s_wait_alu 0xfffd
	v_add_co_ci_u32_e64 v11, null, v14, v11, vcc_lo
	v_mov_b32_e32 v14, v6
	s_delay_alu instid0(VALU_DEP_3) | instskip(SKIP_4) | instid1(VALU_DEP_3)
	v_add_co_u32 v15, vcc_lo, v8, v7
	v_mov_b32_e32 v8, 0
	s_wait_alu 0xfffd
	v_add_co_ci_u32_e64 v16, null, v11, v16, vcc_lo
	v_dual_mov_b32 v12, v1 :: v_dual_mov_b32 v13, v5
	v_dual_mov_b32 v24, v8 :: v_dual_and_b32 v7, 48, v15
	v_dual_mov_b32 v23, v8 :: v_dual_mov_b32 v22, v8
	v_mov_b32_e32 v11, v0
	s_delay_alu instid0(VALU_DEP_3)
	v_cmpx_ne_u64_e32 48, v[7:8]
	s_cbranch_execz .LBB112_19
; %bb.16:
	v_lshrrev_b32_e32 v7, 4, v15
	v_mov_b32_e32 v22, 0
	v_dual_mov_b32 v14, v6 :: v_dual_mov_b32 v13, v5
	v_dual_mov_b32 v12, v1 :: v_dual_mov_b32 v11, v0
	s_delay_alu instid0(VALU_DEP_4) | instskip(SKIP_2) | instid1(VALU_DEP_3)
	v_add_nc_u32_e32 v17, 1, v7
	v_lshlrev_b64_e32 v[7:8], 2, v[0:1]
	v_dual_mov_b32 v23, 0 :: v_dual_mov_b32 v24, 0
	v_and_b32_e32 v19, 3, v17
	s_delay_alu instid0(VALU_DEP_3) | instskip(SKIP_1) | instid1(VALU_DEP_4)
	v_add_co_u32 v17, vcc_lo, s8, v7
	s_wait_alu 0xfffd
	v_add_co_ci_u32_e64 v18, null, s9, v8, vcc_lo
	v_mov_b32_e32 v8, 0
	v_sub_co_u32 v19, s7, 0, v19
	s_wait_alu 0xf1ff
	v_sub_co_ci_u32_e64 v20, null, 0, 0, s7
	s_mov_b32 s7, 0
.LBB112_17:                             ; =>This Inner Loop Header: Depth=1
	global_load_b32 v7, v[17:18], off
	global_load_b128 v[25:28], v[13:14], off
	s_wait_loadcnt 0x1
	v_subrev_nc_u32_e32 v7, s16, v7
	s_delay_alu instid0(VALU_DEP_1) | instskip(NEXT) | instid1(VALU_DEP_1)
	v_lshlrev_b32_e32 v29, 2, v7
	v_ashrrev_i32_e32 v30, 31, v29
	s_delay_alu instid0(VALU_DEP_1) | instskip(SKIP_1) | instid1(VALU_DEP_1)
	v_lshlrev_b64_e32 v[29:30], 1, v[29:30]
	s_wait_kmcnt 0x0
	v_add_co_u32 v33, vcc_lo, s4, v29
	s_wait_alu 0xfffd
	s_delay_alu instid0(VALU_DEP_2)
	v_add_co_ci_u32_e64 v34, null, s5, v30, vcc_lo
	global_load_b128 v[29:32], v[13:14], off offset:16
	global_load_b64 v[33:34], v[33:34], off
	v_add_co_u32 v13, vcc_lo, 0x200, v13
	s_wait_alu 0xfffd
	v_add_co_ci_u32_e64 v14, null, 0, v14, vcc_lo
	v_add_co_u32 v11, vcc_lo, v11, 16
	s_wait_alu 0xfffd
	v_add_co_ci_u32_e64 v12, null, 0, v12, vcc_lo
	;; [unrolled: 3-line block ×4, first 2 shown]
	s_delay_alu instid0(VALU_DEP_1)
	v_cmp_eq_u64_e32 vcc_lo, 0, v[19:20]
	s_wait_alu 0xfffe
	s_or_b32 s7, vcc_lo, s7
	s_wait_loadcnt 0x1
	v_lshlrev_b32_e32 v38, 16, v29
	s_wait_loadcnt 0x0
	v_lshlrev_b32_e32 v42, 16, v33
	v_lshlrev_b32_e32 v36, 16, v27
	s_delay_alu instid0(VALU_DEP_2) | instskip(NEXT) | instid1(VALU_DEP_2)
	v_dual_fmac_f32 v23, v38, v42 :: v_dual_lshlrev_b32 v40, 16, v31
	v_dual_fmac_f32 v24, v36, v42 :: v_dual_lshlrev_b32 v7, 16, v25
	s_delay_alu instid0(VALU_DEP_2) | instskip(NEXT) | instid1(VALU_DEP_2)
	v_dual_fmac_f32 v22, v40, v42 :: v_dual_and_b32 v25, 0xffff0000, v25
	v_fmac_f32_e32 v8, v7, v42
	v_lshlrev_b32_e32 v7, 16, v34
	v_and_b32_e32 v33, 0xffff0000, v33
	s_delay_alu instid0(VALU_DEP_1) | instskip(SKIP_1) | instid1(VALU_DEP_2)
	v_dual_fmac_f32 v8, v25, v33 :: v_dual_lshlrev_b32 v35, 16, v26
	v_and_b32_e32 v29, 0xffff0000, v29
	v_dual_fmac_f32 v8, v35, v7 :: v_dual_and_b32 v25, 0xffff0000, v34
	s_delay_alu instid0(VALU_DEP_2) | instskip(NEXT) | instid1(VALU_DEP_1)
	v_dual_fmac_f32 v23, v29, v33 :: v_dual_and_b32 v26, 0xffff0000, v26
	v_dual_fmac_f32 v8, v26, v25 :: v_dual_and_b32 v31, 0xffff0000, v31
	s_delay_alu instid0(VALU_DEP_1) | instskip(NEXT) | instid1(VALU_DEP_1)
	v_dual_fmac_f32 v22, v31, v33 :: v_dual_and_b32 v27, 0xffff0000, v27
	v_dual_fmac_f32 v24, v27, v33 :: v_dual_lshlrev_b32 v37, 16, v28
	v_lshlrev_b32_e32 v39, 16, v30
	v_and_b32_e32 v30, 0xffff0000, v30
	s_delay_alu instid0(VALU_DEP_3) | instskip(NEXT) | instid1(VALU_DEP_3)
	v_fmac_f32_e32 v24, v37, v7
	v_dual_fmac_f32 v23, v39, v7 :: v_dual_and_b32 v28, 0xffff0000, v28
	v_lshlrev_b32_e32 v41, 16, v32
	v_and_b32_e32 v32, 0xffff0000, v32
	s_delay_alu instid0(VALU_DEP_3) | instskip(NEXT) | instid1(VALU_DEP_3)
	v_fmac_f32_e32 v24, v28, v25
	v_dual_fmac_f32 v23, v30, v25 :: v_dual_fmac_f32 v22, v41, v7
	s_delay_alu instid0(VALU_DEP_1)
	v_fmac_f32_e32 v22, v32, v25
	s_wait_alu 0xfffe
	s_and_not1_b32 exec_lo, exec_lo, s7
	s_cbranch_execnz .LBB112_17
; %bb.18:
	s_or_b32 exec_lo, exec_lo, s7
.LBB112_19:
	s_wait_alu 0xfffe
	s_or_b32 exec_lo, exec_lo, s6
	s_delay_alu instid0(SALU_CYCLE_1)
	s_mov_b32 s6, exec_lo
	v_cmpx_lt_u64_e32 47, v[15:16]
	s_cbranch_execz .LBB112_23
; %bb.20:
	v_lshlrev_b64_e32 v[15:16], 2, v[11:12]
	s_mov_b32 s7, 0
	s_delay_alu instid0(VALU_DEP_1) | instskip(SKIP_1) | instid1(VALU_DEP_2)
	v_add_co_u32 v7, vcc_lo, s8, v15
	s_wait_alu 0xfffd
	v_add_co_ci_u32_e64 v16, null, s9, v16, vcc_lo
	s_delay_alu instid0(VALU_DEP_2) | instskip(SKIP_1) | instid1(VALU_DEP_2)
	v_add_co_u32 v15, vcc_lo, 0x80, v7
	s_wait_alu 0xfffd
	v_add_co_ci_u32_e64 v16, null, 0, v16, vcc_lo
.LBB112_21:                             ; =>This Inner Loop Header: Depth=1
	s_clause 0x3
	global_load_b32 v7, v[15:16], off offset:-128
	global_load_b32 v53, v[15:16], off offset:-64
	global_load_b32 v54, v[15:16], off
	global_load_b32 v55, v[15:16], off offset:64
	s_clause 0x7
	global_load_b128 v[17:20], v[13:14], off
	global_load_b128 v[25:28], v[13:14], off offset:16
	global_load_b128 v[29:32], v[13:14], off offset:512
	;; [unrolled: 1-line block ×7, first 2 shown]
	s_wait_loadcnt 0xb
	v_subrev_nc_u32_e32 v7, s16, v7
	s_wait_loadcnt 0xa
	v_subrev_nc_u32_e32 v56, s16, v53
	;; [unrolled: 2-line block ×4, first 2 shown]
	v_lshlrev_b32_e32 v53, 2, v7
	s_wait_loadcnt 0x7
	v_lshlrev_b32_e32 v7, 16, v17
	s_wait_loadcnt 0x6
	v_lshlrev_b32_e32 v66, 16, v27
	v_and_b32_e32 v27, 0xffff0000, v27
	v_lshlrev_b32_e32 v59, 2, v58
	s_wait_loadcnt 0x1
	v_lshlrev_b32_e32 v84, 16, v45
	s_wait_loadcnt 0x0
	v_lshlrev_b32_e32 v88, 16, v49
	v_lshlrev_b32_e32 v72, 16, v33
	;; [unrolled: 1-line block ×3, first 2 shown]
	v_and_b32_e32 v25, 0xffff0000, v25
	v_lshlrev_b32_e32 v62, 16, v19
	v_lshlrev_b32_e32 v57, 2, v54
	v_ashrrev_i32_e32 v54, 31, v53
	v_and_b32_e32 v19, 0xffff0000, v19
	v_lshlrev_b32_e32 v61, 16, v18
	v_and_b32_e32 v17, 0xffff0000, v17
	v_lshlrev_b32_e32 v55, 2, v56
	v_lshlrev_b64_e32 v[53:54], 1, v[53:54]
	v_ashrrev_i32_e32 v58, 31, v57
	v_ashrrev_i32_e32 v60, 31, v59
	v_lshlrev_b32_e32 v86, 16, v47
	v_ashrrev_i32_e32 v56, 31, v55
	v_lshlrev_b32_e32 v76, 16, v37
	s_wait_kmcnt 0x0
	v_add_co_u32 v53, vcc_lo, s4, v53
	s_wait_alu 0xfffd
	v_add_co_ci_u32_e64 v54, null, s5, v54, vcc_lo
	v_lshlrev_b64_e32 v[55:56], 1, v[55:56]
	v_lshlrev_b64_e32 v[57:58], 1, v[57:58]
	;; [unrolled: 1-line block ×3, first 2 shown]
	global_load_b64 v[53:54], v[53:54], off
	v_lshlrev_b32_e32 v80, 16, v41
	v_and_b32_e32 v41, 0xffff0000, v41
	v_add_co_u32 v55, vcc_lo, s4, v55
	s_wait_alu 0xfffd
	v_add_co_ci_u32_e64 v56, null, s5, v56, vcc_lo
	v_add_co_u32 v57, vcc_lo, s4, v57
	s_wait_alu 0xfffd
	v_add_co_ci_u32_e64 v58, null, s5, v58, vcc_lo
	global_load_b64 v[55:56], v[55:56], off
	v_add_co_u32 v59, vcc_lo, s4, v59
	global_load_b64 v[57:58], v[57:58], off
	s_wait_alu 0xfffd
	v_add_co_ci_u32_e64 v60, null, s5, v60, vcc_lo
	v_lshlrev_b32_e32 v70, 16, v31
	v_lshlrev_b32_e32 v68, 16, v29
	v_and_b32_e32 v49, 0xffff0000, v49
	global_load_b64 v[59:60], v[59:60], off
	v_lshlrev_b32_e32 v74, 16, v35
	v_lshlrev_b32_e32 v78, 16, v39
	;; [unrolled: 1-line block ×5, first 2 shown]
	v_and_b32_e32 v50, 0xffff0000, v50
	v_add_co_u32 v13, vcc_lo, 0x800, v13
	s_wait_alu 0xfffd
	v_add_co_ci_u32_e64 v14, null, 0, v14, vcc_lo
	v_add_co_u32 v11, vcc_lo, v11, 64
	s_wait_alu 0xfffd
	v_add_co_ci_u32_e64 v12, null, 0, v12, vcc_lo
	;; [unrolled: 3-line block ×3, first 2 shown]
	s_delay_alu instid0(VALU_DEP_3)
	v_cmp_ge_i64_e32 vcc_lo, v[11:12], v[2:3]
	s_wait_alu 0xfffe
	s_or_b32 s7, vcc_lo, s7
	s_wait_loadcnt 0x3
	v_lshlrev_b32_e32 v92, 16, v53
	v_and_b32_e32 v18, 0xffff0000, v18
	s_delay_alu instid0(VALU_DEP_2) | instskip(SKIP_2) | instid1(VALU_DEP_3)
	v_dual_fmac_f32 v8, v7, v92 :: v_dual_and_b32 v53, 0xffff0000, v53
	v_fmac_f32_e32 v23, v64, v92
	v_dual_fmac_f32 v22, v66, v92 :: v_dual_lshlrev_b32 v7, 16, v54
	v_fmac_f32_e32 v8, v17, v53
	s_delay_alu instid0(VALU_DEP_3) | instskip(NEXT) | instid1(VALU_DEP_3)
	v_dual_fmac_f32 v23, v25, v53 :: v_dual_fmac_f32 v24, v62, v92
	v_dual_fmac_f32 v22, v27, v53 :: v_dual_and_b32 v17, 0xffff0000, v54
	v_lshlrev_b32_e32 v67, 16, v28
	s_delay_alu instid0(VALU_DEP_3) | instskip(SKIP_1) | instid1(VALU_DEP_3)
	v_dual_fmac_f32 v24, v19, v53 :: v_dual_lshlrev_b32 v63, 16, v20
	v_dual_fmac_f32 v8, v61, v7 :: v_dual_lshlrev_b32 v65, 16, v26
	v_fmac_f32_e32 v22, v67, v7
	s_delay_alu instid0(VALU_DEP_3) | instskip(NEXT) | instid1(VALU_DEP_3)
	v_fmac_f32_e32 v24, v63, v7
	v_fmac_f32_e32 v8, v18, v17
	s_delay_alu instid0(VALU_DEP_4) | instskip(SKIP_3) | instid1(VALU_DEP_3)
	v_dual_fmac_f32 v23, v65, v7 :: v_dual_and_b32 v20, 0xffff0000, v20
	s_wait_loadcnt 0x2
	v_lshlrev_b32_e32 v7, 16, v55
	v_and_b32_e32 v29, 0xffff0000, v29
	v_dual_fmac_f32 v24, v20, v17 :: v_dual_lshlrev_b32 v69, 16, v30
	s_delay_alu instid0(VALU_DEP_3) | instskip(NEXT) | instid1(VALU_DEP_2)
	v_fmac_f32_e32 v8, v68, v7
	v_dual_fmac_f32 v24, v70, v7 :: v_dual_and_b32 v33, 0xffff0000, v33
	v_and_b32_e32 v26, 0xffff0000, v26
	v_lshlrev_b32_e32 v73, 16, v34
	s_delay_alu instid0(VALU_DEP_2) | instskip(NEXT) | instid1(VALU_DEP_1)
	v_dual_fmac_f32 v23, v26, v17 :: v_dual_and_b32 v28, 0xffff0000, v28
	v_dual_fmac_f32 v22, v28, v17 :: v_dual_and_b32 v17, 0xffff0000, v55
	v_and_b32_e32 v31, 0xffff0000, v31
	v_lshlrev_b32_e32 v71, 16, v32
	s_delay_alu instid0(VALU_DEP_4) | instskip(NEXT) | instid1(VALU_DEP_4)
	v_fmac_f32_e32 v23, v72, v7
	v_dual_fmac_f32 v22, v74, v7 :: v_dual_lshlrev_b32 v7, 16, v56
	v_fmac_f32_e32 v8, v29, v17
	v_fmac_f32_e32 v24, v31, v17
	s_delay_alu instid0(VALU_DEP_2) | instskip(SKIP_4) | instid1(VALU_DEP_4)
	v_dual_fmac_f32 v8, v69, v7 :: v_dual_and_b32 v37, 0xffff0000, v37
	v_and_b32_e32 v35, 0xffff0000, v35
	v_lshlrev_b32_e32 v75, 16, v36
	v_dual_fmac_f32 v23, v33, v17 :: v_dual_and_b32 v36, 0xffff0000, v36
	v_fmac_f32_e32 v24, v71, v7
	v_dual_fmac_f32 v22, v35, v17 :: v_dual_lshlrev_b32 v77, 16, v38
	v_and_b32_e32 v17, 0xffff0000, v56
	s_delay_alu instid0(VALU_DEP_4) | instskip(SKIP_1) | instid1(VALU_DEP_3)
	v_dual_fmac_f32 v23, v73, v7 :: v_dual_and_b32 v38, 0xffff0000, v38
	s_wait_loadcnt 0x1
	v_dual_fmac_f32 v22, v75, v7 :: v_dual_lshlrev_b32 v7, 16, v57
	v_lshlrev_b32_e32 v81, 16, v42
	v_and_b32_e32 v32, 0xffff0000, v32
	v_and_b32_e32 v42, 0xffff0000, v42
	;; [unrolled: 1-line block ×4, first 2 shown]
	s_delay_alu instid0(VALU_DEP_4) | instskip(SKIP_1) | instid1(VALU_DEP_4)
	v_dual_fmac_f32 v24, v32, v17 :: v_dual_and_b32 v39, 0xffff0000, v39
	v_dual_fmac_f32 v22, v36, v17 :: v_dual_lshlrev_b32 v79, 16, v40
	v_fmac_f32_e32 v23, v34, v17
	s_delay_alu instid0(VALU_DEP_4) | instskip(NEXT) | instid1(VALU_DEP_4)
	v_dual_fmac_f32 v8, v30, v17 :: v_dual_lshlrev_b32 v83, 16, v44
	v_dual_fmac_f32 v24, v78, v7 :: v_dual_and_b32 v17, 0xffff0000, v57
	s_delay_alu instid0(VALU_DEP_3) | instskip(NEXT) | instid1(VALU_DEP_3)
	v_fmac_f32_e32 v23, v80, v7
	v_fmac_f32_e32 v8, v76, v7
	v_and_b32_e32 v43, 0xffff0000, v43
	v_dual_fmac_f32 v22, v82, v7 :: v_dual_lshlrev_b32 v85, 16, v46
	v_fmac_f32_e32 v24, v39, v17
	v_and_b32_e32 v46, 0xffff0000, v46
	v_dual_fmac_f32 v8, v37, v17 :: v_dual_lshlrev_b32 v7, 16, v58
	s_delay_alu instid0(VALU_DEP_4) | instskip(SKIP_2) | instid1(VALU_DEP_4)
	v_dual_fmac_f32 v22, v43, v17 :: v_dual_and_b32 v47, 0xffff0000, v47
	v_dual_fmac_f32 v23, v41, v17 :: v_dual_and_b32 v40, 0xffff0000, v40
	v_and_b32_e32 v44, 0xffff0000, v44
	v_dual_fmac_f32 v8, v77, v7 :: v_dual_and_b32 v45, 0xffff0000, v45
	v_dual_fmac_f32 v24, v79, v7 :: v_dual_lshlrev_b32 v87, 16, v48
	v_and_b32_e32 v17, 0xffff0000, v58
	v_fmac_f32_e32 v23, v81, v7
	v_fmac_f32_e32 v22, v83, v7
	v_and_b32_e32 v48, 0xffff0000, v48
	s_delay_alu instid0(VALU_DEP_4) | instskip(NEXT) | instid1(VALU_DEP_3)
	v_dual_fmac_f32 v24, v40, v17 :: v_dual_and_b32 v51, 0xffff0000, v51
	v_dual_fmac_f32 v22, v44, v17 :: v_dual_lshlrev_b32 v91, 16, v52
	s_wait_loadcnt 0x0
	v_dual_fmac_f32 v8, v38, v17 :: v_dual_lshlrev_b32 v7, 16, v59
	v_fmac_f32_e32 v23, v42, v17
	v_and_b32_e32 v17, 0xffff0000, v59
	v_and_b32_e32 v52, 0xffff0000, v52
	s_delay_alu instid0(VALU_DEP_4) | instskip(SKIP_3) | instid1(VALU_DEP_4)
	v_fmac_f32_e32 v24, v86, v7
	v_fmac_f32_e32 v8, v84, v7
	;; [unrolled: 1-line block ×5, first 2 shown]
	s_delay_alu instid0(VALU_DEP_4) | instskip(NEXT) | instid1(VALU_DEP_4)
	v_fmac_f32_e32 v8, v45, v17
	v_fmac_f32_e32 v23, v49, v17
	s_delay_alu instid0(VALU_DEP_4) | instskip(SKIP_1) | instid1(VALU_DEP_1)
	v_dual_fmac_f32 v22, v51, v17 :: v_dual_and_b32 v17, 0xffff0000, v60
	v_lshlrev_b32_e32 v7, 16, v60
	v_fmac_f32_e32 v22, v91, v7
	s_delay_alu instid0(VALU_DEP_1) | instskip(SKIP_2) | instid1(VALU_DEP_2)
	v_fmac_f32_e32 v22, v52, v17
	v_fmac_f32_e32 v8, v85, v7
	;; [unrolled: 1-line block ×3, first 2 shown]
	v_dual_fmac_f32 v23, v89, v7 :: v_dual_fmac_f32 v8, v46, v17
	s_delay_alu instid0(VALU_DEP_2) | instskip(NEXT) | instid1(VALU_DEP_2)
	v_fmac_f32_e32 v24, v48, v17
	v_fmac_f32_e32 v23, v50, v17
	s_wait_alu 0xfffe
	s_and_not1_b32 exec_lo, exec_lo, s7
	s_cbranch_execnz .LBB112_21
; %bb.22:
	s_or_b32 exec_lo, exec_lo, s7
.LBB112_23:
	s_wait_alu 0xfffe
	s_or_b32 exec_lo, exec_lo, s6
.LBB112_24:
	s_wait_alu 0xfffe
	s_or_b32 exec_lo, exec_lo, s3
	s_cbranch_execz .LBB112_26
	s_branch .LBB112_37
.LBB112_25:
                                        ; implicit-def: $vgpr22
                                        ; implicit-def: $vgpr23
                                        ; implicit-def: $vgpr24
                                        ; implicit-def: $vgpr8
.LBB112_26:
	v_dual_mov_b32 v22, 0 :: v_dual_mov_b32 v23, 0
	v_mov_b32_e32 v24, 0
	v_mov_b32_e32 v8, 0
	s_and_saveexec_b32 s3, s2
	s_cbranch_execz .LBB112_36
; %bb.27:
	v_or_b32_e32 v7, 16, v21
	s_delay_alu instid0(VALU_DEP_1) | instskip(SKIP_3) | instid1(VALU_DEP_3)
	v_sub_co_u32 v7, s2, v7, s16
	s_wait_alu 0xf1ff
	v_sub_co_ci_u32_e64 v8, null, 0, 0, s2
	v_sub_co_u32 v11, s2, s16, v21
	v_add_co_u32 v7, vcc_lo, v7, v9
	s_wait_alu 0xfffd
	s_delay_alu instid0(VALU_DEP_3)
	v_add_co_ci_u32_e64 v8, null, v8, v10, vcc_lo
	v_not_b32_e32 v9, v9
	v_not_b32_e32 v10, v10
	s_wait_alu 0xf1ff
	v_sub_co_ci_u32_e64 v12, null, 0, 0, s2
	v_cmp_gt_i64_e32 vcc_lo, v[7:8], v[2:3]
	s_mov_b32 s2, exec_lo
	s_wait_alu 0xfffd
	v_cndmask_b32_e32 v13, v3, v8, vcc_lo
	v_cndmask_b32_e32 v7, v2, v7, vcc_lo
	v_add_co_u32 v8, vcc_lo, v11, v9
	s_wait_alu 0xfffd
	v_add_co_ci_u32_e64 v10, null, v12, v10, vcc_lo
	s_delay_alu instid0(VALU_DEP_2) | instskip(SKIP_2) | instid1(VALU_DEP_3)
	v_add_co_u32 v9, vcc_lo, v8, v7
	v_mov_b32_e32 v8, 0
	s_wait_alu 0xfffd
	v_add_co_ci_u32_e64 v10, null, v10, v13, vcc_lo
	s_delay_alu instid0(VALU_DEP_2) | instskip(SKIP_1) | instid1(VALU_DEP_2)
	v_dual_mov_b32 v22, v8 :: v_dual_and_b32 v7, 48, v9
	v_dual_mov_b32 v24, v8 :: v_dual_mov_b32 v23, v8
	v_cmpx_ne_u64_e32 48, v[7:8]
	s_cbranch_execz .LBB112_31
; %bb.28:
	v_lshrrev_b32_e32 v7, 4, v9
	v_dual_mov_b32 v23, 0 :: v_dual_mov_b32 v24, 0
	s_delay_alu instid0(VALU_DEP_2) | instskip(SKIP_1) | instid1(VALU_DEP_2)
	v_dual_mov_b32 v22, 0 :: v_dual_add_nc_u32 v11, 1, v7
	v_lshlrev_b64_e32 v[7:8], 2, v[0:1]
	v_and_b32_e32 v13, 3, v11
	s_delay_alu instid0(VALU_DEP_2) | instskip(SKIP_1) | instid1(VALU_DEP_3)
	v_add_co_u32 v11, vcc_lo, s8, v7
	s_wait_alu 0xfffd
	v_add_co_ci_u32_e64 v12, null, s9, v8, vcc_lo
	v_mov_b32_e32 v8, 0
	v_sub_co_u32 v13, s6, 0, v13
	s_wait_alu 0xf1ff
	v_sub_co_ci_u32_e64 v14, null, 0, 0, s6
	s_mov_b32 s6, 0
.LBB112_29:                             ; =>This Inner Loop Header: Depth=1
	global_load_b32 v7, v[11:12], off
	global_load_b128 v[15:18], v[5:6], off
	s_wait_loadcnt 0x1
	v_subrev_nc_u32_e32 v7, s16, v7
	s_delay_alu instid0(VALU_DEP_1) | instskip(NEXT) | instid1(VALU_DEP_1)
	v_lshlrev_b32_e32 v19, 2, v7
	v_ashrrev_i32_e32 v20, 31, v19
	s_delay_alu instid0(VALU_DEP_1) | instskip(SKIP_1) | instid1(VALU_DEP_1)
	v_lshlrev_b64_e32 v[19:20], 1, v[19:20]
	s_wait_kmcnt 0x0
	v_add_co_u32 v19, vcc_lo, s4, v19
	s_wait_alu 0xfffd
	s_delay_alu instid0(VALU_DEP_2)
	v_add_co_ci_u32_e64 v20, null, s5, v20, vcc_lo
	global_load_b64 v[19:20], v[19:20], off
	global_load_b128 v[25:28], v[5:6], off offset:16
	v_add_co_u32 v5, vcc_lo, 0x200, v5
	s_wait_alu 0xfffd
	v_add_co_ci_u32_e64 v6, null, 0, v6, vcc_lo
	v_add_co_u32 v0, vcc_lo, v0, 16
	s_wait_alu 0xfffd
	v_add_co_ci_u32_e64 v1, null, 0, v1, vcc_lo
	;; [unrolled: 3-line block ×4, first 2 shown]
	s_delay_alu instid0(VALU_DEP_1)
	v_cmp_eq_u64_e32 vcc_lo, 0, v[13:14]
	s_wait_alu 0xfffe
	s_or_b32 s6, vcc_lo, s6
	s_wait_loadcnt 0x1
	v_lshlrev_b32_e32 v36, 16, v19
	v_lshlrev_b32_e32 v7, 16, v15
	;; [unrolled: 1-line block ×3, first 2 shown]
	v_and_b32_e32 v19, 0xffff0000, v19
	v_lshlrev_b32_e32 v29, 16, v16
	v_lshlrev_b32_e32 v31, 16, v18
	v_and_b32_e32 v16, 0xffff0000, v16
	v_and_b32_e32 v15, 0xffff0000, v15
	s_wait_loadcnt 0x0
	v_lshlrev_b32_e32 v34, 16, v27
	s_delay_alu instid0(VALU_DEP_3) | instskip(NEXT) | instid1(VALU_DEP_3)
	v_dual_fmac_f32 v22, v16, v36 :: v_dual_and_b32 v27, 0xffff0000, v27
	v_fmac_f32_e32 v24, v15, v36
	v_fmac_f32_e32 v8, v7, v36
	v_and_b32_e32 v15, 0xffff0000, v20
	v_lshlrev_b32_e32 v7, 16, v20
	v_lshlrev_b32_e32 v33, 16, v26
	v_and_b32_e32 v18, 0xffff0000, v18
	v_dual_fmac_f32 v8, v30, v19 :: v_dual_and_b32 v17, 0xffff0000, v17
	v_dual_fmac_f32 v23, v29, v36 :: v_dual_and_b32 v26, 0xffff0000, v26
	s_delay_alu instid0(VALU_DEP_3) | instskip(NEXT) | instid1(VALU_DEP_3)
	v_fmac_f32_e32 v22, v18, v19
	v_dual_fmac_f32 v24, v17, v19 :: v_dual_lshlrev_b32 v35, 16, v28
	s_delay_alu instid0(VALU_DEP_3) | instskip(NEXT) | instid1(VALU_DEP_3)
	v_dual_fmac_f32 v23, v31, v19 :: v_dual_and_b32 v28, 0xffff0000, v28
	v_fmac_f32_e32 v22, v26, v7
	s_delay_alu instid0(VALU_DEP_2) | instskip(NEXT) | instid1(VALU_DEP_2)
	v_dual_fmac_f32 v23, v33, v7 :: v_dual_lshlrev_b32 v32, 16, v25
	v_fmac_f32_e32 v22, v28, v15
	s_delay_alu instid0(VALU_DEP_2) | instskip(NEXT) | instid1(VALU_DEP_3)
	v_fmac_f32_e32 v23, v35, v15
	v_dual_fmac_f32 v8, v32, v7 :: v_dual_and_b32 v25, 0xffff0000, v25
	s_delay_alu instid0(VALU_DEP_1) | instskip(NEXT) | instid1(VALU_DEP_2)
	v_fmac_f32_e32 v8, v34, v15
	v_fmac_f32_e32 v24, v25, v7
	s_delay_alu instid0(VALU_DEP_1)
	v_fmac_f32_e32 v24, v27, v15
	s_wait_alu 0xfffe
	s_and_not1_b32 exec_lo, exec_lo, s6
	s_cbranch_execnz .LBB112_29
; %bb.30:
	s_or_b32 exec_lo, exec_lo, s6
.LBB112_31:
	s_wait_alu 0xfffe
	s_or_b32 exec_lo, exec_lo, s2
	s_delay_alu instid0(SALU_CYCLE_1)
	s_mov_b32 s2, exec_lo
	v_cmpx_lt_u64_e32 47, v[9:10]
	s_cbranch_execz .LBB112_35
; %bb.32:
	v_lshlrev_b64_e32 v[9:10], 2, v[0:1]
	s_mov_b32 s6, 0
	s_delay_alu instid0(VALU_DEP_1) | instskip(SKIP_1) | instid1(VALU_DEP_2)
	v_add_co_u32 v7, vcc_lo, s8, v9
	s_wait_alu 0xfffd
	v_add_co_ci_u32_e64 v10, null, s9, v10, vcc_lo
	s_delay_alu instid0(VALU_DEP_2) | instskip(SKIP_1) | instid1(VALU_DEP_2)
	v_add_co_u32 v9, vcc_lo, 0x80, v7
	s_wait_alu 0xfffd
	v_add_co_ci_u32_e64 v10, null, 0, v10, vcc_lo
.LBB112_33:                             ; =>This Inner Loop Header: Depth=1
	s_clause 0x3
	global_load_b32 v7, v[9:10], off offset:-128
	global_load_b32 v19, v[9:10], off offset:-64
	global_load_b32 v20, v[9:10], off
	global_load_b32 v45, v[9:10], off offset:64
	s_clause 0x6
	global_load_b128 v[11:14], v[5:6], off
	global_load_b128 v[15:18], v[5:6], off offset:16
	global_load_b128 v[25:28], v[5:6], off offset:512
	;; [unrolled: 1-line block ×6, first 2 shown]
	s_wait_loadcnt 0xa
	v_subrev_nc_u32_e32 v7, s16, v7
	s_wait_loadcnt 0x9
	v_subrev_nc_u32_e32 v46, s16, v19
	;; [unrolled: 2-line block ×4, first 2 shown]
	v_lshlrev_b32_e32 v19, 2, v7
	s_wait_loadcnt 0x5
	v_lshlrev_b32_e32 v58, 16, v15
	v_lshlrev_b32_e32 v57, 16, v14
	;; [unrolled: 1-line block ×5, first 2 shown]
	v_and_b32_e32 v11, 0xffff0000, v11
	v_lshlrev_b32_e32 v47, 2, v20
	v_ashrrev_i32_e32 v20, 31, v19
	v_and_b32_e32 v15, 0xffff0000, v15
	v_lshlrev_b32_e32 v59, 16, v16
	v_and_b32_e32 v14, 0xffff0000, v14
	v_and_b32_e32 v13, 0xffff0000, v13
	v_lshlrev_b32_e32 v55, 16, v12
	v_and_b32_e32 v12, 0xffff0000, v12
	v_lshlrev_b32_e32 v49, 2, v48
	v_ashrrev_i32_e32 v46, 31, v45
	v_ashrrev_i32_e32 v48, 31, v47
	v_lshlrev_b64_e32 v[19:20], 1, v[19:20]
	s_wait_loadcnt 0x2
	v_lshlrev_b32_e32 v72, 16, v35
	v_ashrrev_i32_e32 v50, 31, v49
	v_lshlrev_b64_e32 v[45:46], 1, v[45:46]
	v_lshlrev_b64_e32 v[47:48], 1, v[47:48]
	v_and_b32_e32 v35, 0xffff0000, v35
	s_wait_kmcnt 0x0
	v_add_co_u32 v19, vcc_lo, s4, v19
	v_lshlrev_b64_e32 v[49:50], 1, v[49:50]
	s_wait_alu 0xfffd
	v_add_co_ci_u32_e64 v20, null, s5, v20, vcc_lo
	v_add_co_u32 v45, vcc_lo, s4, v45
	s_wait_alu 0xfffd
	v_add_co_ci_u32_e64 v46, null, s5, v46, vcc_lo
	v_add_co_u32 v47, vcc_lo, s4, v47
	;; [unrolled: 3-line block ×3, first 2 shown]
	s_wait_alu 0xfffd
	v_add_co_ci_u32_e64 v50, null, s5, v50, vcc_lo
	s_clause 0x3
	global_load_b64 v[19:20], v[19:20], off
	global_load_b64 v[51:52], v[45:46], off
	;; [unrolled: 1-line block ×4, first 2 shown]
	global_load_b128 v[45:48], v[5:6], off offset:1552
	v_lshlrev_b32_e32 v64, 16, v27
	v_and_b32_e32 v27, 0xffff0000, v27
	v_lshlrev_b32_e32 v68, 16, v31
	v_and_b32_e32 v31, 0xffff0000, v31
	s_wait_loadcnt 0x6
	v_lshlrev_b32_e32 v76, 16, v39
	s_wait_loadcnt 0x5
	v_lshlrev_b32_e32 v78, 16, v41
	v_and_b32_e32 v39, 0xffff0000, v39
	v_lshlrev_b32_e32 v80, 16, v43
	v_and_b32_e32 v43, 0xffff0000, v43
	v_add_co_u32 v5, vcc_lo, 0x800, v5
	s_wait_alu 0xfffd
	v_add_co_ci_u32_e64 v6, null, 0, v6, vcc_lo
	v_add_co_u32 v0, vcc_lo, v0, 64
	s_wait_alu 0xfffd
	v_add_co_ci_u32_e64 v1, null, 0, v1, vcc_lo
	;; [unrolled: 3-line block ×3, first 2 shown]
	s_delay_alu instid0(VALU_DEP_3)
	v_cmp_ge_i64_e32 vcc_lo, v[0:1], v[2:3]
	s_wait_alu 0xfffe
	s_or_b32 s6, vcc_lo, s6
	s_wait_loadcnt 0x4
	v_lshlrev_b32_e32 v86, 16, v19
	v_and_b32_e32 v19, 0xffff0000, v19
	s_wait_loadcnt 0x0
	s_delay_alu instid0(VALU_DEP_2) | instskip(SKIP_2) | instid1(VALU_DEP_3)
	v_dual_fmac_f32 v24, v11, v86 :: v_dual_lshlrev_b32 v85, 16, v48
	v_dual_fmac_f32 v8, v7, v86 :: v_dual_lshlrev_b32 v7, 16, v20
	v_lshlrev_b32_e32 v74, 16, v37
	v_dual_fmac_f32 v24, v13, v19 :: v_dual_and_b32 v11, 0xffff0000, v20
	v_fmac_f32_e32 v23, v55, v86
	v_fmac_f32_e32 v22, v12, v86
	v_lshlrev_b32_e32 v82, 16, v45
	v_lshlrev_b32_e32 v84, 16, v47
	v_fmac_f32_e32 v24, v15, v7
	v_fmac_f32_e32 v23, v57, v19
	v_dual_fmac_f32 v8, v56, v19 :: v_dual_lshlrev_b32 v63, 16, v26
	v_and_b32_e32 v47, 0xffff0000, v47
	s_delay_alu instid0(VALU_DEP_3) | instskip(SKIP_3) | instid1(VALU_DEP_3)
	v_dual_fmac_f32 v23, v59, v7 :: v_dual_and_b32 v48, 0xffff0000, v48
	v_dual_fmac_f32 v22, v14, v19 :: v_dual_lshlrev_b32 v61, 16, v18
	v_and_b32_e32 v16, 0xffff0000, v16
	v_fmac_f32_e32 v8, v58, v7
	v_fmac_f32_e32 v23, v61, v11
	s_delay_alu instid0(VALU_DEP_3) | instskip(SKIP_3) | instid1(VALU_DEP_3)
	v_fmac_f32_e32 v22, v16, v7
	v_lshlrev_b32_e32 v7, 16, v51
	v_lshlrev_b32_e32 v60, 16, v17
	;; [unrolled: 1-line block ×3, first 2 shown]
	v_fmac_f32_e32 v23, v63, v7
	s_delay_alu instid0(VALU_DEP_3) | instskip(SKIP_1) | instid1(VALU_DEP_2)
	v_dual_fmac_f32 v8, v60, v11 :: v_dual_and_b32 v17, 0xffff0000, v17
	v_and_b32_e32 v18, 0xffff0000, v18
	v_fmac_f32_e32 v24, v17, v11
	s_delay_alu instid0(VALU_DEP_2) | instskip(SKIP_4) | instid1(VALU_DEP_4)
	v_fmac_f32_e32 v22, v18, v11
	v_and_b32_e32 v11, 0xffff0000, v51
	v_lshlrev_b32_e32 v69, 16, v32
	v_and_b32_e32 v26, 0xffff0000, v26
	v_lshlrev_b32_e32 v67, 16, v30
	v_fmac_f32_e32 v23, v65, v11
	s_delay_alu instid0(VALU_DEP_3) | instskip(SKIP_4) | instid1(VALU_DEP_4)
	v_fmac_f32_e32 v22, v26, v7
	v_lshlrev_b32_e32 v62, 16, v25
	v_and_b32_e32 v25, 0xffff0000, v25
	v_lshlrev_b32_e32 v71, 16, v34
	v_and_b32_e32 v28, 0xffff0000, v28
	v_fmac_f32_e32 v8, v62, v7
	s_delay_alu instid0(VALU_DEP_4) | instskip(NEXT) | instid1(VALU_DEP_3)
	v_dual_fmac_f32 v24, v25, v7 :: v_dual_lshlrev_b32 v7, 16, v52
	v_dual_fmac_f32 v22, v28, v11 :: v_dual_lshlrev_b32 v75, 16, v38
	v_and_b32_e32 v30, 0xffff0000, v30
	s_delay_alu instid0(VALU_DEP_4) | instskip(SKIP_2) | instid1(VALU_DEP_4)
	v_dual_fmac_f32 v8, v64, v11 :: v_dual_lshlrev_b32 v73, 16, v36
	v_lshlrev_b32_e32 v66, 16, v29
	v_dual_fmac_f32 v24, v27, v11 :: v_dual_and_b32 v29, 0xffff0000, v29
	v_dual_fmac_f32 v22, v30, v7 :: v_dual_lshlrev_b32 v79, 16, v42
	v_lshlrev_b32_e32 v70, 16, v33
	v_and_b32_e32 v33, 0xffff0000, v33
	s_delay_alu instid0(VALU_DEP_4) | instskip(SKIP_4) | instid1(VALU_DEP_4)
	v_dual_fmac_f32 v24, v29, v7 :: v_dual_and_b32 v37, 0xffff0000, v37
	v_dual_fmac_f32 v8, v66, v7 :: v_dual_and_b32 v11, 0xffff0000, v52
	v_lshlrev_b32_e32 v77, 16, v40
	v_fmac_f32_e32 v23, v67, v7
	v_lshlrev_b32_e32 v7, 16, v53
	v_dual_fmac_f32 v24, v31, v11 :: v_dual_and_b32 v41, 0xffff0000, v41
	v_fmac_f32_e32 v8, v68, v11
	v_and_b32_e32 v32, 0xffff0000, v32
	v_lshlrev_b32_e32 v81, 16, v44
	v_dual_fmac_f32 v23, v69, v11 :: v_dual_and_b32 v38, 0xffff0000, v38
	s_delay_alu instid0(VALU_DEP_4) | instskip(SKIP_4) | instid1(VALU_DEP_3)
	v_fmac_f32_e32 v8, v70, v7
	v_and_b32_e32 v34, 0xffff0000, v34
	v_dual_fmac_f32 v22, v32, v11 :: v_dual_and_b32 v45, 0xffff0000, v45
	v_dual_fmac_f32 v24, v33, v7 :: v_dual_lshlrev_b32 v83, 16, v46
	v_fmac_f32_e32 v23, v71, v7
	v_fmac_f32_e32 v22, v34, v7
	v_and_b32_e32 v36, 0xffff0000, v36
	v_lshlrev_b32_e32 v7, 16, v54
	v_and_b32_e32 v11, 0xffff0000, v53
	v_and_b32_e32 v40, 0xffff0000, v40
	;; [unrolled: 1-line block ×5, first 2 shown]
	v_fmac_f32_e32 v22, v36, v11
	s_delay_alu instid0(VALU_DEP_1) | instskip(SKIP_3) | instid1(VALU_DEP_3)
	v_fmac_f32_e32 v22, v38, v7
	v_fmac_f32_e32 v24, v35, v11
	;; [unrolled: 1-line block ×4, first 2 shown]
	v_dual_fmac_f32 v24, v37, v7 :: v_dual_and_b32 v11, 0xffff0000, v54
	s_delay_alu instid0(VALU_DEP_1) | instskip(NEXT) | instid1(VALU_DEP_4)
	v_fmac_f32_e32 v24, v39, v11
	v_fmac_f32_e32 v8, v74, v7
	s_delay_alu instid0(VALU_DEP_4) | instskip(NEXT) | instid1(VALU_DEP_2)
	v_fmac_f32_e32 v23, v75, v7
	v_dual_fmac_f32 v8, v76, v11 :: v_dual_lshlrev_b32 v7, 16, v49
	s_delay_alu instid0(VALU_DEP_1) | instskip(NEXT) | instid1(VALU_DEP_3)
	v_fmac_f32_e32 v8, v78, v7
	v_fmac_f32_e32 v23, v77, v11
	v_dual_fmac_f32 v22, v40, v11 :: v_dual_and_b32 v11, 0xffff0000, v49
	v_fmac_f32_e32 v24, v41, v7
	s_delay_alu instid0(VALU_DEP_3) | instskip(NEXT) | instid1(VALU_DEP_3)
	v_fmac_f32_e32 v23, v79, v7
	v_dual_fmac_f32 v22, v42, v7 :: v_dual_lshlrev_b32 v7, 16, v50
	s_delay_alu instid0(VALU_DEP_4) | instskip(NEXT) | instid1(VALU_DEP_4)
	v_fmac_f32_e32 v8, v80, v11
	v_fmac_f32_e32 v24, v43, v11
	s_delay_alu instid0(VALU_DEP_4) | instskip(NEXT) | instid1(VALU_DEP_4)
	v_fmac_f32_e32 v23, v81, v11
	v_dual_fmac_f32 v22, v44, v11 :: v_dual_and_b32 v11, 0xffff0000, v50
	s_delay_alu instid0(VALU_DEP_4) | instskip(NEXT) | instid1(VALU_DEP_4)
	v_fmac_f32_e32 v8, v82, v7
	v_fmac_f32_e32 v24, v45, v7
	s_delay_alu instid0(VALU_DEP_4) | instskip(NEXT) | instid1(VALU_DEP_4)
	v_fmac_f32_e32 v23, v83, v7
	v_fmac_f32_e32 v22, v46, v7
	;; [unrolled: 3-line block ×4, first 2 shown]
	s_wait_alu 0xfffe
	s_and_not1_b32 exec_lo, exec_lo, s6
	s_cbranch_execnz .LBB112_33
; %bb.34:
	s_or_b32 exec_lo, exec_lo, s6
.LBB112_35:
	s_wait_alu 0xfffe
	s_or_b32 exec_lo, exec_lo, s2
.LBB112_36:
	s_wait_alu 0xfffe
	s_or_b32 exec_lo, exec_lo, s3
.LBB112_37:
	v_mbcnt_lo_u32_b32 v0, -1, 0
	s_mov_b32 s2, -1
	s_delay_alu instid0(VALU_DEP_1) | instskip(SKIP_2) | instid1(VALU_DEP_3)
	v_xor_b32_e32 v1, 8, v0
	v_xor_b32_e32 v6, 4, v0
	;; [unrolled: 1-line block ×3, first 2 shown]
	v_cmp_gt_i32_e32 vcc_lo, 32, v1
	s_wait_alu 0xfffd
	v_cndmask_b32_e32 v1, v0, v1, vcc_lo
	v_cmp_gt_i32_e32 vcc_lo, 32, v6
	s_wait_alu 0xfffd
	v_cndmask_b32_e32 v6, v0, v6, vcc_lo
	v_cmp_gt_i32_e32 vcc_lo, 32, v10
	s_delay_alu instid0(VALU_DEP_2)
	v_lshlrev_b32_e32 v6, 2, v6
	s_wait_alu 0xfffd
	v_dual_cndmask_b32 v10, v0, v10 :: v_dual_lshlrev_b32 v1, 2, v1
	ds_bpermute_b32 v2, v1, v8
	v_lshlrev_b32_e32 v10, 2, v10
	s_wait_dscnt 0x0
	v_add_f32_e32 v2, v8, v2
	ds_bpermute_b32 v3, v1, v24
	ds_bpermute_b32 v5, v1, v23
	;; [unrolled: 1-line block ×4, first 2 shown]
	s_wait_dscnt 0x3
	v_add_f32_e32 v3, v24, v3
	s_wait_dscnt 0x2
	v_add_f32_e32 v5, v23, v5
	;; [unrolled: 2-line block ×3, first 2 shown]
	ds_bpermute_b32 v8, v6, v3
	ds_bpermute_b32 v9, v6, v5
	;; [unrolled: 1-line block ×3, first 2 shown]
	s_wait_dscnt 0x2
	v_dual_add_f32 v2, v2, v7 :: v_dual_add_f32 v3, v3, v8
	s_wait_dscnt 0x1
	v_add_f32_e32 v5, v5, v9
	ds_bpermute_b32 v7, v10, v3
	s_wait_dscnt 0x1
	v_add_f32_e32 v6, v1, v6
	ds_bpermute_b32 v1, v10, v2
	ds_bpermute_b32 v8, v10, v5
	;; [unrolled: 1-line block ×3, first 2 shown]
	v_xor_b32_e32 v10, 1, v0
	s_delay_alu instid0(VALU_DEP_1) | instskip(SKIP_3) | instid1(VALU_DEP_2)
	v_cmp_gt_i32_e32 vcc_lo, 32, v10
	s_wait_alu 0xfffd
	v_cndmask_b32_e32 v0, v0, v10, vcc_lo
	v_cmp_eq_u32_e32 vcc_lo, 15, v21
	v_lshlrev_b32_e32 v10, 2, v0
	s_wait_dscnt 0x2
	v_dual_add_f32 v0, v2, v1 :: v_dual_add_f32 v1, v3, v7
	s_wait_dscnt 0x0
	v_dual_add_f32 v2, v5, v8 :: v_dual_add_f32 v3, v6, v9
	ds_bpermute_b32 v5, v10, v0
	ds_bpermute_b32 v6, v10, v1
	;; [unrolled: 1-line block ×4, first 2 shown]
	s_and_b32 exec_lo, exec_lo, vcc_lo
	s_cbranch_execz .LBB112_10
; %bb.38:
	s_load_b64 s[0:1], s[0:1], 0x50
	s_wait_dscnt 0x2
	v_dual_add_f32 v0, v0, v5 :: v_dual_add_f32 v1, v1, v6
	s_wait_dscnt 0x0
	v_dual_add_f32 v2, v2, v7 :: v_dual_add_f32 v3, v3, v8
	v_lshlrev_b32_e32 v4, 2, v4
	s_delay_alu instid0(VALU_DEP_3) | instskip(NEXT) | instid1(VALU_DEP_3)
	v_dual_mul_f32 v0, s14, v0 :: v_dual_mul_f32 v1, s14, v1
	v_dual_mul_f32 v2, s14, v2 :: v_dual_mul_f32 v3, s14, v3
	s_cmp_eq_f32 s12, 0
	s_cbranch_scc0 .LBB112_40
; %bb.39:
	v_ashrrev_i32_e32 v5, 31, v4
	s_mov_b32 s2, 0
	s_delay_alu instid0(VALU_DEP_1) | instskip(SKIP_1) | instid1(VALU_DEP_1)
	v_lshlrev_b64_e32 v[5:6], 2, v[4:5]
	s_wait_kmcnt 0x0
	v_add_co_u32 v5, vcc_lo, s0, v5
	s_wait_alu 0xfffd
	s_delay_alu instid0(VALU_DEP_2)
	v_add_co_ci_u32_e64 v6, null, s1, v6, vcc_lo
	global_store_b128 v[5:6], v[0:3], off
.LBB112_40:
	s_wait_alu 0xfffe
	s_and_not1_b32 vcc_lo, exec_lo, s2
	s_wait_alu 0xfffe
	s_cbranch_vccnz .LBB112_10
; %bb.41:
	v_ashrrev_i32_e32 v5, 31, v4
	s_delay_alu instid0(VALU_DEP_1) | instskip(SKIP_1) | instid1(VALU_DEP_1)
	v_lshlrev_b64_e32 v[4:5], 2, v[4:5]
	s_wait_kmcnt 0x0
	v_add_co_u32 v8, vcc_lo, s0, v4
	s_wait_alu 0xfffd
	s_delay_alu instid0(VALU_DEP_2)
	v_add_co_ci_u32_e64 v9, null, s1, v5, vcc_lo
	global_load_b128 v[4:7], v[8:9], off
	s_wait_loadcnt 0x0
	v_dual_fmac_f32 v0, s12, v4 :: v_dual_fmac_f32 v1, s12, v5
	v_dual_fmac_f32 v2, s12, v6 :: v_dual_fmac_f32 v3, s12, v7
	global_store_b128 v[8:9], v[0:3], off
	s_endpgm
	.section	.rodata,"a",@progbits
	.p2align	6, 0x0
	.amdhsa_kernel _ZN9rocsparseL18bsrxmvn_4x4_kernelILj128ELj16Efli18rocsparse_bfloat16S1_fEEvT3_20rocsparse_direction_NS_24const_host_device_scalarIT1_EES2_PKS2_PKT2_SB_S8_PKT4_PKT5_S6_PT6_21rocsparse_index_base_b
		.amdhsa_group_segment_fixed_size 0
		.amdhsa_private_segment_fixed_size 0
		.amdhsa_kernarg_size 96
		.amdhsa_user_sgpr_count 2
		.amdhsa_user_sgpr_dispatch_ptr 0
		.amdhsa_user_sgpr_queue_ptr 0
		.amdhsa_user_sgpr_kernarg_segment_ptr 1
		.amdhsa_user_sgpr_dispatch_id 0
		.amdhsa_user_sgpr_private_segment_size 0
		.amdhsa_wavefront_size32 1
		.amdhsa_uses_dynamic_stack 0
		.amdhsa_enable_private_segment 0
		.amdhsa_system_sgpr_workgroup_id_x 1
		.amdhsa_system_sgpr_workgroup_id_y 0
		.amdhsa_system_sgpr_workgroup_id_z 0
		.amdhsa_system_sgpr_workgroup_info 0
		.amdhsa_system_vgpr_workitem_id 0
		.amdhsa_next_free_vgpr 93
		.amdhsa_next_free_sgpr 18
		.amdhsa_reserve_vcc 1
		.amdhsa_float_round_mode_32 0
		.amdhsa_float_round_mode_16_64 0
		.amdhsa_float_denorm_mode_32 3
		.amdhsa_float_denorm_mode_16_64 3
		.amdhsa_fp16_overflow 0
		.amdhsa_workgroup_processor_mode 1
		.amdhsa_memory_ordered 1
		.amdhsa_forward_progress 1
		.amdhsa_inst_pref_size 43
		.amdhsa_round_robin_scheduling 0
		.amdhsa_exception_fp_ieee_invalid_op 0
		.amdhsa_exception_fp_denorm_src 0
		.amdhsa_exception_fp_ieee_div_zero 0
		.amdhsa_exception_fp_ieee_overflow 0
		.amdhsa_exception_fp_ieee_underflow 0
		.amdhsa_exception_fp_ieee_inexact 0
		.amdhsa_exception_int_div_zero 0
	.end_amdhsa_kernel
	.section	.text._ZN9rocsparseL18bsrxmvn_4x4_kernelILj128ELj16Efli18rocsparse_bfloat16S1_fEEvT3_20rocsparse_direction_NS_24const_host_device_scalarIT1_EES2_PKS2_PKT2_SB_S8_PKT4_PKT5_S6_PT6_21rocsparse_index_base_b,"axG",@progbits,_ZN9rocsparseL18bsrxmvn_4x4_kernelILj128ELj16Efli18rocsparse_bfloat16S1_fEEvT3_20rocsparse_direction_NS_24const_host_device_scalarIT1_EES2_PKS2_PKT2_SB_S8_PKT4_PKT5_S6_PT6_21rocsparse_index_base_b,comdat
.Lfunc_end112:
	.size	_ZN9rocsparseL18bsrxmvn_4x4_kernelILj128ELj16Efli18rocsparse_bfloat16S1_fEEvT3_20rocsparse_direction_NS_24const_host_device_scalarIT1_EES2_PKS2_PKT2_SB_S8_PKT4_PKT5_S6_PT6_21rocsparse_index_base_b, .Lfunc_end112-_ZN9rocsparseL18bsrxmvn_4x4_kernelILj128ELj16Efli18rocsparse_bfloat16S1_fEEvT3_20rocsparse_direction_NS_24const_host_device_scalarIT1_EES2_PKS2_PKT2_SB_S8_PKT4_PKT5_S6_PT6_21rocsparse_index_base_b
                                        ; -- End function
	.set _ZN9rocsparseL18bsrxmvn_4x4_kernelILj128ELj16Efli18rocsparse_bfloat16S1_fEEvT3_20rocsparse_direction_NS_24const_host_device_scalarIT1_EES2_PKS2_PKT2_SB_S8_PKT4_PKT5_S6_PT6_21rocsparse_index_base_b.num_vgpr, 93
	.set _ZN9rocsparseL18bsrxmvn_4x4_kernelILj128ELj16Efli18rocsparse_bfloat16S1_fEEvT3_20rocsparse_direction_NS_24const_host_device_scalarIT1_EES2_PKS2_PKT2_SB_S8_PKT4_PKT5_S6_PT6_21rocsparse_index_base_b.num_agpr, 0
	.set _ZN9rocsparseL18bsrxmvn_4x4_kernelILj128ELj16Efli18rocsparse_bfloat16S1_fEEvT3_20rocsparse_direction_NS_24const_host_device_scalarIT1_EES2_PKS2_PKT2_SB_S8_PKT4_PKT5_S6_PT6_21rocsparse_index_base_b.numbered_sgpr, 18
	.set _ZN9rocsparseL18bsrxmvn_4x4_kernelILj128ELj16Efli18rocsparse_bfloat16S1_fEEvT3_20rocsparse_direction_NS_24const_host_device_scalarIT1_EES2_PKS2_PKT2_SB_S8_PKT4_PKT5_S6_PT6_21rocsparse_index_base_b.num_named_barrier, 0
	.set _ZN9rocsparseL18bsrxmvn_4x4_kernelILj128ELj16Efli18rocsparse_bfloat16S1_fEEvT3_20rocsparse_direction_NS_24const_host_device_scalarIT1_EES2_PKS2_PKT2_SB_S8_PKT4_PKT5_S6_PT6_21rocsparse_index_base_b.private_seg_size, 0
	.set _ZN9rocsparseL18bsrxmvn_4x4_kernelILj128ELj16Efli18rocsparse_bfloat16S1_fEEvT3_20rocsparse_direction_NS_24const_host_device_scalarIT1_EES2_PKS2_PKT2_SB_S8_PKT4_PKT5_S6_PT6_21rocsparse_index_base_b.uses_vcc, 1
	.set _ZN9rocsparseL18bsrxmvn_4x4_kernelILj128ELj16Efli18rocsparse_bfloat16S1_fEEvT3_20rocsparse_direction_NS_24const_host_device_scalarIT1_EES2_PKS2_PKT2_SB_S8_PKT4_PKT5_S6_PT6_21rocsparse_index_base_b.uses_flat_scratch, 0
	.set _ZN9rocsparseL18bsrxmvn_4x4_kernelILj128ELj16Efli18rocsparse_bfloat16S1_fEEvT3_20rocsparse_direction_NS_24const_host_device_scalarIT1_EES2_PKS2_PKT2_SB_S8_PKT4_PKT5_S6_PT6_21rocsparse_index_base_b.has_dyn_sized_stack, 0
	.set _ZN9rocsparseL18bsrxmvn_4x4_kernelILj128ELj16Efli18rocsparse_bfloat16S1_fEEvT3_20rocsparse_direction_NS_24const_host_device_scalarIT1_EES2_PKS2_PKT2_SB_S8_PKT4_PKT5_S6_PT6_21rocsparse_index_base_b.has_recursion, 0
	.set _ZN9rocsparseL18bsrxmvn_4x4_kernelILj128ELj16Efli18rocsparse_bfloat16S1_fEEvT3_20rocsparse_direction_NS_24const_host_device_scalarIT1_EES2_PKS2_PKT2_SB_S8_PKT4_PKT5_S6_PT6_21rocsparse_index_base_b.has_indirect_call, 0
	.section	.AMDGPU.csdata,"",@progbits
; Kernel info:
; codeLenInByte = 5468
; TotalNumSgprs: 20
; NumVgprs: 93
; ScratchSize: 0
; MemoryBound: 0
; FloatMode: 240
; IeeeMode: 1
; LDSByteSize: 0 bytes/workgroup (compile time only)
; SGPRBlocks: 0
; VGPRBlocks: 11
; NumSGPRsForWavesPerEU: 20
; NumVGPRsForWavesPerEU: 93
; Occupancy: 16
; WaveLimiterHint : 1
; COMPUTE_PGM_RSRC2:SCRATCH_EN: 0
; COMPUTE_PGM_RSRC2:USER_SGPR: 2
; COMPUTE_PGM_RSRC2:TRAP_HANDLER: 0
; COMPUTE_PGM_RSRC2:TGID_X_EN: 1
; COMPUTE_PGM_RSRC2:TGID_Y_EN: 0
; COMPUTE_PGM_RSRC2:TGID_Z_EN: 0
; COMPUTE_PGM_RSRC2:TIDIG_COMP_CNT: 0
	.section	.text._ZN9rocsparseL18bsrxmvn_4x4_kernelILj128ELj32Efli18rocsparse_bfloat16S1_fEEvT3_20rocsparse_direction_NS_24const_host_device_scalarIT1_EES2_PKS2_PKT2_SB_S8_PKT4_PKT5_S6_PT6_21rocsparse_index_base_b,"axG",@progbits,_ZN9rocsparseL18bsrxmvn_4x4_kernelILj128ELj32Efli18rocsparse_bfloat16S1_fEEvT3_20rocsparse_direction_NS_24const_host_device_scalarIT1_EES2_PKS2_PKT2_SB_S8_PKT4_PKT5_S6_PT6_21rocsparse_index_base_b,comdat
	.globl	_ZN9rocsparseL18bsrxmvn_4x4_kernelILj128ELj32Efli18rocsparse_bfloat16S1_fEEvT3_20rocsparse_direction_NS_24const_host_device_scalarIT1_EES2_PKS2_PKT2_SB_S8_PKT4_PKT5_S6_PT6_21rocsparse_index_base_b ; -- Begin function _ZN9rocsparseL18bsrxmvn_4x4_kernelILj128ELj32Efli18rocsparse_bfloat16S1_fEEvT3_20rocsparse_direction_NS_24const_host_device_scalarIT1_EES2_PKS2_PKT2_SB_S8_PKT4_PKT5_S6_PT6_21rocsparse_index_base_b
	.p2align	8
	.type	_ZN9rocsparseL18bsrxmvn_4x4_kernelILj128ELj32Efli18rocsparse_bfloat16S1_fEEvT3_20rocsparse_direction_NS_24const_host_device_scalarIT1_EES2_PKS2_PKT2_SB_S8_PKT4_PKT5_S6_PT6_21rocsparse_index_base_b,@function
_ZN9rocsparseL18bsrxmvn_4x4_kernelILj128ELj32Efli18rocsparse_bfloat16S1_fEEvT3_20rocsparse_direction_NS_24const_host_device_scalarIT1_EES2_PKS2_PKT2_SB_S8_PKT4_PKT5_S6_PT6_21rocsparse_index_base_b: ; @_ZN9rocsparseL18bsrxmvn_4x4_kernelILj128ELj32Efli18rocsparse_bfloat16S1_fEEvT3_20rocsparse_direction_NS_24const_host_device_scalarIT1_EES2_PKS2_PKT2_SB_S8_PKT4_PKT5_S6_PT6_21rocsparse_index_base_b
; %bb.0:
	s_clause 0x2
	s_load_b64 s[16:17], s[0:1], 0x58
	s_load_b64 s[14:15], s[0:1], 0x8
	;; [unrolled: 1-line block ×3, first 2 shown]
	s_wait_kmcnt 0x0
	s_bitcmp1_b32 s17, 0
	s_cselect_b32 s2, -1, 0
	s_delay_alu instid0(SALU_CYCLE_1)
	s_and_b32 vcc_lo, exec_lo, s2
	s_xor_b32 s2, s2, -1
	s_cbranch_vccnz .LBB113_2
; %bb.1:
	s_load_b32 s14, s[14:15], 0x0
.LBB113_2:
	s_and_not1_b32 vcc_lo, exec_lo, s2
	s_cbranch_vccnz .LBB113_4
; %bb.3:
	s_load_b32 s12, s[12:13], 0x0
.LBB113_4:
	s_wait_kmcnt 0x0
	s_cmp_neq_f32 s14, 0
	s_mov_b32 s6, 0
	s_cselect_b32 s2, -1, 0
	s_cmp_neq_f32 s12, 1.0
	s_cselect_b32 s3, -1, 0
	s_delay_alu instid0(SALU_CYCLE_1) | instskip(NEXT) | instid1(SALU_CYCLE_1)
	s_or_b32 s2, s2, s3
	s_and_not1_b32 vcc_lo, exec_lo, s2
	s_cbranch_vccnz .LBB113_10
; %bb.5:
	s_clause 0x1
	s_load_b64 s[4:5], s[0:1], 0x18
	s_load_b64 s[2:3], s[0:1], 0x0
	v_lshrrev_b32_e32 v1, 5, v0
	s_delay_alu instid0(VALU_DEP_1)
	v_lshl_or_b32 v4, ttmp9, 2, v1
	s_wait_kmcnt 0x0
	s_cmp_lg_u64 s[4:5], 0
	s_cbranch_scc0 .LBB113_11
; %bb.6:
	s_load_b32 s6, s[0:1], 0x10
	s_mov_b32 s7, 0
                                        ; implicit-def: $vgpr1
	s_wait_kmcnt 0x0
	v_cmp_gt_i32_e32 vcc_lo, s6, v4
	s_mov_b32 s6, 0
	s_and_saveexec_b32 s8, vcc_lo
	s_delay_alu instid0(SALU_CYCLE_1)
	s_xor_b32 s8, exec_lo, s8
	s_cbranch_execz .LBB113_8
; %bb.7:
	v_ashrrev_i32_e32 v5, 31, v4
	s_mov_b32 s6, exec_lo
	s_delay_alu instid0(VALU_DEP_1) | instskip(NEXT) | instid1(VALU_DEP_1)
	v_lshlrev_b64_e32 v[1:2], 2, v[4:5]
	v_add_co_u32 v1, vcc_lo, s4, v1
	s_delay_alu instid0(VALU_DEP_1)
	v_add_co_ci_u32_e64 v2, null, s5, v2, vcc_lo
	global_load_b32 v1, v[1:2], off
	s_wait_loadcnt 0x0
	v_subrev_nc_u32_e32 v1, s16, v1
.LBB113_8:
	s_or_b32 exec_lo, exec_lo, s8
	s_delay_alu instid0(SALU_CYCLE_1)
	s_and_b32 vcc_lo, exec_lo, s7
	s_wait_alu 0xfffe
	s_cbranch_vccz .LBB113_12
.LBB113_9:
	v_cmp_gt_i32_e32 vcc_lo, s2, v4
	s_and_not1_b32 s2, s6, exec_lo
	s_and_b32 s4, vcc_lo, exec_lo
	s_wait_alu 0xfffe
	s_or_b32 s6, s2, s4
	s_wait_alu 0xfffe
	s_and_saveexec_b32 s2, s6
	s_cbranch_execnz .LBB113_13
.LBB113_10:
	s_endpgm
.LBB113_11:
                                        ; implicit-def: $vgpr1
	s_cbranch_execnz .LBB113_9
.LBB113_12:
	v_mov_b32_e32 v4, v1
	s_and_saveexec_b32 s2, s6
	s_cbranch_execz .LBB113_10
.LBB113_13:
	s_load_b256 s[4:11], s[0:1], 0x20
	s_delay_alu instid0(VALU_DEP_1) | instskip(SKIP_1) | instid1(VALU_DEP_2)
	v_ashrrev_i32_e32 v5, 31, v4
	v_dual_mov_b32 v22, 0 :: v_dual_and_b32 v21, 31, v0
	v_lshlrev_b64_e32 v[1:2], 3, v[4:5]
	s_wait_kmcnt 0x0
	s_delay_alu instid0(VALU_DEP_1) | instskip(SKIP_1) | instid1(VALU_DEP_2)
	v_add_co_u32 v5, vcc_lo, s4, v1
	s_wait_alu 0xfffd
	v_add_co_ci_u32_e64 v6, null, s5, v2, vcc_lo
	v_add_co_u32 v1, vcc_lo, s6, v1
	s_wait_alu 0xfffd
	v_add_co_ci_u32_e64 v2, null, s7, v2, vcc_lo
	v_add_co_u32 v3, vcc_lo, v5, 8
	global_load_b64 v[9:10], v[5:6], off
	s_wait_alu 0xfffd
	v_add_co_ci_u32_e64 v7, null, 0, v6, vcc_lo
	s_cmp_eq_u64 s[6:7], 0
	s_load_b64 s[4:5], s[0:1], 0x40
	s_cselect_b32 vcc_lo, -1, 0
	s_cmp_eq_u32 s3, 1
	s_wait_alu 0xfffe
	v_cndmask_b32_e32 v2, v2, v7, vcc_lo
	v_cndmask_b32_e32 v1, v1, v3, vcc_lo
	global_load_b64 v[2:3], v[1:2], off
	s_wait_loadcnt 0x1
	v_sub_co_u32 v0, vcc_lo, v9, s16
	s_wait_alu 0xfffd
	v_subrev_co_ci_u32_e64 v1, null, 0, v10, vcc_lo
	s_delay_alu instid0(VALU_DEP_2) | instskip(SKIP_1) | instid1(VALU_DEP_2)
	v_add_co_u32 v0, vcc_lo, v0, v21
	s_wait_alu 0xfffd
	v_add_co_ci_u32_e64 v1, null, 0, v1, vcc_lo
	s_delay_alu instid0(VALU_DEP_1) | instskip(SKIP_4) | instid1(VALU_DEP_3)
	v_lshlrev_b64_e32 v[5:6], 5, v[0:1]
	s_wait_loadcnt 0x0
	v_sub_co_u32 v2, vcc_lo, v2, s16
	s_wait_alu 0xfffd
	v_subrev_co_ci_u32_e64 v3, null, 0, v3, vcc_lo
	v_add_co_u32 v5, vcc_lo, s10, v5
	s_delay_alu instid0(VALU_DEP_2)
	v_cmp_lt_i64_e64 s2, v[0:1], v[2:3]
	s_wait_alu 0xfffd
	v_add_co_ci_u32_e64 v6, null, s11, v6, vcc_lo
	s_cbranch_scc1 .LBB113_25
; %bb.14:
	v_dual_mov_b32 v23, 0 :: v_dual_mov_b32 v24, 0
	v_mov_b32_e32 v8, 0
	s_and_saveexec_b32 s3, s2
	s_cbranch_execz .LBB113_24
; %bb.15:
	v_or_b32_e32 v7, 32, v21
	v_not_b32_e32 v12, v9
	v_not_b32_e32 v11, v10
	s_delay_alu instid0(VALU_DEP_3) | instskip(SKIP_3) | instid1(VALU_DEP_3)
	v_sub_co_u32 v7, s6, v7, s16
	s_wait_alu 0xf1ff
	v_sub_co_ci_u32_e64 v8, null, 0, 0, s6
	v_sub_co_u32 v13, s6, s16, v21
	v_add_co_u32 v7, vcc_lo, v7, v9
	s_wait_alu 0xfffd
	s_delay_alu instid0(VALU_DEP_3)
	v_add_co_ci_u32_e64 v8, null, v8, v10, vcc_lo
	s_wait_alu 0xf1ff
	v_sub_co_ci_u32_e64 v14, null, 0, 0, s6
	s_mov_b32 s6, exec_lo
	v_cmp_gt_i64_e32 vcc_lo, v[7:8], v[2:3]
	s_wait_alu 0xfffd
	v_dual_cndmask_b32 v16, v3, v8 :: v_dual_cndmask_b32 v7, v2, v7
	v_add_co_u32 v8, vcc_lo, v13, v12
	s_wait_alu 0xfffd
	v_add_co_ci_u32_e64 v11, null, v14, v11, vcc_lo
	v_mov_b32_e32 v14, v6
	s_delay_alu instid0(VALU_DEP_3) | instskip(SKIP_4) | instid1(VALU_DEP_3)
	v_add_co_u32 v15, vcc_lo, v8, v7
	v_mov_b32_e32 v8, 0
	s_wait_alu 0xfffd
	v_add_co_ci_u32_e64 v16, null, v11, v16, vcc_lo
	v_dual_mov_b32 v12, v1 :: v_dual_mov_b32 v13, v5
	v_dual_mov_b32 v24, v8 :: v_dual_and_b32 v7, 0x60, v15
	v_dual_mov_b32 v23, v8 :: v_dual_mov_b32 v22, v8
	v_mov_b32_e32 v11, v0
	s_delay_alu instid0(VALU_DEP_3)
	v_cmpx_ne_u64_e32 0x60, v[7:8]
	s_cbranch_execz .LBB113_19
; %bb.16:
	v_lshrrev_b32_e32 v7, 5, v15
	v_mov_b32_e32 v22, 0
	v_dual_mov_b32 v14, v6 :: v_dual_mov_b32 v13, v5
	v_dual_mov_b32 v12, v1 :: v_dual_mov_b32 v11, v0
	s_delay_alu instid0(VALU_DEP_4) | instskip(SKIP_2) | instid1(VALU_DEP_3)
	v_add_nc_u32_e32 v17, 1, v7
	v_lshlrev_b64_e32 v[7:8], 2, v[0:1]
	v_dual_mov_b32 v23, 0 :: v_dual_mov_b32 v24, 0
	v_and_b32_e32 v19, 3, v17
	s_delay_alu instid0(VALU_DEP_3) | instskip(SKIP_1) | instid1(VALU_DEP_4)
	v_add_co_u32 v17, vcc_lo, s8, v7
	s_wait_alu 0xfffd
	v_add_co_ci_u32_e64 v18, null, s9, v8, vcc_lo
	v_mov_b32_e32 v8, 0
	v_sub_co_u32 v19, s7, 0, v19
	s_wait_alu 0xf1ff
	v_sub_co_ci_u32_e64 v20, null, 0, 0, s7
	s_mov_b32 s7, 0
.LBB113_17:                             ; =>This Inner Loop Header: Depth=1
	global_load_b32 v7, v[17:18], off
	global_load_b128 v[25:28], v[13:14], off
	s_wait_loadcnt 0x1
	v_subrev_nc_u32_e32 v7, s16, v7
	s_delay_alu instid0(VALU_DEP_1) | instskip(NEXT) | instid1(VALU_DEP_1)
	v_lshlrev_b32_e32 v29, 2, v7
	v_ashrrev_i32_e32 v30, 31, v29
	s_delay_alu instid0(VALU_DEP_1) | instskip(SKIP_1) | instid1(VALU_DEP_1)
	v_lshlrev_b64_e32 v[29:30], 1, v[29:30]
	s_wait_kmcnt 0x0
	v_add_co_u32 v33, vcc_lo, s4, v29
	s_wait_alu 0xfffd
	s_delay_alu instid0(VALU_DEP_2)
	v_add_co_ci_u32_e64 v34, null, s5, v30, vcc_lo
	global_load_b128 v[29:32], v[13:14], off offset:16
	global_load_b64 v[33:34], v[33:34], off
	v_add_co_u32 v13, vcc_lo, 0x400, v13
	s_wait_alu 0xfffd
	v_add_co_ci_u32_e64 v14, null, 0, v14, vcc_lo
	v_add_co_u32 v11, vcc_lo, v11, 32
	s_wait_alu 0xfffd
	v_add_co_ci_u32_e64 v12, null, 0, v12, vcc_lo
	;; [unrolled: 3-line block ×4, first 2 shown]
	s_delay_alu instid0(VALU_DEP_1)
	v_cmp_eq_u64_e32 vcc_lo, 0, v[19:20]
	s_wait_alu 0xfffe
	s_or_b32 s7, vcc_lo, s7
	s_wait_loadcnt 0x1
	v_lshlrev_b32_e32 v38, 16, v29
	s_wait_loadcnt 0x0
	v_lshlrev_b32_e32 v42, 16, v33
	v_lshlrev_b32_e32 v36, 16, v27
	s_delay_alu instid0(VALU_DEP_2) | instskip(NEXT) | instid1(VALU_DEP_2)
	v_dual_fmac_f32 v23, v38, v42 :: v_dual_lshlrev_b32 v40, 16, v31
	v_dual_fmac_f32 v24, v36, v42 :: v_dual_lshlrev_b32 v7, 16, v25
	s_delay_alu instid0(VALU_DEP_2) | instskip(NEXT) | instid1(VALU_DEP_2)
	v_dual_fmac_f32 v22, v40, v42 :: v_dual_and_b32 v25, 0xffff0000, v25
	v_fmac_f32_e32 v8, v7, v42
	v_lshlrev_b32_e32 v7, 16, v34
	v_and_b32_e32 v33, 0xffff0000, v33
	s_delay_alu instid0(VALU_DEP_1) | instskip(SKIP_1) | instid1(VALU_DEP_2)
	v_dual_fmac_f32 v8, v25, v33 :: v_dual_lshlrev_b32 v35, 16, v26
	v_and_b32_e32 v29, 0xffff0000, v29
	v_dual_fmac_f32 v8, v35, v7 :: v_dual_and_b32 v25, 0xffff0000, v34
	s_delay_alu instid0(VALU_DEP_2) | instskip(NEXT) | instid1(VALU_DEP_1)
	v_dual_fmac_f32 v23, v29, v33 :: v_dual_and_b32 v26, 0xffff0000, v26
	v_dual_fmac_f32 v8, v26, v25 :: v_dual_and_b32 v31, 0xffff0000, v31
	s_delay_alu instid0(VALU_DEP_1) | instskip(NEXT) | instid1(VALU_DEP_1)
	v_dual_fmac_f32 v22, v31, v33 :: v_dual_and_b32 v27, 0xffff0000, v27
	v_dual_fmac_f32 v24, v27, v33 :: v_dual_lshlrev_b32 v37, 16, v28
	v_lshlrev_b32_e32 v39, 16, v30
	v_and_b32_e32 v30, 0xffff0000, v30
	s_delay_alu instid0(VALU_DEP_3) | instskip(NEXT) | instid1(VALU_DEP_3)
	v_fmac_f32_e32 v24, v37, v7
	v_dual_fmac_f32 v23, v39, v7 :: v_dual_and_b32 v28, 0xffff0000, v28
	v_lshlrev_b32_e32 v41, 16, v32
	v_and_b32_e32 v32, 0xffff0000, v32
	s_delay_alu instid0(VALU_DEP_3) | instskip(NEXT) | instid1(VALU_DEP_3)
	v_fmac_f32_e32 v24, v28, v25
	v_dual_fmac_f32 v23, v30, v25 :: v_dual_fmac_f32 v22, v41, v7
	s_delay_alu instid0(VALU_DEP_1)
	v_fmac_f32_e32 v22, v32, v25
	s_wait_alu 0xfffe
	s_and_not1_b32 exec_lo, exec_lo, s7
	s_cbranch_execnz .LBB113_17
; %bb.18:
	s_or_b32 exec_lo, exec_lo, s7
.LBB113_19:
	s_wait_alu 0xfffe
	s_or_b32 exec_lo, exec_lo, s6
	s_delay_alu instid0(SALU_CYCLE_1)
	s_mov_b32 s6, exec_lo
	v_cmpx_lt_u64_e32 0x5f, v[15:16]
	s_cbranch_execz .LBB113_23
; %bb.20:
	v_lshlrev_b64_e32 v[15:16], 2, v[11:12]
	s_mov_b32 s7, 0
	s_delay_alu instid0(VALU_DEP_1) | instskip(SKIP_1) | instid1(VALU_DEP_2)
	v_add_co_u32 v7, vcc_lo, s8, v15
	s_wait_alu 0xfffd
	v_add_co_ci_u32_e64 v16, null, s9, v16, vcc_lo
	s_delay_alu instid0(VALU_DEP_2) | instskip(SKIP_1) | instid1(VALU_DEP_2)
	v_add_co_u32 v15, vcc_lo, 0x100, v7
	s_wait_alu 0xfffd
	v_add_co_ci_u32_e64 v16, null, 0, v16, vcc_lo
.LBB113_21:                             ; =>This Inner Loop Header: Depth=1
	s_clause 0x3
	global_load_b32 v7, v[15:16], off offset:-256
	global_load_b32 v53, v[15:16], off offset:-128
	global_load_b32 v54, v[15:16], off
	global_load_b32 v55, v[15:16], off offset:128
	s_clause 0x7
	global_load_b128 v[17:20], v[13:14], off
	global_load_b128 v[25:28], v[13:14], off offset:16
	global_load_b128 v[29:32], v[13:14], off offset:1024
	;; [unrolled: 1-line block ×7, first 2 shown]
	s_wait_loadcnt 0xb
	v_subrev_nc_u32_e32 v7, s16, v7
	s_wait_loadcnt 0xa
	v_subrev_nc_u32_e32 v56, s16, v53
	;; [unrolled: 2-line block ×4, first 2 shown]
	v_lshlrev_b32_e32 v53, 2, v7
	s_wait_loadcnt 0x7
	v_lshlrev_b32_e32 v7, 16, v17
	s_wait_loadcnt 0x6
	v_lshlrev_b32_e32 v66, 16, v27
	v_and_b32_e32 v27, 0xffff0000, v27
	v_lshlrev_b32_e32 v59, 2, v58
	s_wait_loadcnt 0x1
	v_lshlrev_b32_e32 v84, 16, v45
	s_wait_loadcnt 0x0
	v_lshlrev_b32_e32 v88, 16, v49
	v_lshlrev_b32_e32 v72, 16, v33
	v_lshlrev_b32_e32 v64, 16, v25
	v_and_b32_e32 v25, 0xffff0000, v25
	v_lshlrev_b32_e32 v62, 16, v19
	v_lshlrev_b32_e32 v57, 2, v54
	v_ashrrev_i32_e32 v54, 31, v53
	v_and_b32_e32 v19, 0xffff0000, v19
	v_lshlrev_b32_e32 v61, 16, v18
	v_and_b32_e32 v17, 0xffff0000, v17
	v_lshlrev_b32_e32 v55, 2, v56
	v_lshlrev_b64_e32 v[53:54], 1, v[53:54]
	v_ashrrev_i32_e32 v58, 31, v57
	v_ashrrev_i32_e32 v60, 31, v59
	v_lshlrev_b32_e32 v86, 16, v47
	v_ashrrev_i32_e32 v56, 31, v55
	v_lshlrev_b32_e32 v76, 16, v37
	s_wait_kmcnt 0x0
	v_add_co_u32 v53, vcc_lo, s4, v53
	s_wait_alu 0xfffd
	v_add_co_ci_u32_e64 v54, null, s5, v54, vcc_lo
	v_lshlrev_b64_e32 v[55:56], 1, v[55:56]
	v_lshlrev_b64_e32 v[57:58], 1, v[57:58]
	;; [unrolled: 1-line block ×3, first 2 shown]
	global_load_b64 v[53:54], v[53:54], off
	v_lshlrev_b32_e32 v80, 16, v41
	v_and_b32_e32 v41, 0xffff0000, v41
	v_add_co_u32 v55, vcc_lo, s4, v55
	s_wait_alu 0xfffd
	v_add_co_ci_u32_e64 v56, null, s5, v56, vcc_lo
	v_add_co_u32 v57, vcc_lo, s4, v57
	s_wait_alu 0xfffd
	v_add_co_ci_u32_e64 v58, null, s5, v58, vcc_lo
	global_load_b64 v[55:56], v[55:56], off
	v_add_co_u32 v59, vcc_lo, s4, v59
	global_load_b64 v[57:58], v[57:58], off
	s_wait_alu 0xfffd
	v_add_co_ci_u32_e64 v60, null, s5, v60, vcc_lo
	v_lshlrev_b32_e32 v70, 16, v31
	v_lshlrev_b32_e32 v68, 16, v29
	v_and_b32_e32 v49, 0xffff0000, v49
	global_load_b64 v[59:60], v[59:60], off
	v_lshlrev_b32_e32 v74, 16, v35
	v_lshlrev_b32_e32 v78, 16, v39
	;; [unrolled: 1-line block ×5, first 2 shown]
	v_and_b32_e32 v50, 0xffff0000, v50
	v_add_co_u32 v13, vcc_lo, 0x1000, v13
	s_wait_alu 0xfffd
	v_add_co_ci_u32_e64 v14, null, 0, v14, vcc_lo
	v_add_co_u32 v11, vcc_lo, 0x80, v11
	s_wait_alu 0xfffd
	v_add_co_ci_u32_e64 v12, null, 0, v12, vcc_lo
	;; [unrolled: 3-line block ×3, first 2 shown]
	s_delay_alu instid0(VALU_DEP_3)
	v_cmp_ge_i64_e32 vcc_lo, v[11:12], v[2:3]
	s_wait_alu 0xfffe
	s_or_b32 s7, vcc_lo, s7
	s_wait_loadcnt 0x3
	v_lshlrev_b32_e32 v92, 16, v53
	v_and_b32_e32 v18, 0xffff0000, v18
	s_delay_alu instid0(VALU_DEP_2) | instskip(SKIP_2) | instid1(VALU_DEP_3)
	v_dual_fmac_f32 v8, v7, v92 :: v_dual_and_b32 v53, 0xffff0000, v53
	v_fmac_f32_e32 v23, v64, v92
	v_dual_fmac_f32 v22, v66, v92 :: v_dual_lshlrev_b32 v7, 16, v54
	v_fmac_f32_e32 v8, v17, v53
	s_delay_alu instid0(VALU_DEP_3) | instskip(NEXT) | instid1(VALU_DEP_3)
	v_dual_fmac_f32 v23, v25, v53 :: v_dual_fmac_f32 v24, v62, v92
	v_dual_fmac_f32 v22, v27, v53 :: v_dual_and_b32 v17, 0xffff0000, v54
	v_lshlrev_b32_e32 v67, 16, v28
	s_delay_alu instid0(VALU_DEP_3) | instskip(SKIP_1) | instid1(VALU_DEP_3)
	v_dual_fmac_f32 v24, v19, v53 :: v_dual_lshlrev_b32 v63, 16, v20
	v_dual_fmac_f32 v8, v61, v7 :: v_dual_lshlrev_b32 v65, 16, v26
	v_fmac_f32_e32 v22, v67, v7
	s_delay_alu instid0(VALU_DEP_3) | instskip(NEXT) | instid1(VALU_DEP_3)
	v_fmac_f32_e32 v24, v63, v7
	v_fmac_f32_e32 v8, v18, v17
	s_delay_alu instid0(VALU_DEP_4) | instskip(SKIP_3) | instid1(VALU_DEP_3)
	v_dual_fmac_f32 v23, v65, v7 :: v_dual_and_b32 v20, 0xffff0000, v20
	s_wait_loadcnt 0x2
	v_lshlrev_b32_e32 v7, 16, v55
	v_and_b32_e32 v29, 0xffff0000, v29
	v_dual_fmac_f32 v24, v20, v17 :: v_dual_lshlrev_b32 v69, 16, v30
	s_delay_alu instid0(VALU_DEP_3) | instskip(NEXT) | instid1(VALU_DEP_2)
	v_fmac_f32_e32 v8, v68, v7
	v_dual_fmac_f32 v24, v70, v7 :: v_dual_and_b32 v33, 0xffff0000, v33
	v_and_b32_e32 v26, 0xffff0000, v26
	v_lshlrev_b32_e32 v73, 16, v34
	s_delay_alu instid0(VALU_DEP_2) | instskip(NEXT) | instid1(VALU_DEP_1)
	v_dual_fmac_f32 v23, v26, v17 :: v_dual_and_b32 v28, 0xffff0000, v28
	v_dual_fmac_f32 v22, v28, v17 :: v_dual_and_b32 v17, 0xffff0000, v55
	v_and_b32_e32 v31, 0xffff0000, v31
	v_lshlrev_b32_e32 v71, 16, v32
	s_delay_alu instid0(VALU_DEP_4) | instskip(NEXT) | instid1(VALU_DEP_4)
	v_fmac_f32_e32 v23, v72, v7
	v_dual_fmac_f32 v22, v74, v7 :: v_dual_lshlrev_b32 v7, 16, v56
	v_fmac_f32_e32 v8, v29, v17
	v_fmac_f32_e32 v24, v31, v17
	s_delay_alu instid0(VALU_DEP_2) | instskip(SKIP_4) | instid1(VALU_DEP_4)
	v_dual_fmac_f32 v8, v69, v7 :: v_dual_and_b32 v37, 0xffff0000, v37
	v_and_b32_e32 v35, 0xffff0000, v35
	v_lshlrev_b32_e32 v75, 16, v36
	v_dual_fmac_f32 v23, v33, v17 :: v_dual_and_b32 v36, 0xffff0000, v36
	v_fmac_f32_e32 v24, v71, v7
	v_dual_fmac_f32 v22, v35, v17 :: v_dual_lshlrev_b32 v77, 16, v38
	v_and_b32_e32 v17, 0xffff0000, v56
	s_delay_alu instid0(VALU_DEP_4) | instskip(SKIP_1) | instid1(VALU_DEP_3)
	v_dual_fmac_f32 v23, v73, v7 :: v_dual_and_b32 v38, 0xffff0000, v38
	s_wait_loadcnt 0x1
	v_dual_fmac_f32 v22, v75, v7 :: v_dual_lshlrev_b32 v7, 16, v57
	v_lshlrev_b32_e32 v81, 16, v42
	v_and_b32_e32 v32, 0xffff0000, v32
	v_and_b32_e32 v42, 0xffff0000, v42
	v_and_b32_e32 v34, 0xffff0000, v34
	v_and_b32_e32 v30, 0xffff0000, v30
	s_delay_alu instid0(VALU_DEP_4) | instskip(SKIP_1) | instid1(VALU_DEP_4)
	v_dual_fmac_f32 v24, v32, v17 :: v_dual_and_b32 v39, 0xffff0000, v39
	v_dual_fmac_f32 v22, v36, v17 :: v_dual_lshlrev_b32 v79, 16, v40
	v_fmac_f32_e32 v23, v34, v17
	s_delay_alu instid0(VALU_DEP_4) | instskip(NEXT) | instid1(VALU_DEP_4)
	v_dual_fmac_f32 v8, v30, v17 :: v_dual_lshlrev_b32 v83, 16, v44
	v_dual_fmac_f32 v24, v78, v7 :: v_dual_and_b32 v17, 0xffff0000, v57
	s_delay_alu instid0(VALU_DEP_3) | instskip(NEXT) | instid1(VALU_DEP_3)
	v_fmac_f32_e32 v23, v80, v7
	v_fmac_f32_e32 v8, v76, v7
	v_and_b32_e32 v43, 0xffff0000, v43
	v_dual_fmac_f32 v22, v82, v7 :: v_dual_lshlrev_b32 v85, 16, v46
	v_fmac_f32_e32 v24, v39, v17
	v_and_b32_e32 v46, 0xffff0000, v46
	v_dual_fmac_f32 v8, v37, v17 :: v_dual_lshlrev_b32 v7, 16, v58
	s_delay_alu instid0(VALU_DEP_4) | instskip(SKIP_2) | instid1(VALU_DEP_4)
	v_dual_fmac_f32 v22, v43, v17 :: v_dual_and_b32 v47, 0xffff0000, v47
	v_dual_fmac_f32 v23, v41, v17 :: v_dual_and_b32 v40, 0xffff0000, v40
	v_and_b32_e32 v44, 0xffff0000, v44
	v_dual_fmac_f32 v8, v77, v7 :: v_dual_and_b32 v45, 0xffff0000, v45
	v_dual_fmac_f32 v24, v79, v7 :: v_dual_lshlrev_b32 v87, 16, v48
	v_and_b32_e32 v17, 0xffff0000, v58
	v_fmac_f32_e32 v23, v81, v7
	v_fmac_f32_e32 v22, v83, v7
	v_and_b32_e32 v48, 0xffff0000, v48
	s_delay_alu instid0(VALU_DEP_4) | instskip(NEXT) | instid1(VALU_DEP_3)
	v_dual_fmac_f32 v24, v40, v17 :: v_dual_and_b32 v51, 0xffff0000, v51
	v_dual_fmac_f32 v22, v44, v17 :: v_dual_lshlrev_b32 v91, 16, v52
	s_wait_loadcnt 0x0
	v_dual_fmac_f32 v8, v38, v17 :: v_dual_lshlrev_b32 v7, 16, v59
	v_fmac_f32_e32 v23, v42, v17
	v_and_b32_e32 v17, 0xffff0000, v59
	v_and_b32_e32 v52, 0xffff0000, v52
	s_delay_alu instid0(VALU_DEP_4) | instskip(SKIP_3) | instid1(VALU_DEP_4)
	v_fmac_f32_e32 v24, v86, v7
	v_fmac_f32_e32 v8, v84, v7
	;; [unrolled: 1-line block ×5, first 2 shown]
	s_delay_alu instid0(VALU_DEP_4) | instskip(NEXT) | instid1(VALU_DEP_4)
	v_fmac_f32_e32 v8, v45, v17
	v_fmac_f32_e32 v23, v49, v17
	s_delay_alu instid0(VALU_DEP_4) | instskip(SKIP_1) | instid1(VALU_DEP_1)
	v_dual_fmac_f32 v22, v51, v17 :: v_dual_and_b32 v17, 0xffff0000, v60
	v_lshlrev_b32_e32 v7, 16, v60
	v_fmac_f32_e32 v22, v91, v7
	s_delay_alu instid0(VALU_DEP_1) | instskip(SKIP_2) | instid1(VALU_DEP_2)
	v_fmac_f32_e32 v22, v52, v17
	v_fmac_f32_e32 v8, v85, v7
	;; [unrolled: 1-line block ×3, first 2 shown]
	v_dual_fmac_f32 v23, v89, v7 :: v_dual_fmac_f32 v8, v46, v17
	s_delay_alu instid0(VALU_DEP_2) | instskip(NEXT) | instid1(VALU_DEP_2)
	v_fmac_f32_e32 v24, v48, v17
	v_fmac_f32_e32 v23, v50, v17
	s_wait_alu 0xfffe
	s_and_not1_b32 exec_lo, exec_lo, s7
	s_cbranch_execnz .LBB113_21
; %bb.22:
	s_or_b32 exec_lo, exec_lo, s7
.LBB113_23:
	s_wait_alu 0xfffe
	s_or_b32 exec_lo, exec_lo, s6
.LBB113_24:
	s_wait_alu 0xfffe
	s_or_b32 exec_lo, exec_lo, s3
	s_cbranch_execz .LBB113_26
	s_branch .LBB113_37
.LBB113_25:
                                        ; implicit-def: $vgpr22
                                        ; implicit-def: $vgpr23
                                        ; implicit-def: $vgpr24
                                        ; implicit-def: $vgpr8
.LBB113_26:
	v_dual_mov_b32 v22, 0 :: v_dual_mov_b32 v23, 0
	v_mov_b32_e32 v24, 0
	v_mov_b32_e32 v8, 0
	s_and_saveexec_b32 s3, s2
	s_cbranch_execz .LBB113_36
; %bb.27:
	v_or_b32_e32 v7, 32, v21
	s_delay_alu instid0(VALU_DEP_1) | instskip(SKIP_3) | instid1(VALU_DEP_3)
	v_sub_co_u32 v7, s2, v7, s16
	s_wait_alu 0xf1ff
	v_sub_co_ci_u32_e64 v8, null, 0, 0, s2
	v_sub_co_u32 v11, s2, s16, v21
	v_add_co_u32 v7, vcc_lo, v7, v9
	s_wait_alu 0xfffd
	s_delay_alu instid0(VALU_DEP_3)
	v_add_co_ci_u32_e64 v8, null, v8, v10, vcc_lo
	v_not_b32_e32 v9, v9
	v_not_b32_e32 v10, v10
	s_wait_alu 0xf1ff
	v_sub_co_ci_u32_e64 v12, null, 0, 0, s2
	v_cmp_gt_i64_e32 vcc_lo, v[7:8], v[2:3]
	s_mov_b32 s2, exec_lo
	s_wait_alu 0xfffd
	v_cndmask_b32_e32 v13, v3, v8, vcc_lo
	v_cndmask_b32_e32 v7, v2, v7, vcc_lo
	v_add_co_u32 v8, vcc_lo, v11, v9
	s_wait_alu 0xfffd
	v_add_co_ci_u32_e64 v10, null, v12, v10, vcc_lo
	s_delay_alu instid0(VALU_DEP_2) | instskip(SKIP_2) | instid1(VALU_DEP_3)
	v_add_co_u32 v9, vcc_lo, v8, v7
	v_mov_b32_e32 v8, 0
	s_wait_alu 0xfffd
	v_add_co_ci_u32_e64 v10, null, v10, v13, vcc_lo
	s_delay_alu instid0(VALU_DEP_2) | instskip(SKIP_1) | instid1(VALU_DEP_2)
	v_dual_mov_b32 v22, v8 :: v_dual_and_b32 v7, 0x60, v9
	v_dual_mov_b32 v24, v8 :: v_dual_mov_b32 v23, v8
	v_cmpx_ne_u64_e32 0x60, v[7:8]
	s_cbranch_execz .LBB113_31
; %bb.28:
	v_lshrrev_b32_e32 v7, 5, v9
	v_dual_mov_b32 v23, 0 :: v_dual_mov_b32 v24, 0
	s_delay_alu instid0(VALU_DEP_2) | instskip(SKIP_1) | instid1(VALU_DEP_2)
	v_dual_mov_b32 v22, 0 :: v_dual_add_nc_u32 v11, 1, v7
	v_lshlrev_b64_e32 v[7:8], 2, v[0:1]
	v_and_b32_e32 v13, 3, v11
	s_delay_alu instid0(VALU_DEP_2) | instskip(SKIP_1) | instid1(VALU_DEP_3)
	v_add_co_u32 v11, vcc_lo, s8, v7
	s_wait_alu 0xfffd
	v_add_co_ci_u32_e64 v12, null, s9, v8, vcc_lo
	v_mov_b32_e32 v8, 0
	v_sub_co_u32 v13, s6, 0, v13
	s_wait_alu 0xf1ff
	v_sub_co_ci_u32_e64 v14, null, 0, 0, s6
	s_mov_b32 s6, 0
.LBB113_29:                             ; =>This Inner Loop Header: Depth=1
	global_load_b32 v7, v[11:12], off
	global_load_b128 v[15:18], v[5:6], off
	s_wait_loadcnt 0x1
	v_subrev_nc_u32_e32 v7, s16, v7
	s_delay_alu instid0(VALU_DEP_1) | instskip(NEXT) | instid1(VALU_DEP_1)
	v_lshlrev_b32_e32 v19, 2, v7
	v_ashrrev_i32_e32 v20, 31, v19
	s_delay_alu instid0(VALU_DEP_1) | instskip(SKIP_1) | instid1(VALU_DEP_1)
	v_lshlrev_b64_e32 v[19:20], 1, v[19:20]
	s_wait_kmcnt 0x0
	v_add_co_u32 v19, vcc_lo, s4, v19
	s_wait_alu 0xfffd
	s_delay_alu instid0(VALU_DEP_2)
	v_add_co_ci_u32_e64 v20, null, s5, v20, vcc_lo
	global_load_b64 v[19:20], v[19:20], off
	global_load_b128 v[25:28], v[5:6], off offset:16
	v_add_co_u32 v5, vcc_lo, 0x400, v5
	s_wait_alu 0xfffd
	v_add_co_ci_u32_e64 v6, null, 0, v6, vcc_lo
	v_add_co_u32 v0, vcc_lo, v0, 32
	s_wait_alu 0xfffd
	v_add_co_ci_u32_e64 v1, null, 0, v1, vcc_lo
	;; [unrolled: 3-line block ×4, first 2 shown]
	s_delay_alu instid0(VALU_DEP_1)
	v_cmp_eq_u64_e32 vcc_lo, 0, v[13:14]
	s_wait_alu 0xfffe
	s_or_b32 s6, vcc_lo, s6
	s_wait_loadcnt 0x1
	v_lshlrev_b32_e32 v36, 16, v19
	v_lshlrev_b32_e32 v7, 16, v15
	v_lshlrev_b32_e32 v30, 16, v17
	v_and_b32_e32 v19, 0xffff0000, v19
	v_lshlrev_b32_e32 v29, 16, v16
	v_lshlrev_b32_e32 v31, 16, v18
	v_and_b32_e32 v16, 0xffff0000, v16
	v_and_b32_e32 v15, 0xffff0000, v15
	s_wait_loadcnt 0x0
	v_lshlrev_b32_e32 v34, 16, v27
	s_delay_alu instid0(VALU_DEP_3) | instskip(NEXT) | instid1(VALU_DEP_3)
	v_dual_fmac_f32 v22, v16, v36 :: v_dual_and_b32 v27, 0xffff0000, v27
	v_fmac_f32_e32 v24, v15, v36
	v_fmac_f32_e32 v8, v7, v36
	v_and_b32_e32 v15, 0xffff0000, v20
	v_lshlrev_b32_e32 v7, 16, v20
	v_lshlrev_b32_e32 v33, 16, v26
	v_and_b32_e32 v18, 0xffff0000, v18
	v_dual_fmac_f32 v8, v30, v19 :: v_dual_and_b32 v17, 0xffff0000, v17
	v_dual_fmac_f32 v23, v29, v36 :: v_dual_and_b32 v26, 0xffff0000, v26
	s_delay_alu instid0(VALU_DEP_3) | instskip(NEXT) | instid1(VALU_DEP_3)
	v_fmac_f32_e32 v22, v18, v19
	v_dual_fmac_f32 v24, v17, v19 :: v_dual_lshlrev_b32 v35, 16, v28
	s_delay_alu instid0(VALU_DEP_3) | instskip(NEXT) | instid1(VALU_DEP_3)
	v_dual_fmac_f32 v23, v31, v19 :: v_dual_and_b32 v28, 0xffff0000, v28
	v_fmac_f32_e32 v22, v26, v7
	s_delay_alu instid0(VALU_DEP_2) | instskip(NEXT) | instid1(VALU_DEP_2)
	v_dual_fmac_f32 v23, v33, v7 :: v_dual_lshlrev_b32 v32, 16, v25
	v_fmac_f32_e32 v22, v28, v15
	s_delay_alu instid0(VALU_DEP_2) | instskip(NEXT) | instid1(VALU_DEP_3)
	v_fmac_f32_e32 v23, v35, v15
	v_dual_fmac_f32 v8, v32, v7 :: v_dual_and_b32 v25, 0xffff0000, v25
	s_delay_alu instid0(VALU_DEP_1) | instskip(NEXT) | instid1(VALU_DEP_2)
	v_fmac_f32_e32 v8, v34, v15
	v_fmac_f32_e32 v24, v25, v7
	s_delay_alu instid0(VALU_DEP_1)
	v_fmac_f32_e32 v24, v27, v15
	s_wait_alu 0xfffe
	s_and_not1_b32 exec_lo, exec_lo, s6
	s_cbranch_execnz .LBB113_29
; %bb.30:
	s_or_b32 exec_lo, exec_lo, s6
.LBB113_31:
	s_wait_alu 0xfffe
	s_or_b32 exec_lo, exec_lo, s2
	s_delay_alu instid0(SALU_CYCLE_1)
	s_mov_b32 s2, exec_lo
	v_cmpx_lt_u64_e32 0x5f, v[9:10]
	s_cbranch_execz .LBB113_35
; %bb.32:
	v_lshlrev_b64_e32 v[9:10], 2, v[0:1]
	s_mov_b32 s6, 0
	s_delay_alu instid0(VALU_DEP_1) | instskip(SKIP_1) | instid1(VALU_DEP_2)
	v_add_co_u32 v7, vcc_lo, s8, v9
	s_wait_alu 0xfffd
	v_add_co_ci_u32_e64 v10, null, s9, v10, vcc_lo
	s_delay_alu instid0(VALU_DEP_2) | instskip(SKIP_1) | instid1(VALU_DEP_2)
	v_add_co_u32 v9, vcc_lo, 0x100, v7
	s_wait_alu 0xfffd
	v_add_co_ci_u32_e64 v10, null, 0, v10, vcc_lo
.LBB113_33:                             ; =>This Inner Loop Header: Depth=1
	s_clause 0x3
	global_load_b32 v7, v[9:10], off offset:-256
	global_load_b32 v19, v[9:10], off offset:-128
	global_load_b32 v20, v[9:10], off
	global_load_b32 v45, v[9:10], off offset:128
	s_clause 0x6
	global_load_b128 v[11:14], v[5:6], off
	global_load_b128 v[15:18], v[5:6], off offset:16
	global_load_b128 v[25:28], v[5:6], off offset:1024
	global_load_b128 v[29:32], v[5:6], off offset:1040
	global_load_b128 v[33:36], v[5:6], off offset:2048
	global_load_b128 v[37:40], v[5:6], off offset:2064
	global_load_b128 v[41:44], v[5:6], off offset:3072
	s_wait_loadcnt 0xa
	v_subrev_nc_u32_e32 v7, s16, v7
	s_wait_loadcnt 0x9
	v_subrev_nc_u32_e32 v46, s16, v19
	;; [unrolled: 2-line block ×4, first 2 shown]
	v_lshlrev_b32_e32 v19, 2, v7
	s_wait_loadcnt 0x5
	v_lshlrev_b32_e32 v58, 16, v15
	v_lshlrev_b32_e32 v57, 16, v14
	;; [unrolled: 1-line block ×5, first 2 shown]
	v_and_b32_e32 v11, 0xffff0000, v11
	v_lshlrev_b32_e32 v47, 2, v20
	v_ashrrev_i32_e32 v20, 31, v19
	v_and_b32_e32 v15, 0xffff0000, v15
	v_lshlrev_b32_e32 v59, 16, v16
	v_and_b32_e32 v14, 0xffff0000, v14
	v_and_b32_e32 v13, 0xffff0000, v13
	v_lshlrev_b32_e32 v55, 16, v12
	v_and_b32_e32 v12, 0xffff0000, v12
	v_lshlrev_b32_e32 v49, 2, v48
	v_ashrrev_i32_e32 v46, 31, v45
	v_ashrrev_i32_e32 v48, 31, v47
	v_lshlrev_b64_e32 v[19:20], 1, v[19:20]
	s_wait_loadcnt 0x2
	v_lshlrev_b32_e32 v72, 16, v35
	v_ashrrev_i32_e32 v50, 31, v49
	v_lshlrev_b64_e32 v[45:46], 1, v[45:46]
	v_lshlrev_b64_e32 v[47:48], 1, v[47:48]
	v_and_b32_e32 v35, 0xffff0000, v35
	s_wait_kmcnt 0x0
	v_add_co_u32 v19, vcc_lo, s4, v19
	v_lshlrev_b64_e32 v[49:50], 1, v[49:50]
	s_wait_alu 0xfffd
	v_add_co_ci_u32_e64 v20, null, s5, v20, vcc_lo
	v_add_co_u32 v45, vcc_lo, s4, v45
	s_wait_alu 0xfffd
	v_add_co_ci_u32_e64 v46, null, s5, v46, vcc_lo
	v_add_co_u32 v47, vcc_lo, s4, v47
	;; [unrolled: 3-line block ×3, first 2 shown]
	s_wait_alu 0xfffd
	v_add_co_ci_u32_e64 v50, null, s5, v50, vcc_lo
	s_clause 0x3
	global_load_b64 v[19:20], v[19:20], off
	global_load_b64 v[51:52], v[45:46], off
	global_load_b64 v[53:54], v[47:48], off
	global_load_b64 v[49:50], v[49:50], off
	global_load_b128 v[45:48], v[5:6], off offset:3088
	v_lshlrev_b32_e32 v64, 16, v27
	v_and_b32_e32 v27, 0xffff0000, v27
	v_lshlrev_b32_e32 v68, 16, v31
	v_and_b32_e32 v31, 0xffff0000, v31
	s_wait_loadcnt 0x6
	v_lshlrev_b32_e32 v76, 16, v39
	s_wait_loadcnt 0x5
	v_lshlrev_b32_e32 v78, 16, v41
	v_and_b32_e32 v39, 0xffff0000, v39
	v_lshlrev_b32_e32 v80, 16, v43
	v_and_b32_e32 v43, 0xffff0000, v43
	v_add_co_u32 v5, vcc_lo, 0x1000, v5
	s_wait_alu 0xfffd
	v_add_co_ci_u32_e64 v6, null, 0, v6, vcc_lo
	v_add_co_u32 v0, vcc_lo, 0x80, v0
	s_wait_alu 0xfffd
	v_add_co_ci_u32_e64 v1, null, 0, v1, vcc_lo
	;; [unrolled: 3-line block ×3, first 2 shown]
	s_delay_alu instid0(VALU_DEP_3)
	v_cmp_ge_i64_e32 vcc_lo, v[0:1], v[2:3]
	s_wait_alu 0xfffe
	s_or_b32 s6, vcc_lo, s6
	s_wait_loadcnt 0x4
	v_lshlrev_b32_e32 v86, 16, v19
	v_and_b32_e32 v19, 0xffff0000, v19
	s_wait_loadcnt 0x0
	s_delay_alu instid0(VALU_DEP_2) | instskip(SKIP_2) | instid1(VALU_DEP_3)
	v_dual_fmac_f32 v24, v11, v86 :: v_dual_lshlrev_b32 v85, 16, v48
	v_dual_fmac_f32 v8, v7, v86 :: v_dual_lshlrev_b32 v7, 16, v20
	v_lshlrev_b32_e32 v74, 16, v37
	v_dual_fmac_f32 v24, v13, v19 :: v_dual_and_b32 v11, 0xffff0000, v20
	v_fmac_f32_e32 v23, v55, v86
	v_fmac_f32_e32 v22, v12, v86
	v_lshlrev_b32_e32 v82, 16, v45
	v_lshlrev_b32_e32 v84, 16, v47
	v_fmac_f32_e32 v24, v15, v7
	v_fmac_f32_e32 v23, v57, v19
	v_dual_fmac_f32 v8, v56, v19 :: v_dual_lshlrev_b32 v63, 16, v26
	v_and_b32_e32 v47, 0xffff0000, v47
	s_delay_alu instid0(VALU_DEP_3) | instskip(SKIP_3) | instid1(VALU_DEP_3)
	v_dual_fmac_f32 v23, v59, v7 :: v_dual_and_b32 v48, 0xffff0000, v48
	v_dual_fmac_f32 v22, v14, v19 :: v_dual_lshlrev_b32 v61, 16, v18
	v_and_b32_e32 v16, 0xffff0000, v16
	v_fmac_f32_e32 v8, v58, v7
	v_fmac_f32_e32 v23, v61, v11
	s_delay_alu instid0(VALU_DEP_3) | instskip(SKIP_3) | instid1(VALU_DEP_3)
	v_fmac_f32_e32 v22, v16, v7
	v_lshlrev_b32_e32 v7, 16, v51
	v_lshlrev_b32_e32 v60, 16, v17
	;; [unrolled: 1-line block ×3, first 2 shown]
	v_fmac_f32_e32 v23, v63, v7
	s_delay_alu instid0(VALU_DEP_3) | instskip(SKIP_1) | instid1(VALU_DEP_2)
	v_dual_fmac_f32 v8, v60, v11 :: v_dual_and_b32 v17, 0xffff0000, v17
	v_and_b32_e32 v18, 0xffff0000, v18
	v_fmac_f32_e32 v24, v17, v11
	s_delay_alu instid0(VALU_DEP_2) | instskip(SKIP_4) | instid1(VALU_DEP_4)
	v_fmac_f32_e32 v22, v18, v11
	v_and_b32_e32 v11, 0xffff0000, v51
	v_lshlrev_b32_e32 v69, 16, v32
	v_and_b32_e32 v26, 0xffff0000, v26
	v_lshlrev_b32_e32 v67, 16, v30
	v_fmac_f32_e32 v23, v65, v11
	s_delay_alu instid0(VALU_DEP_3) | instskip(SKIP_4) | instid1(VALU_DEP_4)
	v_fmac_f32_e32 v22, v26, v7
	v_lshlrev_b32_e32 v62, 16, v25
	v_and_b32_e32 v25, 0xffff0000, v25
	v_lshlrev_b32_e32 v71, 16, v34
	v_and_b32_e32 v28, 0xffff0000, v28
	v_fmac_f32_e32 v8, v62, v7
	s_delay_alu instid0(VALU_DEP_4) | instskip(NEXT) | instid1(VALU_DEP_3)
	v_dual_fmac_f32 v24, v25, v7 :: v_dual_lshlrev_b32 v7, 16, v52
	v_dual_fmac_f32 v22, v28, v11 :: v_dual_lshlrev_b32 v75, 16, v38
	v_and_b32_e32 v30, 0xffff0000, v30
	s_delay_alu instid0(VALU_DEP_4) | instskip(SKIP_2) | instid1(VALU_DEP_4)
	v_dual_fmac_f32 v8, v64, v11 :: v_dual_lshlrev_b32 v73, 16, v36
	v_lshlrev_b32_e32 v66, 16, v29
	v_dual_fmac_f32 v24, v27, v11 :: v_dual_and_b32 v29, 0xffff0000, v29
	v_dual_fmac_f32 v22, v30, v7 :: v_dual_lshlrev_b32 v79, 16, v42
	v_lshlrev_b32_e32 v70, 16, v33
	v_and_b32_e32 v33, 0xffff0000, v33
	s_delay_alu instid0(VALU_DEP_4) | instskip(SKIP_4) | instid1(VALU_DEP_4)
	v_dual_fmac_f32 v24, v29, v7 :: v_dual_and_b32 v37, 0xffff0000, v37
	v_dual_fmac_f32 v8, v66, v7 :: v_dual_and_b32 v11, 0xffff0000, v52
	v_lshlrev_b32_e32 v77, 16, v40
	v_fmac_f32_e32 v23, v67, v7
	v_lshlrev_b32_e32 v7, 16, v53
	v_dual_fmac_f32 v24, v31, v11 :: v_dual_and_b32 v41, 0xffff0000, v41
	v_fmac_f32_e32 v8, v68, v11
	v_and_b32_e32 v32, 0xffff0000, v32
	v_lshlrev_b32_e32 v81, 16, v44
	v_dual_fmac_f32 v23, v69, v11 :: v_dual_and_b32 v38, 0xffff0000, v38
	s_delay_alu instid0(VALU_DEP_4) | instskip(SKIP_4) | instid1(VALU_DEP_3)
	v_fmac_f32_e32 v8, v70, v7
	v_and_b32_e32 v34, 0xffff0000, v34
	v_dual_fmac_f32 v22, v32, v11 :: v_dual_and_b32 v45, 0xffff0000, v45
	v_dual_fmac_f32 v24, v33, v7 :: v_dual_lshlrev_b32 v83, 16, v46
	v_fmac_f32_e32 v23, v71, v7
	v_fmac_f32_e32 v22, v34, v7
	v_and_b32_e32 v36, 0xffff0000, v36
	v_lshlrev_b32_e32 v7, 16, v54
	v_and_b32_e32 v11, 0xffff0000, v53
	v_and_b32_e32 v40, 0xffff0000, v40
	v_and_b32_e32 v42, 0xffff0000, v42
	v_and_b32_e32 v44, 0xffff0000, v44
	v_and_b32_e32 v46, 0xffff0000, v46
	v_fmac_f32_e32 v22, v36, v11
	s_delay_alu instid0(VALU_DEP_1) | instskip(SKIP_3) | instid1(VALU_DEP_3)
	v_fmac_f32_e32 v22, v38, v7
	v_fmac_f32_e32 v24, v35, v11
	;; [unrolled: 1-line block ×4, first 2 shown]
	v_dual_fmac_f32 v24, v37, v7 :: v_dual_and_b32 v11, 0xffff0000, v54
	s_delay_alu instid0(VALU_DEP_1) | instskip(NEXT) | instid1(VALU_DEP_4)
	v_fmac_f32_e32 v24, v39, v11
	v_fmac_f32_e32 v8, v74, v7
	s_delay_alu instid0(VALU_DEP_4) | instskip(NEXT) | instid1(VALU_DEP_2)
	v_fmac_f32_e32 v23, v75, v7
	v_dual_fmac_f32 v8, v76, v11 :: v_dual_lshlrev_b32 v7, 16, v49
	s_delay_alu instid0(VALU_DEP_1) | instskip(NEXT) | instid1(VALU_DEP_3)
	v_fmac_f32_e32 v8, v78, v7
	v_fmac_f32_e32 v23, v77, v11
	v_dual_fmac_f32 v22, v40, v11 :: v_dual_and_b32 v11, 0xffff0000, v49
	v_fmac_f32_e32 v24, v41, v7
	s_delay_alu instid0(VALU_DEP_3) | instskip(NEXT) | instid1(VALU_DEP_3)
	v_fmac_f32_e32 v23, v79, v7
	v_dual_fmac_f32 v22, v42, v7 :: v_dual_lshlrev_b32 v7, 16, v50
	s_delay_alu instid0(VALU_DEP_4) | instskip(NEXT) | instid1(VALU_DEP_4)
	v_fmac_f32_e32 v8, v80, v11
	v_fmac_f32_e32 v24, v43, v11
	s_delay_alu instid0(VALU_DEP_4) | instskip(NEXT) | instid1(VALU_DEP_4)
	v_fmac_f32_e32 v23, v81, v11
	v_dual_fmac_f32 v22, v44, v11 :: v_dual_and_b32 v11, 0xffff0000, v50
	s_delay_alu instid0(VALU_DEP_4) | instskip(NEXT) | instid1(VALU_DEP_4)
	v_fmac_f32_e32 v8, v82, v7
	v_fmac_f32_e32 v24, v45, v7
	s_delay_alu instid0(VALU_DEP_4) | instskip(NEXT) | instid1(VALU_DEP_4)
	v_fmac_f32_e32 v23, v83, v7
	v_fmac_f32_e32 v22, v46, v7
	;; [unrolled: 3-line block ×4, first 2 shown]
	s_wait_alu 0xfffe
	s_and_not1_b32 exec_lo, exec_lo, s6
	s_cbranch_execnz .LBB113_33
; %bb.34:
	s_or_b32 exec_lo, exec_lo, s6
.LBB113_35:
	s_wait_alu 0xfffe
	s_or_b32 exec_lo, exec_lo, s2
.LBB113_36:
	s_wait_alu 0xfffe
	s_or_b32 exec_lo, exec_lo, s3
.LBB113_37:
	v_mbcnt_lo_u32_b32 v0, -1, 0
	s_mov_b32 s2, -1
	s_delay_alu instid0(VALU_DEP_1) | instskip(SKIP_2) | instid1(VALU_DEP_3)
	v_xor_b32_e32 v1, 16, v0
	v_xor_b32_e32 v6, 8, v0
	;; [unrolled: 1-line block ×3, first 2 shown]
	v_cmp_gt_i32_e32 vcc_lo, 32, v1
	s_wait_alu 0xfffd
	v_cndmask_b32_e32 v1, v0, v1, vcc_lo
	v_cmp_gt_i32_e32 vcc_lo, 32, v6
	s_wait_alu 0xfffd
	v_cndmask_b32_e32 v6, v0, v6, vcc_lo
	v_cmp_gt_i32_e32 vcc_lo, 32, v10
	s_delay_alu instid0(VALU_DEP_2)
	v_lshlrev_b32_e32 v6, 2, v6
	s_wait_alu 0xfffd
	v_dual_cndmask_b32 v10, v0, v10 :: v_dual_lshlrev_b32 v1, 2, v1
	ds_bpermute_b32 v2, v1, v8
	v_lshlrev_b32_e32 v10, 2, v10
	s_wait_dscnt 0x0
	v_add_f32_e32 v2, v8, v2
	ds_bpermute_b32 v3, v1, v24
	ds_bpermute_b32 v5, v1, v23
	;; [unrolled: 1-line block ×4, first 2 shown]
	s_wait_dscnt 0x3
	v_add_f32_e32 v3, v24, v3
	s_wait_dscnt 0x2
	v_add_f32_e32 v5, v23, v5
	;; [unrolled: 2-line block ×3, first 2 shown]
	ds_bpermute_b32 v8, v6, v3
	ds_bpermute_b32 v9, v6, v5
	;; [unrolled: 1-line block ×3, first 2 shown]
	s_wait_dscnt 0x2
	v_dual_add_f32 v2, v2, v7 :: v_dual_add_f32 v3, v3, v8
	s_wait_dscnt 0x1
	v_add_f32_e32 v5, v5, v9
	s_wait_dscnt 0x0
	v_add_f32_e32 v1, v1, v6
	ds_bpermute_b32 v6, v10, v2
	ds_bpermute_b32 v7, v10, v3
	;; [unrolled: 1-line block ×4, first 2 shown]
	v_xor_b32_e32 v10, 2, v0
	s_delay_alu instid0(VALU_DEP_1) | instskip(SKIP_2) | instid1(VALU_DEP_1)
	v_cmp_gt_i32_e32 vcc_lo, 32, v10
	s_wait_alu 0xfffd
	v_cndmask_b32_e32 v10, v0, v10, vcc_lo
	v_lshlrev_b32_e32 v10, 2, v10
	s_wait_dscnt 0x2
	v_dual_add_f32 v2, v2, v6 :: v_dual_add_f32 v3, v3, v7
	s_wait_dscnt 0x1
	v_add_f32_e32 v5, v5, v8
	ds_bpermute_b32 v7, v10, v3
	s_wait_dscnt 0x1
	v_add_f32_e32 v6, v1, v9
	ds_bpermute_b32 v1, v10, v2
	ds_bpermute_b32 v8, v10, v5
	;; [unrolled: 1-line block ×3, first 2 shown]
	v_xor_b32_e32 v10, 1, v0
	s_delay_alu instid0(VALU_DEP_1) | instskip(SKIP_3) | instid1(VALU_DEP_2)
	v_cmp_gt_i32_e32 vcc_lo, 32, v10
	s_wait_alu 0xfffd
	v_cndmask_b32_e32 v0, v0, v10, vcc_lo
	v_cmp_eq_u32_e32 vcc_lo, 31, v21
	v_lshlrev_b32_e32 v10, 2, v0
	s_wait_dscnt 0x2
	v_dual_add_f32 v0, v2, v1 :: v_dual_add_f32 v1, v3, v7
	s_wait_dscnt 0x0
	v_dual_add_f32 v2, v5, v8 :: v_dual_add_f32 v3, v6, v9
	ds_bpermute_b32 v5, v10, v0
	ds_bpermute_b32 v6, v10, v1
	;; [unrolled: 1-line block ×4, first 2 shown]
	s_and_b32 exec_lo, exec_lo, vcc_lo
	s_cbranch_execz .LBB113_10
; %bb.38:
	s_load_b64 s[0:1], s[0:1], 0x50
	s_wait_dscnt 0x2
	v_dual_add_f32 v0, v0, v5 :: v_dual_add_f32 v1, v1, v6
	s_wait_dscnt 0x0
	v_dual_add_f32 v2, v2, v7 :: v_dual_add_f32 v3, v3, v8
	v_lshlrev_b32_e32 v4, 2, v4
	s_delay_alu instid0(VALU_DEP_3) | instskip(NEXT) | instid1(VALU_DEP_3)
	v_dual_mul_f32 v0, s14, v0 :: v_dual_mul_f32 v1, s14, v1
	v_dual_mul_f32 v2, s14, v2 :: v_dual_mul_f32 v3, s14, v3
	s_cmp_eq_f32 s12, 0
	s_cbranch_scc0 .LBB113_40
; %bb.39:
	v_ashrrev_i32_e32 v5, 31, v4
	s_mov_b32 s2, 0
	s_delay_alu instid0(VALU_DEP_1) | instskip(SKIP_1) | instid1(VALU_DEP_1)
	v_lshlrev_b64_e32 v[5:6], 2, v[4:5]
	s_wait_kmcnt 0x0
	v_add_co_u32 v5, vcc_lo, s0, v5
	s_wait_alu 0xfffd
	s_delay_alu instid0(VALU_DEP_2)
	v_add_co_ci_u32_e64 v6, null, s1, v6, vcc_lo
	global_store_b128 v[5:6], v[0:3], off
.LBB113_40:
	s_wait_alu 0xfffe
	s_and_not1_b32 vcc_lo, exec_lo, s2
	s_wait_alu 0xfffe
	s_cbranch_vccnz .LBB113_10
; %bb.41:
	v_ashrrev_i32_e32 v5, 31, v4
	s_delay_alu instid0(VALU_DEP_1) | instskip(SKIP_1) | instid1(VALU_DEP_1)
	v_lshlrev_b64_e32 v[4:5], 2, v[4:5]
	s_wait_kmcnt 0x0
	v_add_co_u32 v8, vcc_lo, s0, v4
	s_wait_alu 0xfffd
	s_delay_alu instid0(VALU_DEP_2)
	v_add_co_ci_u32_e64 v9, null, s1, v5, vcc_lo
	global_load_b128 v[4:7], v[8:9], off
	s_wait_loadcnt 0x0
	v_dual_fmac_f32 v0, s12, v4 :: v_dual_fmac_f32 v1, s12, v5
	v_dual_fmac_f32 v2, s12, v6 :: v_dual_fmac_f32 v3, s12, v7
	global_store_b128 v[8:9], v[0:3], off
	s_endpgm
	.section	.rodata,"a",@progbits
	.p2align	6, 0x0
	.amdhsa_kernel _ZN9rocsparseL18bsrxmvn_4x4_kernelILj128ELj32Efli18rocsparse_bfloat16S1_fEEvT3_20rocsparse_direction_NS_24const_host_device_scalarIT1_EES2_PKS2_PKT2_SB_S8_PKT4_PKT5_S6_PT6_21rocsparse_index_base_b
		.amdhsa_group_segment_fixed_size 0
		.amdhsa_private_segment_fixed_size 0
		.amdhsa_kernarg_size 96
		.amdhsa_user_sgpr_count 2
		.amdhsa_user_sgpr_dispatch_ptr 0
		.amdhsa_user_sgpr_queue_ptr 0
		.amdhsa_user_sgpr_kernarg_segment_ptr 1
		.amdhsa_user_sgpr_dispatch_id 0
		.amdhsa_user_sgpr_private_segment_size 0
		.amdhsa_wavefront_size32 1
		.amdhsa_uses_dynamic_stack 0
		.amdhsa_enable_private_segment 0
		.amdhsa_system_sgpr_workgroup_id_x 1
		.amdhsa_system_sgpr_workgroup_id_y 0
		.amdhsa_system_sgpr_workgroup_id_z 0
		.amdhsa_system_sgpr_workgroup_info 0
		.amdhsa_system_vgpr_workitem_id 0
		.amdhsa_next_free_vgpr 93
		.amdhsa_next_free_sgpr 18
		.amdhsa_reserve_vcc 1
		.amdhsa_float_round_mode_32 0
		.amdhsa_float_round_mode_16_64 0
		.amdhsa_float_denorm_mode_32 3
		.amdhsa_float_denorm_mode_16_64 3
		.amdhsa_fp16_overflow 0
		.amdhsa_workgroup_processor_mode 1
		.amdhsa_memory_ordered 1
		.amdhsa_forward_progress 1
		.amdhsa_inst_pref_size 44
		.amdhsa_round_robin_scheduling 0
		.amdhsa_exception_fp_ieee_invalid_op 0
		.amdhsa_exception_fp_denorm_src 0
		.amdhsa_exception_fp_ieee_div_zero 0
		.amdhsa_exception_fp_ieee_overflow 0
		.amdhsa_exception_fp_ieee_underflow 0
		.amdhsa_exception_fp_ieee_inexact 0
		.amdhsa_exception_int_div_zero 0
	.end_amdhsa_kernel
	.section	.text._ZN9rocsparseL18bsrxmvn_4x4_kernelILj128ELj32Efli18rocsparse_bfloat16S1_fEEvT3_20rocsparse_direction_NS_24const_host_device_scalarIT1_EES2_PKS2_PKT2_SB_S8_PKT4_PKT5_S6_PT6_21rocsparse_index_base_b,"axG",@progbits,_ZN9rocsparseL18bsrxmvn_4x4_kernelILj128ELj32Efli18rocsparse_bfloat16S1_fEEvT3_20rocsparse_direction_NS_24const_host_device_scalarIT1_EES2_PKS2_PKT2_SB_S8_PKT4_PKT5_S6_PT6_21rocsparse_index_base_b,comdat
.Lfunc_end113:
	.size	_ZN9rocsparseL18bsrxmvn_4x4_kernelILj128ELj32Efli18rocsparse_bfloat16S1_fEEvT3_20rocsparse_direction_NS_24const_host_device_scalarIT1_EES2_PKS2_PKT2_SB_S8_PKT4_PKT5_S6_PT6_21rocsparse_index_base_b, .Lfunc_end113-_ZN9rocsparseL18bsrxmvn_4x4_kernelILj128ELj32Efli18rocsparse_bfloat16S1_fEEvT3_20rocsparse_direction_NS_24const_host_device_scalarIT1_EES2_PKS2_PKT2_SB_S8_PKT4_PKT5_S6_PT6_21rocsparse_index_base_b
                                        ; -- End function
	.set _ZN9rocsparseL18bsrxmvn_4x4_kernelILj128ELj32Efli18rocsparse_bfloat16S1_fEEvT3_20rocsparse_direction_NS_24const_host_device_scalarIT1_EES2_PKS2_PKT2_SB_S8_PKT4_PKT5_S6_PT6_21rocsparse_index_base_b.num_vgpr, 93
	.set _ZN9rocsparseL18bsrxmvn_4x4_kernelILj128ELj32Efli18rocsparse_bfloat16S1_fEEvT3_20rocsparse_direction_NS_24const_host_device_scalarIT1_EES2_PKS2_PKT2_SB_S8_PKT4_PKT5_S6_PT6_21rocsparse_index_base_b.num_agpr, 0
	.set _ZN9rocsparseL18bsrxmvn_4x4_kernelILj128ELj32Efli18rocsparse_bfloat16S1_fEEvT3_20rocsparse_direction_NS_24const_host_device_scalarIT1_EES2_PKS2_PKT2_SB_S8_PKT4_PKT5_S6_PT6_21rocsparse_index_base_b.numbered_sgpr, 18
	.set _ZN9rocsparseL18bsrxmvn_4x4_kernelILj128ELj32Efli18rocsparse_bfloat16S1_fEEvT3_20rocsparse_direction_NS_24const_host_device_scalarIT1_EES2_PKS2_PKT2_SB_S8_PKT4_PKT5_S6_PT6_21rocsparse_index_base_b.num_named_barrier, 0
	.set _ZN9rocsparseL18bsrxmvn_4x4_kernelILj128ELj32Efli18rocsparse_bfloat16S1_fEEvT3_20rocsparse_direction_NS_24const_host_device_scalarIT1_EES2_PKS2_PKT2_SB_S8_PKT4_PKT5_S6_PT6_21rocsparse_index_base_b.private_seg_size, 0
	.set _ZN9rocsparseL18bsrxmvn_4x4_kernelILj128ELj32Efli18rocsparse_bfloat16S1_fEEvT3_20rocsparse_direction_NS_24const_host_device_scalarIT1_EES2_PKS2_PKT2_SB_S8_PKT4_PKT5_S6_PT6_21rocsparse_index_base_b.uses_vcc, 1
	.set _ZN9rocsparseL18bsrxmvn_4x4_kernelILj128ELj32Efli18rocsparse_bfloat16S1_fEEvT3_20rocsparse_direction_NS_24const_host_device_scalarIT1_EES2_PKS2_PKT2_SB_S8_PKT4_PKT5_S6_PT6_21rocsparse_index_base_b.uses_flat_scratch, 0
	.set _ZN9rocsparseL18bsrxmvn_4x4_kernelILj128ELj32Efli18rocsparse_bfloat16S1_fEEvT3_20rocsparse_direction_NS_24const_host_device_scalarIT1_EES2_PKS2_PKT2_SB_S8_PKT4_PKT5_S6_PT6_21rocsparse_index_base_b.has_dyn_sized_stack, 0
	.set _ZN9rocsparseL18bsrxmvn_4x4_kernelILj128ELj32Efli18rocsparse_bfloat16S1_fEEvT3_20rocsparse_direction_NS_24const_host_device_scalarIT1_EES2_PKS2_PKT2_SB_S8_PKT4_PKT5_S6_PT6_21rocsparse_index_base_b.has_recursion, 0
	.set _ZN9rocsparseL18bsrxmvn_4x4_kernelILj128ELj32Efli18rocsparse_bfloat16S1_fEEvT3_20rocsparse_direction_NS_24const_host_device_scalarIT1_EES2_PKS2_PKT2_SB_S8_PKT4_PKT5_S6_PT6_21rocsparse_index_base_b.has_indirect_call, 0
	.section	.AMDGPU.csdata,"",@progbits
; Kernel info:
; codeLenInByte = 5592
; TotalNumSgprs: 20
; NumVgprs: 93
; ScratchSize: 0
; MemoryBound: 0
; FloatMode: 240
; IeeeMode: 1
; LDSByteSize: 0 bytes/workgroup (compile time only)
; SGPRBlocks: 0
; VGPRBlocks: 11
; NumSGPRsForWavesPerEU: 20
; NumVGPRsForWavesPerEU: 93
; Occupancy: 16
; WaveLimiterHint : 1
; COMPUTE_PGM_RSRC2:SCRATCH_EN: 0
; COMPUTE_PGM_RSRC2:USER_SGPR: 2
; COMPUTE_PGM_RSRC2:TRAP_HANDLER: 0
; COMPUTE_PGM_RSRC2:TGID_X_EN: 1
; COMPUTE_PGM_RSRC2:TGID_Y_EN: 0
; COMPUTE_PGM_RSRC2:TGID_Z_EN: 0
; COMPUTE_PGM_RSRC2:TIDIG_COMP_CNT: 0
	.section	.text._ZN9rocsparseL18bsrxmvn_4x4_kernelILj128ELj64Efli18rocsparse_bfloat16S1_fEEvT3_20rocsparse_direction_NS_24const_host_device_scalarIT1_EES2_PKS2_PKT2_SB_S8_PKT4_PKT5_S6_PT6_21rocsparse_index_base_b,"axG",@progbits,_ZN9rocsparseL18bsrxmvn_4x4_kernelILj128ELj64Efli18rocsparse_bfloat16S1_fEEvT3_20rocsparse_direction_NS_24const_host_device_scalarIT1_EES2_PKS2_PKT2_SB_S8_PKT4_PKT5_S6_PT6_21rocsparse_index_base_b,comdat
	.globl	_ZN9rocsparseL18bsrxmvn_4x4_kernelILj128ELj64Efli18rocsparse_bfloat16S1_fEEvT3_20rocsparse_direction_NS_24const_host_device_scalarIT1_EES2_PKS2_PKT2_SB_S8_PKT4_PKT5_S6_PT6_21rocsparse_index_base_b ; -- Begin function _ZN9rocsparseL18bsrxmvn_4x4_kernelILj128ELj64Efli18rocsparse_bfloat16S1_fEEvT3_20rocsparse_direction_NS_24const_host_device_scalarIT1_EES2_PKS2_PKT2_SB_S8_PKT4_PKT5_S6_PT6_21rocsparse_index_base_b
	.p2align	8
	.type	_ZN9rocsparseL18bsrxmvn_4x4_kernelILj128ELj64Efli18rocsparse_bfloat16S1_fEEvT3_20rocsparse_direction_NS_24const_host_device_scalarIT1_EES2_PKS2_PKT2_SB_S8_PKT4_PKT5_S6_PT6_21rocsparse_index_base_b,@function
_ZN9rocsparseL18bsrxmvn_4x4_kernelILj128ELj64Efli18rocsparse_bfloat16S1_fEEvT3_20rocsparse_direction_NS_24const_host_device_scalarIT1_EES2_PKS2_PKT2_SB_S8_PKT4_PKT5_S6_PT6_21rocsparse_index_base_b: ; @_ZN9rocsparseL18bsrxmvn_4x4_kernelILj128ELj64Efli18rocsparse_bfloat16S1_fEEvT3_20rocsparse_direction_NS_24const_host_device_scalarIT1_EES2_PKS2_PKT2_SB_S8_PKT4_PKT5_S6_PT6_21rocsparse_index_base_b
; %bb.0:
	s_clause 0x2
	s_load_b64 s[16:17], s[0:1], 0x58
	s_load_b64 s[14:15], s[0:1], 0x8
	;; [unrolled: 1-line block ×3, first 2 shown]
	s_wait_kmcnt 0x0
	s_bitcmp1_b32 s17, 0
	s_cselect_b32 s2, -1, 0
	s_delay_alu instid0(SALU_CYCLE_1)
	s_and_b32 vcc_lo, exec_lo, s2
	s_xor_b32 s2, s2, -1
	s_cbranch_vccnz .LBB114_2
; %bb.1:
	s_load_b32 s14, s[14:15], 0x0
.LBB114_2:
	s_and_not1_b32 vcc_lo, exec_lo, s2
	s_cbranch_vccnz .LBB114_4
; %bb.3:
	s_load_b32 s12, s[12:13], 0x0
.LBB114_4:
	s_wait_kmcnt 0x0
	s_cmp_neq_f32 s14, 0
	s_mov_b32 s6, 0
	s_cselect_b32 s2, -1, 0
	s_cmp_neq_f32 s12, 1.0
	s_cselect_b32 s3, -1, 0
	s_delay_alu instid0(SALU_CYCLE_1) | instskip(NEXT) | instid1(SALU_CYCLE_1)
	s_or_b32 s2, s2, s3
	s_and_not1_b32 vcc_lo, exec_lo, s2
	s_cbranch_vccnz .LBB114_10
; %bb.5:
	s_clause 0x1
	s_load_b64 s[4:5], s[0:1], 0x18
	s_load_b64 s[2:3], s[0:1], 0x0
	v_lshrrev_b32_e32 v1, 6, v0
	s_delay_alu instid0(VALU_DEP_1)
	v_lshl_or_b32 v4, ttmp9, 1, v1
	s_wait_kmcnt 0x0
	s_cmp_lg_u64 s[4:5], 0
	s_cbranch_scc0 .LBB114_11
; %bb.6:
	s_load_b32 s6, s[0:1], 0x10
	s_mov_b32 s7, 0
                                        ; implicit-def: $vgpr1
	s_wait_kmcnt 0x0
	v_cmp_gt_i32_e32 vcc_lo, s6, v4
	s_mov_b32 s6, 0
	s_and_saveexec_b32 s8, vcc_lo
	s_delay_alu instid0(SALU_CYCLE_1)
	s_xor_b32 s8, exec_lo, s8
	s_cbranch_execz .LBB114_8
; %bb.7:
	v_ashrrev_i32_e32 v5, 31, v4
	s_mov_b32 s6, exec_lo
	s_delay_alu instid0(VALU_DEP_1) | instskip(NEXT) | instid1(VALU_DEP_1)
	v_lshlrev_b64_e32 v[1:2], 2, v[4:5]
	v_add_co_u32 v1, vcc_lo, s4, v1
	s_delay_alu instid0(VALU_DEP_1)
	v_add_co_ci_u32_e64 v2, null, s5, v2, vcc_lo
	global_load_b32 v1, v[1:2], off
	s_wait_loadcnt 0x0
	v_subrev_nc_u32_e32 v1, s16, v1
.LBB114_8:
	s_or_b32 exec_lo, exec_lo, s8
	s_delay_alu instid0(SALU_CYCLE_1)
	s_and_b32 vcc_lo, exec_lo, s7
	s_wait_alu 0xfffe
	s_cbranch_vccz .LBB114_12
.LBB114_9:
	v_cmp_gt_i32_e32 vcc_lo, s2, v4
	s_and_not1_b32 s2, s6, exec_lo
	s_and_b32 s4, vcc_lo, exec_lo
	s_wait_alu 0xfffe
	s_or_b32 s6, s2, s4
	s_wait_alu 0xfffe
	s_and_saveexec_b32 s2, s6
	s_cbranch_execnz .LBB114_13
.LBB114_10:
	s_endpgm
.LBB114_11:
                                        ; implicit-def: $vgpr1
	s_cbranch_execnz .LBB114_9
.LBB114_12:
	v_mov_b32_e32 v4, v1
	s_and_saveexec_b32 s2, s6
	s_cbranch_execz .LBB114_10
.LBB114_13:
	s_load_b256 s[4:11], s[0:1], 0x20
	s_delay_alu instid0(VALU_DEP_1) | instskip(SKIP_1) | instid1(VALU_DEP_2)
	v_ashrrev_i32_e32 v5, 31, v4
	v_dual_mov_b32 v22, 0 :: v_dual_and_b32 v21, 63, v0
	v_lshlrev_b64_e32 v[1:2], 3, v[4:5]
	s_wait_kmcnt 0x0
	s_delay_alu instid0(VALU_DEP_1) | instskip(SKIP_1) | instid1(VALU_DEP_2)
	v_add_co_u32 v5, vcc_lo, s4, v1
	s_wait_alu 0xfffd
	v_add_co_ci_u32_e64 v6, null, s5, v2, vcc_lo
	v_add_co_u32 v1, vcc_lo, s6, v1
	s_wait_alu 0xfffd
	v_add_co_ci_u32_e64 v2, null, s7, v2, vcc_lo
	v_add_co_u32 v3, vcc_lo, v5, 8
	global_load_b64 v[9:10], v[5:6], off
	s_wait_alu 0xfffd
	v_add_co_ci_u32_e64 v7, null, 0, v6, vcc_lo
	s_cmp_eq_u64 s[6:7], 0
	s_load_b64 s[4:5], s[0:1], 0x40
	s_cselect_b32 vcc_lo, -1, 0
	s_cmp_eq_u32 s3, 1
	s_wait_alu 0xfffe
	v_cndmask_b32_e32 v2, v2, v7, vcc_lo
	v_cndmask_b32_e32 v1, v1, v3, vcc_lo
	global_load_b64 v[2:3], v[1:2], off
	s_wait_loadcnt 0x1
	v_sub_co_u32 v0, vcc_lo, v9, s16
	s_wait_alu 0xfffd
	v_subrev_co_ci_u32_e64 v1, null, 0, v10, vcc_lo
	s_delay_alu instid0(VALU_DEP_2) | instskip(SKIP_1) | instid1(VALU_DEP_2)
	v_add_co_u32 v0, vcc_lo, v0, v21
	s_wait_alu 0xfffd
	v_add_co_ci_u32_e64 v1, null, 0, v1, vcc_lo
	s_delay_alu instid0(VALU_DEP_1) | instskip(SKIP_4) | instid1(VALU_DEP_3)
	v_lshlrev_b64_e32 v[5:6], 5, v[0:1]
	s_wait_loadcnt 0x0
	v_sub_co_u32 v2, vcc_lo, v2, s16
	s_wait_alu 0xfffd
	v_subrev_co_ci_u32_e64 v3, null, 0, v3, vcc_lo
	v_add_co_u32 v5, vcc_lo, s10, v5
	s_delay_alu instid0(VALU_DEP_2)
	v_cmp_lt_i64_e64 s2, v[0:1], v[2:3]
	s_wait_alu 0xfffd
	v_add_co_ci_u32_e64 v6, null, s11, v6, vcc_lo
	s_cbranch_scc1 .LBB114_25
; %bb.14:
	v_dual_mov_b32 v23, 0 :: v_dual_mov_b32 v24, 0
	v_mov_b32_e32 v8, 0
	s_and_saveexec_b32 s3, s2
	s_cbranch_execz .LBB114_24
; %bb.15:
	v_or_b32_e32 v7, 64, v21
	v_not_b32_e32 v12, v9
	v_not_b32_e32 v11, v10
	s_delay_alu instid0(VALU_DEP_3) | instskip(SKIP_3) | instid1(VALU_DEP_3)
	v_sub_co_u32 v7, s6, v7, s16
	s_wait_alu 0xf1ff
	v_sub_co_ci_u32_e64 v8, null, 0, 0, s6
	v_sub_co_u32 v13, s6, s16, v21
	v_add_co_u32 v7, vcc_lo, v7, v9
	s_wait_alu 0xfffd
	s_delay_alu instid0(VALU_DEP_3)
	v_add_co_ci_u32_e64 v8, null, v8, v10, vcc_lo
	s_wait_alu 0xf1ff
	v_sub_co_ci_u32_e64 v14, null, 0, 0, s6
	s_mov_b32 s6, exec_lo
	v_cmp_gt_i64_e32 vcc_lo, v[7:8], v[2:3]
	s_wait_alu 0xfffd
	v_dual_cndmask_b32 v16, v3, v8 :: v_dual_cndmask_b32 v7, v2, v7
	v_add_co_u32 v8, vcc_lo, v13, v12
	s_wait_alu 0xfffd
	v_add_co_ci_u32_e64 v11, null, v14, v11, vcc_lo
	v_mov_b32_e32 v14, v6
	s_delay_alu instid0(VALU_DEP_3) | instskip(SKIP_4) | instid1(VALU_DEP_3)
	v_add_co_u32 v15, vcc_lo, v8, v7
	v_mov_b32_e32 v8, 0
	s_wait_alu 0xfffd
	v_add_co_ci_u32_e64 v16, null, v11, v16, vcc_lo
	v_dual_mov_b32 v12, v1 :: v_dual_mov_b32 v13, v5
	v_dual_mov_b32 v24, v8 :: v_dual_and_b32 v7, 0xc0, v15
	v_dual_mov_b32 v23, v8 :: v_dual_mov_b32 v22, v8
	v_mov_b32_e32 v11, v0
	s_delay_alu instid0(VALU_DEP_3)
	v_cmpx_ne_u64_e32 0xc0, v[7:8]
	s_cbranch_execz .LBB114_19
; %bb.16:
	v_lshrrev_b32_e32 v7, 6, v15
	v_mov_b32_e32 v22, 0
	v_dual_mov_b32 v14, v6 :: v_dual_mov_b32 v13, v5
	v_dual_mov_b32 v12, v1 :: v_dual_mov_b32 v11, v0
	s_delay_alu instid0(VALU_DEP_4) | instskip(SKIP_2) | instid1(VALU_DEP_3)
	v_add_nc_u32_e32 v17, 1, v7
	v_lshlrev_b64_e32 v[7:8], 2, v[0:1]
	v_dual_mov_b32 v23, 0 :: v_dual_mov_b32 v24, 0
	v_and_b32_e32 v19, 3, v17
	s_delay_alu instid0(VALU_DEP_3) | instskip(SKIP_1) | instid1(VALU_DEP_4)
	v_add_co_u32 v17, vcc_lo, s8, v7
	s_wait_alu 0xfffd
	v_add_co_ci_u32_e64 v18, null, s9, v8, vcc_lo
	v_mov_b32_e32 v8, 0
	v_sub_co_u32 v19, s7, 0, v19
	s_wait_alu 0xf1ff
	v_sub_co_ci_u32_e64 v20, null, 0, 0, s7
	s_mov_b32 s7, 0
.LBB114_17:                             ; =>This Inner Loop Header: Depth=1
	global_load_b32 v7, v[17:18], off
	global_load_b128 v[25:28], v[13:14], off
	s_wait_loadcnt 0x1
	v_subrev_nc_u32_e32 v7, s16, v7
	s_delay_alu instid0(VALU_DEP_1) | instskip(NEXT) | instid1(VALU_DEP_1)
	v_lshlrev_b32_e32 v29, 2, v7
	v_ashrrev_i32_e32 v30, 31, v29
	s_delay_alu instid0(VALU_DEP_1) | instskip(SKIP_1) | instid1(VALU_DEP_1)
	v_lshlrev_b64_e32 v[29:30], 1, v[29:30]
	s_wait_kmcnt 0x0
	v_add_co_u32 v33, vcc_lo, s4, v29
	s_wait_alu 0xfffd
	s_delay_alu instid0(VALU_DEP_2)
	v_add_co_ci_u32_e64 v34, null, s5, v30, vcc_lo
	global_load_b128 v[29:32], v[13:14], off offset:16
	global_load_b64 v[33:34], v[33:34], off
	v_add_co_u32 v13, vcc_lo, 0x800, v13
	s_wait_alu 0xfffd
	v_add_co_ci_u32_e64 v14, null, 0, v14, vcc_lo
	v_add_co_u32 v11, vcc_lo, v11, 64
	s_wait_alu 0xfffd
	v_add_co_ci_u32_e64 v12, null, 0, v12, vcc_lo
	;; [unrolled: 3-line block ×4, first 2 shown]
	s_delay_alu instid0(VALU_DEP_1)
	v_cmp_eq_u64_e32 vcc_lo, 0, v[19:20]
	s_wait_alu 0xfffe
	s_or_b32 s7, vcc_lo, s7
	s_wait_loadcnt 0x1
	v_lshlrev_b32_e32 v38, 16, v29
	s_wait_loadcnt 0x0
	v_lshlrev_b32_e32 v42, 16, v33
	v_lshlrev_b32_e32 v36, 16, v27
	s_delay_alu instid0(VALU_DEP_2) | instskip(NEXT) | instid1(VALU_DEP_2)
	v_dual_fmac_f32 v23, v38, v42 :: v_dual_lshlrev_b32 v40, 16, v31
	v_dual_fmac_f32 v24, v36, v42 :: v_dual_lshlrev_b32 v7, 16, v25
	s_delay_alu instid0(VALU_DEP_2) | instskip(NEXT) | instid1(VALU_DEP_2)
	v_dual_fmac_f32 v22, v40, v42 :: v_dual_and_b32 v25, 0xffff0000, v25
	v_fmac_f32_e32 v8, v7, v42
	v_lshlrev_b32_e32 v7, 16, v34
	v_and_b32_e32 v33, 0xffff0000, v33
	s_delay_alu instid0(VALU_DEP_1) | instskip(SKIP_1) | instid1(VALU_DEP_2)
	v_dual_fmac_f32 v8, v25, v33 :: v_dual_lshlrev_b32 v35, 16, v26
	v_and_b32_e32 v29, 0xffff0000, v29
	v_dual_fmac_f32 v8, v35, v7 :: v_dual_and_b32 v25, 0xffff0000, v34
	s_delay_alu instid0(VALU_DEP_2) | instskip(NEXT) | instid1(VALU_DEP_1)
	v_dual_fmac_f32 v23, v29, v33 :: v_dual_and_b32 v26, 0xffff0000, v26
	v_dual_fmac_f32 v8, v26, v25 :: v_dual_and_b32 v31, 0xffff0000, v31
	s_delay_alu instid0(VALU_DEP_1) | instskip(NEXT) | instid1(VALU_DEP_1)
	v_dual_fmac_f32 v22, v31, v33 :: v_dual_and_b32 v27, 0xffff0000, v27
	v_dual_fmac_f32 v24, v27, v33 :: v_dual_lshlrev_b32 v37, 16, v28
	v_lshlrev_b32_e32 v39, 16, v30
	v_and_b32_e32 v30, 0xffff0000, v30
	s_delay_alu instid0(VALU_DEP_3) | instskip(NEXT) | instid1(VALU_DEP_3)
	v_fmac_f32_e32 v24, v37, v7
	v_dual_fmac_f32 v23, v39, v7 :: v_dual_and_b32 v28, 0xffff0000, v28
	v_lshlrev_b32_e32 v41, 16, v32
	v_and_b32_e32 v32, 0xffff0000, v32
	s_delay_alu instid0(VALU_DEP_3) | instskip(NEXT) | instid1(VALU_DEP_3)
	v_fmac_f32_e32 v24, v28, v25
	v_dual_fmac_f32 v23, v30, v25 :: v_dual_fmac_f32 v22, v41, v7
	s_delay_alu instid0(VALU_DEP_1)
	v_fmac_f32_e32 v22, v32, v25
	s_wait_alu 0xfffe
	s_and_not1_b32 exec_lo, exec_lo, s7
	s_cbranch_execnz .LBB114_17
; %bb.18:
	s_or_b32 exec_lo, exec_lo, s7
.LBB114_19:
	s_wait_alu 0xfffe
	s_or_b32 exec_lo, exec_lo, s6
	s_delay_alu instid0(SALU_CYCLE_1)
	s_mov_b32 s6, exec_lo
	v_cmpx_lt_u64_e32 0xbf, v[15:16]
	s_cbranch_execz .LBB114_23
; %bb.20:
	v_lshlrev_b64_e32 v[15:16], 2, v[11:12]
	s_mov_b32 s7, 0
	s_delay_alu instid0(VALU_DEP_1) | instskip(SKIP_1) | instid1(VALU_DEP_2)
	v_add_co_u32 v7, vcc_lo, s8, v15
	s_wait_alu 0xfffd
	v_add_co_ci_u32_e64 v16, null, s9, v16, vcc_lo
	s_delay_alu instid0(VALU_DEP_2) | instskip(SKIP_1) | instid1(VALU_DEP_2)
	v_add_co_u32 v15, vcc_lo, 0x200, v7
	s_wait_alu 0xfffd
	v_add_co_ci_u32_e64 v16, null, 0, v16, vcc_lo
.LBB114_21:                             ; =>This Inner Loop Header: Depth=1
	s_clause 0x3
	global_load_b32 v7, v[15:16], off offset:-512
	global_load_b32 v53, v[15:16], off offset:-256
	global_load_b32 v54, v[15:16], off
	global_load_b32 v55, v[15:16], off offset:256
	s_clause 0x7
	global_load_b128 v[17:20], v[13:14], off
	global_load_b128 v[25:28], v[13:14], off offset:16
	global_load_b128 v[29:32], v[13:14], off offset:2048
	;; [unrolled: 1-line block ×7, first 2 shown]
	s_wait_loadcnt 0xb
	v_subrev_nc_u32_e32 v7, s16, v7
	s_wait_loadcnt 0xa
	v_subrev_nc_u32_e32 v56, s16, v53
	;; [unrolled: 2-line block ×4, first 2 shown]
	v_lshlrev_b32_e32 v53, 2, v7
	s_wait_loadcnt 0x7
	v_lshlrev_b32_e32 v7, 16, v17
	s_wait_loadcnt 0x6
	v_lshlrev_b32_e32 v66, 16, v27
	v_and_b32_e32 v27, 0xffff0000, v27
	v_lshlrev_b32_e32 v59, 2, v58
	s_wait_loadcnt 0x1
	v_lshlrev_b32_e32 v84, 16, v45
	s_wait_loadcnt 0x0
	v_lshlrev_b32_e32 v88, 16, v49
	v_lshlrev_b32_e32 v72, 16, v33
	;; [unrolled: 1-line block ×3, first 2 shown]
	v_and_b32_e32 v25, 0xffff0000, v25
	v_lshlrev_b32_e32 v62, 16, v19
	v_lshlrev_b32_e32 v57, 2, v54
	v_ashrrev_i32_e32 v54, 31, v53
	v_and_b32_e32 v19, 0xffff0000, v19
	v_lshlrev_b32_e32 v61, 16, v18
	v_and_b32_e32 v17, 0xffff0000, v17
	v_lshlrev_b32_e32 v55, 2, v56
	v_lshlrev_b64_e32 v[53:54], 1, v[53:54]
	v_ashrrev_i32_e32 v58, 31, v57
	v_ashrrev_i32_e32 v60, 31, v59
	v_lshlrev_b32_e32 v86, 16, v47
	v_ashrrev_i32_e32 v56, 31, v55
	v_lshlrev_b32_e32 v76, 16, v37
	s_wait_kmcnt 0x0
	v_add_co_u32 v53, vcc_lo, s4, v53
	s_wait_alu 0xfffd
	v_add_co_ci_u32_e64 v54, null, s5, v54, vcc_lo
	v_lshlrev_b64_e32 v[55:56], 1, v[55:56]
	v_lshlrev_b64_e32 v[57:58], 1, v[57:58]
	v_lshlrev_b64_e32 v[59:60], 1, v[59:60]
	global_load_b64 v[53:54], v[53:54], off
	v_lshlrev_b32_e32 v80, 16, v41
	v_and_b32_e32 v41, 0xffff0000, v41
	v_add_co_u32 v55, vcc_lo, s4, v55
	s_wait_alu 0xfffd
	v_add_co_ci_u32_e64 v56, null, s5, v56, vcc_lo
	v_add_co_u32 v57, vcc_lo, s4, v57
	s_wait_alu 0xfffd
	v_add_co_ci_u32_e64 v58, null, s5, v58, vcc_lo
	global_load_b64 v[55:56], v[55:56], off
	v_add_co_u32 v59, vcc_lo, s4, v59
	global_load_b64 v[57:58], v[57:58], off
	s_wait_alu 0xfffd
	v_add_co_ci_u32_e64 v60, null, s5, v60, vcc_lo
	v_lshlrev_b32_e32 v70, 16, v31
	v_lshlrev_b32_e32 v68, 16, v29
	v_and_b32_e32 v49, 0xffff0000, v49
	global_load_b64 v[59:60], v[59:60], off
	v_lshlrev_b32_e32 v74, 16, v35
	v_lshlrev_b32_e32 v78, 16, v39
	;; [unrolled: 1-line block ×5, first 2 shown]
	v_and_b32_e32 v50, 0xffff0000, v50
	v_add_co_u32 v13, vcc_lo, 0x2000, v13
	s_wait_alu 0xfffd
	v_add_co_ci_u32_e64 v14, null, 0, v14, vcc_lo
	v_add_co_u32 v11, vcc_lo, 0x100, v11
	s_wait_alu 0xfffd
	v_add_co_ci_u32_e64 v12, null, 0, v12, vcc_lo
	;; [unrolled: 3-line block ×3, first 2 shown]
	s_delay_alu instid0(VALU_DEP_3)
	v_cmp_ge_i64_e32 vcc_lo, v[11:12], v[2:3]
	s_wait_alu 0xfffe
	s_or_b32 s7, vcc_lo, s7
	s_wait_loadcnt 0x3
	v_lshlrev_b32_e32 v92, 16, v53
	v_and_b32_e32 v18, 0xffff0000, v18
	s_delay_alu instid0(VALU_DEP_2) | instskip(SKIP_2) | instid1(VALU_DEP_3)
	v_dual_fmac_f32 v8, v7, v92 :: v_dual_and_b32 v53, 0xffff0000, v53
	v_fmac_f32_e32 v23, v64, v92
	v_dual_fmac_f32 v22, v66, v92 :: v_dual_lshlrev_b32 v7, 16, v54
	v_fmac_f32_e32 v8, v17, v53
	s_delay_alu instid0(VALU_DEP_3) | instskip(NEXT) | instid1(VALU_DEP_3)
	v_dual_fmac_f32 v23, v25, v53 :: v_dual_fmac_f32 v24, v62, v92
	v_dual_fmac_f32 v22, v27, v53 :: v_dual_and_b32 v17, 0xffff0000, v54
	v_lshlrev_b32_e32 v67, 16, v28
	s_delay_alu instid0(VALU_DEP_3) | instskip(SKIP_1) | instid1(VALU_DEP_3)
	v_dual_fmac_f32 v24, v19, v53 :: v_dual_lshlrev_b32 v63, 16, v20
	v_dual_fmac_f32 v8, v61, v7 :: v_dual_lshlrev_b32 v65, 16, v26
	v_fmac_f32_e32 v22, v67, v7
	s_delay_alu instid0(VALU_DEP_3) | instskip(NEXT) | instid1(VALU_DEP_3)
	v_fmac_f32_e32 v24, v63, v7
	v_fmac_f32_e32 v8, v18, v17
	s_delay_alu instid0(VALU_DEP_4) | instskip(SKIP_3) | instid1(VALU_DEP_3)
	v_dual_fmac_f32 v23, v65, v7 :: v_dual_and_b32 v20, 0xffff0000, v20
	s_wait_loadcnt 0x2
	v_lshlrev_b32_e32 v7, 16, v55
	v_and_b32_e32 v29, 0xffff0000, v29
	v_dual_fmac_f32 v24, v20, v17 :: v_dual_lshlrev_b32 v69, 16, v30
	s_delay_alu instid0(VALU_DEP_3) | instskip(NEXT) | instid1(VALU_DEP_2)
	v_fmac_f32_e32 v8, v68, v7
	v_dual_fmac_f32 v24, v70, v7 :: v_dual_and_b32 v33, 0xffff0000, v33
	v_and_b32_e32 v26, 0xffff0000, v26
	v_lshlrev_b32_e32 v73, 16, v34
	s_delay_alu instid0(VALU_DEP_2) | instskip(NEXT) | instid1(VALU_DEP_1)
	v_dual_fmac_f32 v23, v26, v17 :: v_dual_and_b32 v28, 0xffff0000, v28
	v_dual_fmac_f32 v22, v28, v17 :: v_dual_and_b32 v17, 0xffff0000, v55
	v_and_b32_e32 v31, 0xffff0000, v31
	v_lshlrev_b32_e32 v71, 16, v32
	s_delay_alu instid0(VALU_DEP_4) | instskip(NEXT) | instid1(VALU_DEP_4)
	v_fmac_f32_e32 v23, v72, v7
	v_dual_fmac_f32 v22, v74, v7 :: v_dual_lshlrev_b32 v7, 16, v56
	v_fmac_f32_e32 v8, v29, v17
	v_fmac_f32_e32 v24, v31, v17
	s_delay_alu instid0(VALU_DEP_2) | instskip(SKIP_4) | instid1(VALU_DEP_4)
	v_dual_fmac_f32 v8, v69, v7 :: v_dual_and_b32 v37, 0xffff0000, v37
	v_and_b32_e32 v35, 0xffff0000, v35
	v_lshlrev_b32_e32 v75, 16, v36
	v_dual_fmac_f32 v23, v33, v17 :: v_dual_and_b32 v36, 0xffff0000, v36
	v_fmac_f32_e32 v24, v71, v7
	v_dual_fmac_f32 v22, v35, v17 :: v_dual_lshlrev_b32 v77, 16, v38
	v_and_b32_e32 v17, 0xffff0000, v56
	s_delay_alu instid0(VALU_DEP_4) | instskip(SKIP_1) | instid1(VALU_DEP_3)
	v_dual_fmac_f32 v23, v73, v7 :: v_dual_and_b32 v38, 0xffff0000, v38
	s_wait_loadcnt 0x1
	v_dual_fmac_f32 v22, v75, v7 :: v_dual_lshlrev_b32 v7, 16, v57
	v_lshlrev_b32_e32 v81, 16, v42
	v_and_b32_e32 v32, 0xffff0000, v32
	v_and_b32_e32 v42, 0xffff0000, v42
	;; [unrolled: 1-line block ×4, first 2 shown]
	s_delay_alu instid0(VALU_DEP_4) | instskip(SKIP_1) | instid1(VALU_DEP_4)
	v_dual_fmac_f32 v24, v32, v17 :: v_dual_and_b32 v39, 0xffff0000, v39
	v_dual_fmac_f32 v22, v36, v17 :: v_dual_lshlrev_b32 v79, 16, v40
	v_fmac_f32_e32 v23, v34, v17
	s_delay_alu instid0(VALU_DEP_4) | instskip(NEXT) | instid1(VALU_DEP_4)
	v_dual_fmac_f32 v8, v30, v17 :: v_dual_lshlrev_b32 v83, 16, v44
	v_dual_fmac_f32 v24, v78, v7 :: v_dual_and_b32 v17, 0xffff0000, v57
	s_delay_alu instid0(VALU_DEP_3) | instskip(NEXT) | instid1(VALU_DEP_3)
	v_fmac_f32_e32 v23, v80, v7
	v_fmac_f32_e32 v8, v76, v7
	v_and_b32_e32 v43, 0xffff0000, v43
	v_dual_fmac_f32 v22, v82, v7 :: v_dual_lshlrev_b32 v85, 16, v46
	v_fmac_f32_e32 v24, v39, v17
	v_and_b32_e32 v46, 0xffff0000, v46
	v_dual_fmac_f32 v8, v37, v17 :: v_dual_lshlrev_b32 v7, 16, v58
	s_delay_alu instid0(VALU_DEP_4) | instskip(SKIP_2) | instid1(VALU_DEP_4)
	v_dual_fmac_f32 v22, v43, v17 :: v_dual_and_b32 v47, 0xffff0000, v47
	v_dual_fmac_f32 v23, v41, v17 :: v_dual_and_b32 v40, 0xffff0000, v40
	v_and_b32_e32 v44, 0xffff0000, v44
	v_dual_fmac_f32 v8, v77, v7 :: v_dual_and_b32 v45, 0xffff0000, v45
	v_dual_fmac_f32 v24, v79, v7 :: v_dual_lshlrev_b32 v87, 16, v48
	v_and_b32_e32 v17, 0xffff0000, v58
	v_fmac_f32_e32 v23, v81, v7
	v_fmac_f32_e32 v22, v83, v7
	v_and_b32_e32 v48, 0xffff0000, v48
	s_delay_alu instid0(VALU_DEP_4) | instskip(NEXT) | instid1(VALU_DEP_3)
	v_dual_fmac_f32 v24, v40, v17 :: v_dual_and_b32 v51, 0xffff0000, v51
	v_dual_fmac_f32 v22, v44, v17 :: v_dual_lshlrev_b32 v91, 16, v52
	s_wait_loadcnt 0x0
	v_dual_fmac_f32 v8, v38, v17 :: v_dual_lshlrev_b32 v7, 16, v59
	v_fmac_f32_e32 v23, v42, v17
	v_and_b32_e32 v17, 0xffff0000, v59
	v_and_b32_e32 v52, 0xffff0000, v52
	s_delay_alu instid0(VALU_DEP_4) | instskip(SKIP_3) | instid1(VALU_DEP_4)
	v_fmac_f32_e32 v24, v86, v7
	v_fmac_f32_e32 v8, v84, v7
	;; [unrolled: 1-line block ×5, first 2 shown]
	s_delay_alu instid0(VALU_DEP_4) | instskip(NEXT) | instid1(VALU_DEP_4)
	v_fmac_f32_e32 v8, v45, v17
	v_fmac_f32_e32 v23, v49, v17
	s_delay_alu instid0(VALU_DEP_4) | instskip(SKIP_1) | instid1(VALU_DEP_1)
	v_dual_fmac_f32 v22, v51, v17 :: v_dual_and_b32 v17, 0xffff0000, v60
	v_lshlrev_b32_e32 v7, 16, v60
	v_fmac_f32_e32 v22, v91, v7
	s_delay_alu instid0(VALU_DEP_1) | instskip(SKIP_2) | instid1(VALU_DEP_2)
	v_fmac_f32_e32 v22, v52, v17
	v_fmac_f32_e32 v8, v85, v7
	;; [unrolled: 1-line block ×3, first 2 shown]
	v_dual_fmac_f32 v23, v89, v7 :: v_dual_fmac_f32 v8, v46, v17
	s_delay_alu instid0(VALU_DEP_2) | instskip(NEXT) | instid1(VALU_DEP_2)
	v_fmac_f32_e32 v24, v48, v17
	v_fmac_f32_e32 v23, v50, v17
	s_wait_alu 0xfffe
	s_and_not1_b32 exec_lo, exec_lo, s7
	s_cbranch_execnz .LBB114_21
; %bb.22:
	s_or_b32 exec_lo, exec_lo, s7
.LBB114_23:
	s_wait_alu 0xfffe
	s_or_b32 exec_lo, exec_lo, s6
.LBB114_24:
	s_wait_alu 0xfffe
	s_or_b32 exec_lo, exec_lo, s3
	s_cbranch_execz .LBB114_26
	s_branch .LBB114_37
.LBB114_25:
                                        ; implicit-def: $vgpr22
                                        ; implicit-def: $vgpr23
                                        ; implicit-def: $vgpr24
                                        ; implicit-def: $vgpr8
.LBB114_26:
	v_dual_mov_b32 v22, 0 :: v_dual_mov_b32 v23, 0
	v_mov_b32_e32 v24, 0
	v_mov_b32_e32 v8, 0
	s_and_saveexec_b32 s3, s2
	s_cbranch_execz .LBB114_36
; %bb.27:
	v_or_b32_e32 v7, 64, v21
	s_delay_alu instid0(VALU_DEP_1) | instskip(SKIP_3) | instid1(VALU_DEP_3)
	v_sub_co_u32 v7, s2, v7, s16
	s_wait_alu 0xf1ff
	v_sub_co_ci_u32_e64 v8, null, 0, 0, s2
	v_sub_co_u32 v11, s2, s16, v21
	v_add_co_u32 v7, vcc_lo, v7, v9
	s_wait_alu 0xfffd
	s_delay_alu instid0(VALU_DEP_3)
	v_add_co_ci_u32_e64 v8, null, v8, v10, vcc_lo
	v_not_b32_e32 v9, v9
	v_not_b32_e32 v10, v10
	s_wait_alu 0xf1ff
	v_sub_co_ci_u32_e64 v12, null, 0, 0, s2
	v_cmp_gt_i64_e32 vcc_lo, v[7:8], v[2:3]
	s_mov_b32 s2, exec_lo
	s_wait_alu 0xfffd
	v_cndmask_b32_e32 v13, v3, v8, vcc_lo
	v_cndmask_b32_e32 v7, v2, v7, vcc_lo
	v_add_co_u32 v8, vcc_lo, v11, v9
	s_wait_alu 0xfffd
	v_add_co_ci_u32_e64 v10, null, v12, v10, vcc_lo
	s_delay_alu instid0(VALU_DEP_2) | instskip(SKIP_2) | instid1(VALU_DEP_3)
	v_add_co_u32 v9, vcc_lo, v8, v7
	v_mov_b32_e32 v8, 0
	s_wait_alu 0xfffd
	v_add_co_ci_u32_e64 v10, null, v10, v13, vcc_lo
	s_delay_alu instid0(VALU_DEP_2) | instskip(SKIP_1) | instid1(VALU_DEP_2)
	v_dual_mov_b32 v22, v8 :: v_dual_and_b32 v7, 0xc0, v9
	v_dual_mov_b32 v24, v8 :: v_dual_mov_b32 v23, v8
	v_cmpx_ne_u64_e32 0xc0, v[7:8]
	s_cbranch_execz .LBB114_31
; %bb.28:
	v_lshrrev_b32_e32 v7, 6, v9
	v_dual_mov_b32 v23, 0 :: v_dual_mov_b32 v24, 0
	s_delay_alu instid0(VALU_DEP_2) | instskip(SKIP_1) | instid1(VALU_DEP_2)
	v_dual_mov_b32 v22, 0 :: v_dual_add_nc_u32 v11, 1, v7
	v_lshlrev_b64_e32 v[7:8], 2, v[0:1]
	v_and_b32_e32 v13, 3, v11
	s_delay_alu instid0(VALU_DEP_2) | instskip(SKIP_1) | instid1(VALU_DEP_3)
	v_add_co_u32 v11, vcc_lo, s8, v7
	s_wait_alu 0xfffd
	v_add_co_ci_u32_e64 v12, null, s9, v8, vcc_lo
	v_mov_b32_e32 v8, 0
	v_sub_co_u32 v13, s6, 0, v13
	s_wait_alu 0xf1ff
	v_sub_co_ci_u32_e64 v14, null, 0, 0, s6
	s_mov_b32 s6, 0
.LBB114_29:                             ; =>This Inner Loop Header: Depth=1
	global_load_b32 v7, v[11:12], off
	global_load_b128 v[15:18], v[5:6], off
	s_wait_loadcnt 0x1
	v_subrev_nc_u32_e32 v7, s16, v7
	s_delay_alu instid0(VALU_DEP_1) | instskip(NEXT) | instid1(VALU_DEP_1)
	v_lshlrev_b32_e32 v19, 2, v7
	v_ashrrev_i32_e32 v20, 31, v19
	s_delay_alu instid0(VALU_DEP_1) | instskip(SKIP_1) | instid1(VALU_DEP_1)
	v_lshlrev_b64_e32 v[19:20], 1, v[19:20]
	s_wait_kmcnt 0x0
	v_add_co_u32 v19, vcc_lo, s4, v19
	s_wait_alu 0xfffd
	s_delay_alu instid0(VALU_DEP_2)
	v_add_co_ci_u32_e64 v20, null, s5, v20, vcc_lo
	global_load_b64 v[19:20], v[19:20], off
	global_load_b128 v[25:28], v[5:6], off offset:16
	v_add_co_u32 v5, vcc_lo, 0x800, v5
	s_wait_alu 0xfffd
	v_add_co_ci_u32_e64 v6, null, 0, v6, vcc_lo
	v_add_co_u32 v0, vcc_lo, v0, 64
	s_wait_alu 0xfffd
	v_add_co_ci_u32_e64 v1, null, 0, v1, vcc_lo
	;; [unrolled: 3-line block ×4, first 2 shown]
	s_delay_alu instid0(VALU_DEP_1)
	v_cmp_eq_u64_e32 vcc_lo, 0, v[13:14]
	s_wait_alu 0xfffe
	s_or_b32 s6, vcc_lo, s6
	s_wait_loadcnt 0x1
	v_lshlrev_b32_e32 v36, 16, v19
	v_lshlrev_b32_e32 v7, 16, v15
	v_lshlrev_b32_e32 v30, 16, v17
	v_and_b32_e32 v19, 0xffff0000, v19
	v_lshlrev_b32_e32 v29, 16, v16
	v_lshlrev_b32_e32 v31, 16, v18
	v_and_b32_e32 v16, 0xffff0000, v16
	v_and_b32_e32 v15, 0xffff0000, v15
	s_wait_loadcnt 0x0
	v_lshlrev_b32_e32 v34, 16, v27
	s_delay_alu instid0(VALU_DEP_3) | instskip(NEXT) | instid1(VALU_DEP_3)
	v_dual_fmac_f32 v22, v16, v36 :: v_dual_and_b32 v27, 0xffff0000, v27
	v_fmac_f32_e32 v24, v15, v36
	v_fmac_f32_e32 v8, v7, v36
	v_and_b32_e32 v15, 0xffff0000, v20
	v_lshlrev_b32_e32 v7, 16, v20
	v_lshlrev_b32_e32 v33, 16, v26
	v_and_b32_e32 v18, 0xffff0000, v18
	v_dual_fmac_f32 v8, v30, v19 :: v_dual_and_b32 v17, 0xffff0000, v17
	v_dual_fmac_f32 v23, v29, v36 :: v_dual_and_b32 v26, 0xffff0000, v26
	s_delay_alu instid0(VALU_DEP_3) | instskip(NEXT) | instid1(VALU_DEP_3)
	v_fmac_f32_e32 v22, v18, v19
	v_dual_fmac_f32 v24, v17, v19 :: v_dual_lshlrev_b32 v35, 16, v28
	s_delay_alu instid0(VALU_DEP_3) | instskip(NEXT) | instid1(VALU_DEP_3)
	v_dual_fmac_f32 v23, v31, v19 :: v_dual_and_b32 v28, 0xffff0000, v28
	v_fmac_f32_e32 v22, v26, v7
	s_delay_alu instid0(VALU_DEP_2) | instskip(NEXT) | instid1(VALU_DEP_2)
	v_dual_fmac_f32 v23, v33, v7 :: v_dual_lshlrev_b32 v32, 16, v25
	v_fmac_f32_e32 v22, v28, v15
	s_delay_alu instid0(VALU_DEP_2) | instskip(NEXT) | instid1(VALU_DEP_3)
	v_fmac_f32_e32 v23, v35, v15
	v_dual_fmac_f32 v8, v32, v7 :: v_dual_and_b32 v25, 0xffff0000, v25
	s_delay_alu instid0(VALU_DEP_1) | instskip(NEXT) | instid1(VALU_DEP_2)
	v_fmac_f32_e32 v8, v34, v15
	v_fmac_f32_e32 v24, v25, v7
	s_delay_alu instid0(VALU_DEP_1)
	v_fmac_f32_e32 v24, v27, v15
	s_wait_alu 0xfffe
	s_and_not1_b32 exec_lo, exec_lo, s6
	s_cbranch_execnz .LBB114_29
; %bb.30:
	s_or_b32 exec_lo, exec_lo, s6
.LBB114_31:
	s_wait_alu 0xfffe
	s_or_b32 exec_lo, exec_lo, s2
	s_delay_alu instid0(SALU_CYCLE_1)
	s_mov_b32 s2, exec_lo
	v_cmpx_lt_u64_e32 0xbf, v[9:10]
	s_cbranch_execz .LBB114_35
; %bb.32:
	v_lshlrev_b64_e32 v[9:10], 2, v[0:1]
	s_mov_b32 s6, 0
	s_delay_alu instid0(VALU_DEP_1) | instskip(SKIP_1) | instid1(VALU_DEP_2)
	v_add_co_u32 v7, vcc_lo, s8, v9
	s_wait_alu 0xfffd
	v_add_co_ci_u32_e64 v10, null, s9, v10, vcc_lo
	s_delay_alu instid0(VALU_DEP_2) | instskip(SKIP_1) | instid1(VALU_DEP_2)
	v_add_co_u32 v9, vcc_lo, 0x200, v7
	s_wait_alu 0xfffd
	v_add_co_ci_u32_e64 v10, null, 0, v10, vcc_lo
.LBB114_33:                             ; =>This Inner Loop Header: Depth=1
	s_clause 0x3
	global_load_b32 v7, v[9:10], off offset:-512
	global_load_b32 v19, v[9:10], off offset:-256
	global_load_b32 v20, v[9:10], off
	global_load_b32 v45, v[9:10], off offset:256
	s_clause 0x6
	global_load_b128 v[11:14], v[5:6], off
	global_load_b128 v[15:18], v[5:6], off offset:16
	global_load_b128 v[25:28], v[5:6], off offset:2048
	global_load_b128 v[29:32], v[5:6], off offset:2064
	global_load_b128 v[33:36], v[5:6], off offset:4096
	global_load_b128 v[37:40], v[5:6], off offset:4112
	global_load_b128 v[41:44], v[5:6], off offset:6144
	s_wait_loadcnt 0xa
	v_subrev_nc_u32_e32 v7, s16, v7
	s_wait_loadcnt 0x9
	v_subrev_nc_u32_e32 v46, s16, v19
	;; [unrolled: 2-line block ×4, first 2 shown]
	v_lshlrev_b32_e32 v19, 2, v7
	s_wait_loadcnt 0x5
	v_lshlrev_b32_e32 v58, 16, v15
	v_lshlrev_b32_e32 v57, 16, v14
	;; [unrolled: 1-line block ×5, first 2 shown]
	v_and_b32_e32 v11, 0xffff0000, v11
	v_lshlrev_b32_e32 v47, 2, v20
	v_ashrrev_i32_e32 v20, 31, v19
	v_and_b32_e32 v15, 0xffff0000, v15
	v_lshlrev_b32_e32 v59, 16, v16
	v_and_b32_e32 v14, 0xffff0000, v14
	v_and_b32_e32 v13, 0xffff0000, v13
	v_lshlrev_b32_e32 v55, 16, v12
	v_and_b32_e32 v12, 0xffff0000, v12
	v_lshlrev_b32_e32 v49, 2, v48
	v_ashrrev_i32_e32 v46, 31, v45
	v_ashrrev_i32_e32 v48, 31, v47
	v_lshlrev_b64_e32 v[19:20], 1, v[19:20]
	s_wait_loadcnt 0x2
	v_lshlrev_b32_e32 v72, 16, v35
	v_ashrrev_i32_e32 v50, 31, v49
	v_lshlrev_b64_e32 v[45:46], 1, v[45:46]
	v_lshlrev_b64_e32 v[47:48], 1, v[47:48]
	v_and_b32_e32 v35, 0xffff0000, v35
	s_wait_kmcnt 0x0
	v_add_co_u32 v19, vcc_lo, s4, v19
	v_lshlrev_b64_e32 v[49:50], 1, v[49:50]
	s_wait_alu 0xfffd
	v_add_co_ci_u32_e64 v20, null, s5, v20, vcc_lo
	v_add_co_u32 v45, vcc_lo, s4, v45
	s_wait_alu 0xfffd
	v_add_co_ci_u32_e64 v46, null, s5, v46, vcc_lo
	v_add_co_u32 v47, vcc_lo, s4, v47
	;; [unrolled: 3-line block ×3, first 2 shown]
	s_wait_alu 0xfffd
	v_add_co_ci_u32_e64 v50, null, s5, v50, vcc_lo
	s_clause 0x3
	global_load_b64 v[19:20], v[19:20], off
	global_load_b64 v[51:52], v[45:46], off
	;; [unrolled: 1-line block ×4, first 2 shown]
	global_load_b128 v[45:48], v[5:6], off offset:6160
	v_lshlrev_b32_e32 v64, 16, v27
	v_and_b32_e32 v27, 0xffff0000, v27
	v_lshlrev_b32_e32 v68, 16, v31
	v_and_b32_e32 v31, 0xffff0000, v31
	s_wait_loadcnt 0x6
	v_lshlrev_b32_e32 v76, 16, v39
	s_wait_loadcnt 0x5
	v_lshlrev_b32_e32 v78, 16, v41
	v_and_b32_e32 v39, 0xffff0000, v39
	v_lshlrev_b32_e32 v80, 16, v43
	v_and_b32_e32 v43, 0xffff0000, v43
	v_add_co_u32 v5, vcc_lo, 0x2000, v5
	s_wait_alu 0xfffd
	v_add_co_ci_u32_e64 v6, null, 0, v6, vcc_lo
	v_add_co_u32 v0, vcc_lo, 0x100, v0
	s_wait_alu 0xfffd
	v_add_co_ci_u32_e64 v1, null, 0, v1, vcc_lo
	;; [unrolled: 3-line block ×3, first 2 shown]
	s_delay_alu instid0(VALU_DEP_3)
	v_cmp_ge_i64_e32 vcc_lo, v[0:1], v[2:3]
	s_wait_alu 0xfffe
	s_or_b32 s6, vcc_lo, s6
	s_wait_loadcnt 0x4
	v_lshlrev_b32_e32 v86, 16, v19
	v_and_b32_e32 v19, 0xffff0000, v19
	s_wait_loadcnt 0x0
	s_delay_alu instid0(VALU_DEP_2) | instskip(SKIP_2) | instid1(VALU_DEP_3)
	v_dual_fmac_f32 v24, v11, v86 :: v_dual_lshlrev_b32 v85, 16, v48
	v_dual_fmac_f32 v8, v7, v86 :: v_dual_lshlrev_b32 v7, 16, v20
	v_lshlrev_b32_e32 v74, 16, v37
	v_dual_fmac_f32 v24, v13, v19 :: v_dual_and_b32 v11, 0xffff0000, v20
	v_fmac_f32_e32 v23, v55, v86
	v_fmac_f32_e32 v22, v12, v86
	v_lshlrev_b32_e32 v82, 16, v45
	v_lshlrev_b32_e32 v84, 16, v47
	v_fmac_f32_e32 v24, v15, v7
	v_fmac_f32_e32 v23, v57, v19
	v_dual_fmac_f32 v8, v56, v19 :: v_dual_lshlrev_b32 v63, 16, v26
	v_and_b32_e32 v47, 0xffff0000, v47
	s_delay_alu instid0(VALU_DEP_3) | instskip(SKIP_3) | instid1(VALU_DEP_3)
	v_dual_fmac_f32 v23, v59, v7 :: v_dual_and_b32 v48, 0xffff0000, v48
	v_dual_fmac_f32 v22, v14, v19 :: v_dual_lshlrev_b32 v61, 16, v18
	v_and_b32_e32 v16, 0xffff0000, v16
	v_fmac_f32_e32 v8, v58, v7
	v_fmac_f32_e32 v23, v61, v11
	s_delay_alu instid0(VALU_DEP_3) | instskip(SKIP_3) | instid1(VALU_DEP_3)
	v_fmac_f32_e32 v22, v16, v7
	v_lshlrev_b32_e32 v7, 16, v51
	v_lshlrev_b32_e32 v60, 16, v17
	;; [unrolled: 1-line block ×3, first 2 shown]
	v_fmac_f32_e32 v23, v63, v7
	s_delay_alu instid0(VALU_DEP_3) | instskip(SKIP_1) | instid1(VALU_DEP_2)
	v_dual_fmac_f32 v8, v60, v11 :: v_dual_and_b32 v17, 0xffff0000, v17
	v_and_b32_e32 v18, 0xffff0000, v18
	v_fmac_f32_e32 v24, v17, v11
	s_delay_alu instid0(VALU_DEP_2) | instskip(SKIP_4) | instid1(VALU_DEP_4)
	v_fmac_f32_e32 v22, v18, v11
	v_and_b32_e32 v11, 0xffff0000, v51
	v_lshlrev_b32_e32 v69, 16, v32
	v_and_b32_e32 v26, 0xffff0000, v26
	v_lshlrev_b32_e32 v67, 16, v30
	v_fmac_f32_e32 v23, v65, v11
	s_delay_alu instid0(VALU_DEP_3) | instskip(SKIP_4) | instid1(VALU_DEP_4)
	v_fmac_f32_e32 v22, v26, v7
	v_lshlrev_b32_e32 v62, 16, v25
	v_and_b32_e32 v25, 0xffff0000, v25
	v_lshlrev_b32_e32 v71, 16, v34
	v_and_b32_e32 v28, 0xffff0000, v28
	v_fmac_f32_e32 v8, v62, v7
	s_delay_alu instid0(VALU_DEP_4) | instskip(NEXT) | instid1(VALU_DEP_3)
	v_dual_fmac_f32 v24, v25, v7 :: v_dual_lshlrev_b32 v7, 16, v52
	v_dual_fmac_f32 v22, v28, v11 :: v_dual_lshlrev_b32 v75, 16, v38
	v_and_b32_e32 v30, 0xffff0000, v30
	s_delay_alu instid0(VALU_DEP_4) | instskip(SKIP_2) | instid1(VALU_DEP_4)
	v_dual_fmac_f32 v8, v64, v11 :: v_dual_lshlrev_b32 v73, 16, v36
	v_lshlrev_b32_e32 v66, 16, v29
	v_dual_fmac_f32 v24, v27, v11 :: v_dual_and_b32 v29, 0xffff0000, v29
	v_dual_fmac_f32 v22, v30, v7 :: v_dual_lshlrev_b32 v79, 16, v42
	v_lshlrev_b32_e32 v70, 16, v33
	v_and_b32_e32 v33, 0xffff0000, v33
	s_delay_alu instid0(VALU_DEP_4) | instskip(SKIP_4) | instid1(VALU_DEP_4)
	v_dual_fmac_f32 v24, v29, v7 :: v_dual_and_b32 v37, 0xffff0000, v37
	v_dual_fmac_f32 v8, v66, v7 :: v_dual_and_b32 v11, 0xffff0000, v52
	v_lshlrev_b32_e32 v77, 16, v40
	v_fmac_f32_e32 v23, v67, v7
	v_lshlrev_b32_e32 v7, 16, v53
	v_dual_fmac_f32 v24, v31, v11 :: v_dual_and_b32 v41, 0xffff0000, v41
	v_fmac_f32_e32 v8, v68, v11
	v_and_b32_e32 v32, 0xffff0000, v32
	v_lshlrev_b32_e32 v81, 16, v44
	v_dual_fmac_f32 v23, v69, v11 :: v_dual_and_b32 v38, 0xffff0000, v38
	s_delay_alu instid0(VALU_DEP_4) | instskip(SKIP_4) | instid1(VALU_DEP_3)
	v_fmac_f32_e32 v8, v70, v7
	v_and_b32_e32 v34, 0xffff0000, v34
	v_dual_fmac_f32 v22, v32, v11 :: v_dual_and_b32 v45, 0xffff0000, v45
	v_dual_fmac_f32 v24, v33, v7 :: v_dual_lshlrev_b32 v83, 16, v46
	v_fmac_f32_e32 v23, v71, v7
	v_fmac_f32_e32 v22, v34, v7
	v_and_b32_e32 v36, 0xffff0000, v36
	v_lshlrev_b32_e32 v7, 16, v54
	v_and_b32_e32 v11, 0xffff0000, v53
	v_and_b32_e32 v40, 0xffff0000, v40
	;; [unrolled: 1-line block ×5, first 2 shown]
	v_fmac_f32_e32 v22, v36, v11
	s_delay_alu instid0(VALU_DEP_1) | instskip(SKIP_3) | instid1(VALU_DEP_3)
	v_fmac_f32_e32 v22, v38, v7
	v_fmac_f32_e32 v24, v35, v11
	;; [unrolled: 1-line block ×4, first 2 shown]
	v_dual_fmac_f32 v24, v37, v7 :: v_dual_and_b32 v11, 0xffff0000, v54
	s_delay_alu instid0(VALU_DEP_1) | instskip(NEXT) | instid1(VALU_DEP_4)
	v_fmac_f32_e32 v24, v39, v11
	v_fmac_f32_e32 v8, v74, v7
	s_delay_alu instid0(VALU_DEP_4) | instskip(NEXT) | instid1(VALU_DEP_2)
	v_fmac_f32_e32 v23, v75, v7
	v_dual_fmac_f32 v8, v76, v11 :: v_dual_lshlrev_b32 v7, 16, v49
	s_delay_alu instid0(VALU_DEP_1) | instskip(NEXT) | instid1(VALU_DEP_3)
	v_fmac_f32_e32 v8, v78, v7
	v_fmac_f32_e32 v23, v77, v11
	v_dual_fmac_f32 v22, v40, v11 :: v_dual_and_b32 v11, 0xffff0000, v49
	v_fmac_f32_e32 v24, v41, v7
	s_delay_alu instid0(VALU_DEP_3) | instskip(NEXT) | instid1(VALU_DEP_3)
	v_fmac_f32_e32 v23, v79, v7
	v_dual_fmac_f32 v22, v42, v7 :: v_dual_lshlrev_b32 v7, 16, v50
	s_delay_alu instid0(VALU_DEP_4) | instskip(NEXT) | instid1(VALU_DEP_4)
	v_fmac_f32_e32 v8, v80, v11
	v_fmac_f32_e32 v24, v43, v11
	s_delay_alu instid0(VALU_DEP_4) | instskip(NEXT) | instid1(VALU_DEP_4)
	v_fmac_f32_e32 v23, v81, v11
	v_dual_fmac_f32 v22, v44, v11 :: v_dual_and_b32 v11, 0xffff0000, v50
	s_delay_alu instid0(VALU_DEP_4) | instskip(NEXT) | instid1(VALU_DEP_4)
	v_fmac_f32_e32 v8, v82, v7
	v_fmac_f32_e32 v24, v45, v7
	s_delay_alu instid0(VALU_DEP_4) | instskip(NEXT) | instid1(VALU_DEP_4)
	v_fmac_f32_e32 v23, v83, v7
	v_fmac_f32_e32 v22, v46, v7
	s_delay_alu instid0(VALU_DEP_4) | instskip(NEXT) | instid1(VALU_DEP_4)
	v_fmac_f32_e32 v8, v84, v11
	v_fmac_f32_e32 v24, v47, v11
	s_delay_alu instid0(VALU_DEP_4) | instskip(NEXT) | instid1(VALU_DEP_4)
	v_fmac_f32_e32 v23, v85, v11
	v_fmac_f32_e32 v22, v48, v11
	s_wait_alu 0xfffe
	s_and_not1_b32 exec_lo, exec_lo, s6
	s_cbranch_execnz .LBB114_33
; %bb.34:
	s_or_b32 exec_lo, exec_lo, s6
.LBB114_35:
	s_wait_alu 0xfffe
	s_or_b32 exec_lo, exec_lo, s2
.LBB114_36:
	s_wait_alu 0xfffe
	s_or_b32 exec_lo, exec_lo, s3
.LBB114_37:
	v_mbcnt_lo_u32_b32 v0, -1, 0
	s_mov_b32 s2, -1
	s_delay_alu instid0(VALU_DEP_1) | instskip(SKIP_2) | instid1(VALU_DEP_3)
	v_or_b32_e32 v1, 32, v0
	v_xor_b32_e32 v6, 16, v0
	v_xor_b32_e32 v10, 8, v0
	v_cmp_gt_i32_e32 vcc_lo, 32, v1
	s_wait_alu 0xfffd
	v_cndmask_b32_e32 v1, v0, v1, vcc_lo
	v_cmp_gt_i32_e32 vcc_lo, 32, v6
	s_wait_alu 0xfffd
	v_cndmask_b32_e32 v6, v0, v6, vcc_lo
	v_cmp_gt_i32_e32 vcc_lo, 32, v10
	s_delay_alu instid0(VALU_DEP_2)
	v_lshlrev_b32_e32 v6, 2, v6
	s_wait_alu 0xfffd
	v_dual_cndmask_b32 v10, v0, v10 :: v_dual_lshlrev_b32 v1, 2, v1
	ds_bpermute_b32 v2, v1, v8
	v_lshlrev_b32_e32 v10, 2, v10
	s_wait_dscnt 0x0
	v_add_f32_e32 v2, v8, v2
	ds_bpermute_b32 v3, v1, v24
	ds_bpermute_b32 v5, v1, v23
	;; [unrolled: 1-line block ×4, first 2 shown]
	s_wait_dscnt 0x3
	v_add_f32_e32 v3, v24, v3
	s_wait_dscnt 0x2
	v_add_f32_e32 v5, v23, v5
	;; [unrolled: 2-line block ×3, first 2 shown]
	ds_bpermute_b32 v8, v6, v3
	ds_bpermute_b32 v9, v6, v5
	;; [unrolled: 1-line block ×3, first 2 shown]
	s_wait_dscnt 0x2
	v_dual_add_f32 v2, v2, v7 :: v_dual_add_f32 v3, v3, v8
	s_wait_dscnt 0x1
	v_add_f32_e32 v5, v5, v9
	s_wait_dscnt 0x0
	v_add_f32_e32 v1, v1, v6
	ds_bpermute_b32 v6, v10, v2
	ds_bpermute_b32 v7, v10, v3
	;; [unrolled: 1-line block ×4, first 2 shown]
	v_xor_b32_e32 v10, 4, v0
	s_delay_alu instid0(VALU_DEP_1) | instskip(SKIP_2) | instid1(VALU_DEP_1)
	v_cmp_gt_i32_e32 vcc_lo, 32, v10
	s_wait_alu 0xfffd
	v_cndmask_b32_e32 v10, v0, v10, vcc_lo
	v_lshlrev_b32_e32 v10, 2, v10
	s_wait_dscnt 0x2
	v_dual_add_f32 v2, v2, v6 :: v_dual_add_f32 v3, v3, v7
	s_wait_dscnt 0x1
	v_add_f32_e32 v5, v5, v8
	s_wait_dscnt 0x0
	v_add_f32_e32 v1, v1, v9
	ds_bpermute_b32 v6, v10, v2
	ds_bpermute_b32 v7, v10, v3
	ds_bpermute_b32 v8, v10, v5
	ds_bpermute_b32 v9, v10, v1
	v_xor_b32_e32 v10, 2, v0
	s_delay_alu instid0(VALU_DEP_1) | instskip(SKIP_2) | instid1(VALU_DEP_1)
	v_cmp_gt_i32_e32 vcc_lo, 32, v10
	s_wait_alu 0xfffd
	v_cndmask_b32_e32 v10, v0, v10, vcc_lo
	v_lshlrev_b32_e32 v10, 2, v10
	s_wait_dscnt 0x2
	v_dual_add_f32 v2, v2, v6 :: v_dual_add_f32 v3, v3, v7
	s_wait_dscnt 0x1
	v_add_f32_e32 v5, v5, v8
	ds_bpermute_b32 v7, v10, v3
	s_wait_dscnt 0x1
	v_add_f32_e32 v6, v1, v9
	ds_bpermute_b32 v1, v10, v2
	ds_bpermute_b32 v8, v10, v5
	;; [unrolled: 1-line block ×3, first 2 shown]
	v_xor_b32_e32 v10, 1, v0
	s_delay_alu instid0(VALU_DEP_1) | instskip(SKIP_3) | instid1(VALU_DEP_2)
	v_cmp_gt_i32_e32 vcc_lo, 32, v10
	s_wait_alu 0xfffd
	v_cndmask_b32_e32 v0, v0, v10, vcc_lo
	v_cmp_eq_u32_e32 vcc_lo, 63, v21
	v_lshlrev_b32_e32 v10, 2, v0
	s_wait_dscnt 0x2
	v_dual_add_f32 v0, v2, v1 :: v_dual_add_f32 v1, v3, v7
	s_wait_dscnt 0x0
	v_dual_add_f32 v2, v5, v8 :: v_dual_add_f32 v3, v6, v9
	ds_bpermute_b32 v5, v10, v0
	ds_bpermute_b32 v6, v10, v1
	;; [unrolled: 1-line block ×4, first 2 shown]
	s_and_b32 exec_lo, exec_lo, vcc_lo
	s_cbranch_execz .LBB114_10
; %bb.38:
	s_load_b64 s[0:1], s[0:1], 0x50
	s_wait_dscnt 0x2
	v_dual_add_f32 v0, v0, v5 :: v_dual_add_f32 v1, v1, v6
	s_wait_dscnt 0x0
	v_dual_add_f32 v2, v2, v7 :: v_dual_add_f32 v3, v3, v8
	v_lshlrev_b32_e32 v4, 2, v4
	s_delay_alu instid0(VALU_DEP_3) | instskip(NEXT) | instid1(VALU_DEP_3)
	v_dual_mul_f32 v0, s14, v0 :: v_dual_mul_f32 v1, s14, v1
	v_dual_mul_f32 v2, s14, v2 :: v_dual_mul_f32 v3, s14, v3
	s_cmp_eq_f32 s12, 0
	s_cbranch_scc0 .LBB114_40
; %bb.39:
	v_ashrrev_i32_e32 v5, 31, v4
	s_mov_b32 s2, 0
	s_delay_alu instid0(VALU_DEP_1) | instskip(SKIP_1) | instid1(VALU_DEP_1)
	v_lshlrev_b64_e32 v[5:6], 2, v[4:5]
	s_wait_kmcnt 0x0
	v_add_co_u32 v5, vcc_lo, s0, v5
	s_wait_alu 0xfffd
	s_delay_alu instid0(VALU_DEP_2)
	v_add_co_ci_u32_e64 v6, null, s1, v6, vcc_lo
	global_store_b128 v[5:6], v[0:3], off
.LBB114_40:
	s_wait_alu 0xfffe
	s_and_not1_b32 vcc_lo, exec_lo, s2
	s_wait_alu 0xfffe
	s_cbranch_vccnz .LBB114_10
; %bb.41:
	v_ashrrev_i32_e32 v5, 31, v4
	s_delay_alu instid0(VALU_DEP_1) | instskip(SKIP_1) | instid1(VALU_DEP_1)
	v_lshlrev_b64_e32 v[4:5], 2, v[4:5]
	s_wait_kmcnt 0x0
	v_add_co_u32 v8, vcc_lo, s0, v4
	s_wait_alu 0xfffd
	s_delay_alu instid0(VALU_DEP_2)
	v_add_co_ci_u32_e64 v9, null, s1, v5, vcc_lo
	global_load_b128 v[4:7], v[8:9], off
	s_wait_loadcnt 0x0
	v_dual_fmac_f32 v0, s12, v4 :: v_dual_fmac_f32 v1, s12, v5
	v_dual_fmac_f32 v2, s12, v6 :: v_dual_fmac_f32 v3, s12, v7
	global_store_b128 v[8:9], v[0:3], off
	s_endpgm
	.section	.rodata,"a",@progbits
	.p2align	6, 0x0
	.amdhsa_kernel _ZN9rocsparseL18bsrxmvn_4x4_kernelILj128ELj64Efli18rocsparse_bfloat16S1_fEEvT3_20rocsparse_direction_NS_24const_host_device_scalarIT1_EES2_PKS2_PKT2_SB_S8_PKT4_PKT5_S6_PT6_21rocsparse_index_base_b
		.amdhsa_group_segment_fixed_size 0
		.amdhsa_private_segment_fixed_size 0
		.amdhsa_kernarg_size 96
		.amdhsa_user_sgpr_count 2
		.amdhsa_user_sgpr_dispatch_ptr 0
		.amdhsa_user_sgpr_queue_ptr 0
		.amdhsa_user_sgpr_kernarg_segment_ptr 1
		.amdhsa_user_sgpr_dispatch_id 0
		.amdhsa_user_sgpr_private_segment_size 0
		.amdhsa_wavefront_size32 1
		.amdhsa_uses_dynamic_stack 0
		.amdhsa_enable_private_segment 0
		.amdhsa_system_sgpr_workgroup_id_x 1
		.amdhsa_system_sgpr_workgroup_id_y 0
		.amdhsa_system_sgpr_workgroup_id_z 0
		.amdhsa_system_sgpr_workgroup_info 0
		.amdhsa_system_vgpr_workitem_id 0
		.amdhsa_next_free_vgpr 93
		.amdhsa_next_free_sgpr 18
		.amdhsa_reserve_vcc 1
		.amdhsa_float_round_mode_32 0
		.amdhsa_float_round_mode_16_64 0
		.amdhsa_float_denorm_mode_32 3
		.amdhsa_float_denorm_mode_16_64 3
		.amdhsa_fp16_overflow 0
		.amdhsa_workgroup_processor_mode 1
		.amdhsa_memory_ordered 1
		.amdhsa_forward_progress 1
		.amdhsa_inst_pref_size 45
		.amdhsa_round_robin_scheduling 0
		.amdhsa_exception_fp_ieee_invalid_op 0
		.amdhsa_exception_fp_denorm_src 0
		.amdhsa_exception_fp_ieee_div_zero 0
		.amdhsa_exception_fp_ieee_overflow 0
		.amdhsa_exception_fp_ieee_underflow 0
		.amdhsa_exception_fp_ieee_inexact 0
		.amdhsa_exception_int_div_zero 0
	.end_amdhsa_kernel
	.section	.text._ZN9rocsparseL18bsrxmvn_4x4_kernelILj128ELj64Efli18rocsparse_bfloat16S1_fEEvT3_20rocsparse_direction_NS_24const_host_device_scalarIT1_EES2_PKS2_PKT2_SB_S8_PKT4_PKT5_S6_PT6_21rocsparse_index_base_b,"axG",@progbits,_ZN9rocsparseL18bsrxmvn_4x4_kernelILj128ELj64Efli18rocsparse_bfloat16S1_fEEvT3_20rocsparse_direction_NS_24const_host_device_scalarIT1_EES2_PKS2_PKT2_SB_S8_PKT4_PKT5_S6_PT6_21rocsparse_index_base_b,comdat
.Lfunc_end114:
	.size	_ZN9rocsparseL18bsrxmvn_4x4_kernelILj128ELj64Efli18rocsparse_bfloat16S1_fEEvT3_20rocsparse_direction_NS_24const_host_device_scalarIT1_EES2_PKS2_PKT2_SB_S8_PKT4_PKT5_S6_PT6_21rocsparse_index_base_b, .Lfunc_end114-_ZN9rocsparseL18bsrxmvn_4x4_kernelILj128ELj64Efli18rocsparse_bfloat16S1_fEEvT3_20rocsparse_direction_NS_24const_host_device_scalarIT1_EES2_PKS2_PKT2_SB_S8_PKT4_PKT5_S6_PT6_21rocsparse_index_base_b
                                        ; -- End function
	.set _ZN9rocsparseL18bsrxmvn_4x4_kernelILj128ELj64Efli18rocsparse_bfloat16S1_fEEvT3_20rocsparse_direction_NS_24const_host_device_scalarIT1_EES2_PKS2_PKT2_SB_S8_PKT4_PKT5_S6_PT6_21rocsparse_index_base_b.num_vgpr, 93
	.set _ZN9rocsparseL18bsrxmvn_4x4_kernelILj128ELj64Efli18rocsparse_bfloat16S1_fEEvT3_20rocsparse_direction_NS_24const_host_device_scalarIT1_EES2_PKS2_PKT2_SB_S8_PKT4_PKT5_S6_PT6_21rocsparse_index_base_b.num_agpr, 0
	.set _ZN9rocsparseL18bsrxmvn_4x4_kernelILj128ELj64Efli18rocsparse_bfloat16S1_fEEvT3_20rocsparse_direction_NS_24const_host_device_scalarIT1_EES2_PKS2_PKT2_SB_S8_PKT4_PKT5_S6_PT6_21rocsparse_index_base_b.numbered_sgpr, 18
	.set _ZN9rocsparseL18bsrxmvn_4x4_kernelILj128ELj64Efli18rocsparse_bfloat16S1_fEEvT3_20rocsparse_direction_NS_24const_host_device_scalarIT1_EES2_PKS2_PKT2_SB_S8_PKT4_PKT5_S6_PT6_21rocsparse_index_base_b.num_named_barrier, 0
	.set _ZN9rocsparseL18bsrxmvn_4x4_kernelILj128ELj64Efli18rocsparse_bfloat16S1_fEEvT3_20rocsparse_direction_NS_24const_host_device_scalarIT1_EES2_PKS2_PKT2_SB_S8_PKT4_PKT5_S6_PT6_21rocsparse_index_base_b.private_seg_size, 0
	.set _ZN9rocsparseL18bsrxmvn_4x4_kernelILj128ELj64Efli18rocsparse_bfloat16S1_fEEvT3_20rocsparse_direction_NS_24const_host_device_scalarIT1_EES2_PKS2_PKT2_SB_S8_PKT4_PKT5_S6_PT6_21rocsparse_index_base_b.uses_vcc, 1
	.set _ZN9rocsparseL18bsrxmvn_4x4_kernelILj128ELj64Efli18rocsparse_bfloat16S1_fEEvT3_20rocsparse_direction_NS_24const_host_device_scalarIT1_EES2_PKS2_PKT2_SB_S8_PKT4_PKT5_S6_PT6_21rocsparse_index_base_b.uses_flat_scratch, 0
	.set _ZN9rocsparseL18bsrxmvn_4x4_kernelILj128ELj64Efli18rocsparse_bfloat16S1_fEEvT3_20rocsparse_direction_NS_24const_host_device_scalarIT1_EES2_PKS2_PKT2_SB_S8_PKT4_PKT5_S6_PT6_21rocsparse_index_base_b.has_dyn_sized_stack, 0
	.set _ZN9rocsparseL18bsrxmvn_4x4_kernelILj128ELj64Efli18rocsparse_bfloat16S1_fEEvT3_20rocsparse_direction_NS_24const_host_device_scalarIT1_EES2_PKS2_PKT2_SB_S8_PKT4_PKT5_S6_PT6_21rocsparse_index_base_b.has_recursion, 0
	.set _ZN9rocsparseL18bsrxmvn_4x4_kernelILj128ELj64Efli18rocsparse_bfloat16S1_fEEvT3_20rocsparse_direction_NS_24const_host_device_scalarIT1_EES2_PKS2_PKT2_SB_S8_PKT4_PKT5_S6_PT6_21rocsparse_index_base_b.has_indirect_call, 0
	.section	.AMDGPU.csdata,"",@progbits
; Kernel info:
; codeLenInByte = 5676
; TotalNumSgprs: 20
; NumVgprs: 93
; ScratchSize: 0
; MemoryBound: 0
; FloatMode: 240
; IeeeMode: 1
; LDSByteSize: 0 bytes/workgroup (compile time only)
; SGPRBlocks: 0
; VGPRBlocks: 11
; NumSGPRsForWavesPerEU: 20
; NumVGPRsForWavesPerEU: 93
; Occupancy: 16
; WaveLimiterHint : 1
; COMPUTE_PGM_RSRC2:SCRATCH_EN: 0
; COMPUTE_PGM_RSRC2:USER_SGPR: 2
; COMPUTE_PGM_RSRC2:TRAP_HANDLER: 0
; COMPUTE_PGM_RSRC2:TGID_X_EN: 1
; COMPUTE_PGM_RSRC2:TGID_Y_EN: 0
; COMPUTE_PGM_RSRC2:TGID_Z_EN: 0
; COMPUTE_PGM_RSRC2:TIDIG_COMP_CNT: 0
	.section	.text._ZN9rocsparseL18bsrxmvn_4x4_kernelILj128ELj4Efll18rocsparse_bfloat16S1_fEEvT3_20rocsparse_direction_NS_24const_host_device_scalarIT1_EES2_PKS2_PKT2_SB_S8_PKT4_PKT5_S6_PT6_21rocsparse_index_base_b,"axG",@progbits,_ZN9rocsparseL18bsrxmvn_4x4_kernelILj128ELj4Efll18rocsparse_bfloat16S1_fEEvT3_20rocsparse_direction_NS_24const_host_device_scalarIT1_EES2_PKS2_PKT2_SB_S8_PKT4_PKT5_S6_PT6_21rocsparse_index_base_b,comdat
	.globl	_ZN9rocsparseL18bsrxmvn_4x4_kernelILj128ELj4Efll18rocsparse_bfloat16S1_fEEvT3_20rocsparse_direction_NS_24const_host_device_scalarIT1_EES2_PKS2_PKT2_SB_S8_PKT4_PKT5_S6_PT6_21rocsparse_index_base_b ; -- Begin function _ZN9rocsparseL18bsrxmvn_4x4_kernelILj128ELj4Efll18rocsparse_bfloat16S1_fEEvT3_20rocsparse_direction_NS_24const_host_device_scalarIT1_EES2_PKS2_PKT2_SB_S8_PKT4_PKT5_S6_PT6_21rocsparse_index_base_b
	.p2align	8
	.type	_ZN9rocsparseL18bsrxmvn_4x4_kernelILj128ELj4Efll18rocsparse_bfloat16S1_fEEvT3_20rocsparse_direction_NS_24const_host_device_scalarIT1_EES2_PKS2_PKT2_SB_S8_PKT4_PKT5_S6_PT6_21rocsparse_index_base_b,@function
_ZN9rocsparseL18bsrxmvn_4x4_kernelILj128ELj4Efll18rocsparse_bfloat16S1_fEEvT3_20rocsparse_direction_NS_24const_host_device_scalarIT1_EES2_PKS2_PKT2_SB_S8_PKT4_PKT5_S6_PT6_21rocsparse_index_base_b: ; @_ZN9rocsparseL18bsrxmvn_4x4_kernelILj128ELj4Efll18rocsparse_bfloat16S1_fEEvT3_20rocsparse_direction_NS_24const_host_device_scalarIT1_EES2_PKS2_PKT2_SB_S8_PKT4_PKT5_S6_PT6_21rocsparse_index_base_b
; %bb.0:
	s_clause 0x2
	s_load_b64 s[2:3], s[0:1], 0x60
	s_load_b128 s[12:15], s[0:1], 0x10
	s_load_b64 s[16:17], s[0:1], 0x50
	s_wait_kmcnt 0x0
	s_bitcmp1_b32 s3, 0
	s_cselect_b32 s3, -1, 0
	s_delay_alu instid0(SALU_CYCLE_1)
	s_and_b32 vcc_lo, exec_lo, s3
	s_xor_b32 s3, s3, -1
	s_cbranch_vccnz .LBB115_2
; %bb.1:
	s_load_b32 s12, s[12:13], 0x0
.LBB115_2:
	s_and_not1_b32 vcc_lo, exec_lo, s3
	s_cbranch_vccnz .LBB115_4
; %bb.3:
	s_load_b32 s16, s[16:17], 0x0
.LBB115_4:
	s_wait_kmcnt 0x0
	s_cmp_neq_f32 s12, 0
	s_mov_b32 s6, 0
	s_cselect_b32 s3, -1, 0
	s_cmp_neq_f32 s16, 1.0
	s_cselect_b32 s4, -1, 0
	s_delay_alu instid0(SALU_CYCLE_1) | instskip(NEXT) | instid1(SALU_CYCLE_1)
	s_or_b32 s3, s3, s4
	s_and_not1_b32 vcc_lo, exec_lo, s3
	s_cbranch_vccnz .LBB115_10
; %bb.5:
	s_load_b64 s[4:5], s[0:1], 0x20
	v_lshrrev_b32_e32 v1, 2, v0
	v_mov_b32_e32 v6, 0
	s_delay_alu instid0(VALU_DEP_2)
	v_lshl_or_b32 v5, ttmp9, 5, v1
	s_wait_kmcnt 0x0
	s_cmp_lg_u64 s[4:5], 0
	s_cbranch_scc0 .LBB115_11
; %bb.6:
	s_mov_b32 s7, 0
                                        ; implicit-def: $vgpr3_vgpr4
                                        ; implicit-def: $vgpr1_vgpr2
	s_mov_b32 s3, exec_lo
	v_cmpx_gt_i64_e64 s[14:15], v[5:6]
	s_xor_b32 s8, exec_lo, s3
	s_cbranch_execz .LBB115_8
; %bb.7:
	v_lshlrev_b64_e32 v[1:2], 3, v[5:6]
	s_mov_b32 s3, 0
	s_mov_b32 s6, exec_lo
	s_delay_alu instid0(VALU_DEP_1) | instskip(NEXT) | instid1(VALU_DEP_1)
	v_add_co_u32 v1, vcc_lo, s4, v1
	v_add_co_ci_u32_e64 v2, null, s5, v2, vcc_lo
	global_load_b64 v[1:2], v[1:2], off
	s_wait_loadcnt 0x0
	v_sub_co_u32 v3, vcc_lo, v1, s2
	s_wait_alu 0xfffd
	v_subrev_co_ci_u32_e64 v4, null, 0, v2, vcc_lo
	v_dual_mov_b32 v1, s2 :: v_dual_mov_b32 v2, s3
.LBB115_8:
	s_or_b32 exec_lo, exec_lo, s8
	s_delay_alu instid0(SALU_CYCLE_1)
	s_and_b32 vcc_lo, exec_lo, s7
	s_wait_alu 0xfffe
	s_cbranch_vccnz .LBB115_12
.LBB115_9:
	s_and_saveexec_b32 s2, s6
	s_cbranch_execnz .LBB115_15
.LBB115_10:
	s_endpgm
.LBB115_11:
                                        ; implicit-def: $vgpr3_vgpr4
                                        ; implicit-def: $vgpr1_vgpr2
	s_cbranch_execz .LBB115_9
.LBB115_12:
	s_load_b64 s[4:5], s[0:1], 0x0
	s_wait_kmcnt 0x0
	v_cmp_gt_i64_e32 vcc_lo, s[4:5], v[5:6]
	s_and_saveexec_b32 s4, vcc_lo
; %bb.13:
	s_mov_b32 s3, 0
	s_or_b32 s6, s6, exec_lo
; %bb.14:
	s_wait_alu 0xfffe
	s_or_b32 exec_lo, exec_lo, s4
	v_dual_mov_b32 v1, s2 :: v_dual_mov_b32 v2, s3
	v_dual_mov_b32 v3, v5 :: v_dual_mov_b32 v4, v6
	s_and_saveexec_b32 s2, s6
	s_cbranch_execz .LBB115_10
.LBB115_15:
	s_load_b256 s[4:11], s[0:1], 0x28
	s_delay_alu instid0(VALU_DEP_1) | instskip(SKIP_3) | instid1(VALU_DEP_2)
	v_lshlrev_b64_e32 v[5:6], 3, v[3:4]
	v_dual_mov_b32 v25, 0 :: v_dual_and_b32 v0, 3, v0
	s_load_b32 s3, s[0:1], 0x8
	s_wait_kmcnt 0x0
	v_add_co_u32 v7, vcc_lo, s4, v5
	s_wait_alu 0xfffd
	v_add_co_ci_u32_e64 v8, null, s5, v6, vcc_lo
	v_add_co_u32 v5, vcc_lo, s6, v5
	s_wait_alu 0xfffd
	v_add_co_ci_u32_e64 v6, null, s7, v6, vcc_lo
	v_add_co_u32 v9, vcc_lo, v7, 8
	global_load_b64 v[13:14], v[7:8], off
	s_wait_alu 0xfffd
	v_add_co_ci_u32_e64 v10, null, 0, v8, vcc_lo
	s_cmp_eq_u64 s[6:7], 0
	s_load_b64 s[4:5], s[0:1], 0x48
	s_cselect_b32 vcc_lo, -1, 0
	s_cmp_eq_u32 s3, 1
	s_wait_alu 0xfffe
	v_dual_cndmask_b32 v6, v6, v10 :: v_dual_cndmask_b32 v5, v5, v9
	global_load_b64 v[7:8], v[5:6], off
	s_wait_loadcnt 0x1
	v_sub_co_u32 v5, vcc_lo, v13, v1
	s_wait_alu 0xfffd
	v_sub_co_ci_u32_e64 v6, null, v14, v2, vcc_lo
	s_delay_alu instid0(VALU_DEP_2) | instskip(SKIP_1) | instid1(VALU_DEP_2)
	v_add_co_u32 v5, vcc_lo, v5, v0
	s_wait_alu 0xfffd
	v_add_co_ci_u32_e64 v6, null, 0, v6, vcc_lo
	s_delay_alu instid0(VALU_DEP_1) | instskip(SKIP_4) | instid1(VALU_DEP_3)
	v_lshlrev_b64_e32 v[9:10], 5, v[5:6]
	s_wait_loadcnt 0x0
	v_sub_co_u32 v7, vcc_lo, v7, v1
	s_wait_alu 0xfffd
	v_sub_co_ci_u32_e64 v8, null, v8, v2, vcc_lo
	v_add_co_u32 v9, vcc_lo, s10, v9
	s_delay_alu instid0(VALU_DEP_2)
	v_cmp_lt_i64_e64 s2, v[5:6], v[7:8]
	s_wait_alu 0xfffd
	v_add_co_ci_u32_e64 v10, null, s11, v10, vcc_lo
	s_cbranch_scc1 .LBB115_27
; %bb.16:
	v_dual_mov_b32 v26, 0 :: v_dual_mov_b32 v27, 0
	v_mov_b32_e32 v12, 0
	s_and_saveexec_b32 s6, s2
	s_cbranch_execz .LBB115_26
; %bb.17:
	v_or_b32_e32 v11, 4, v0
	v_not_b32_e32 v16, v13
	v_sub_co_u32 v17, s3, v1, v0
	v_not_b32_e32 v15, v14
	s_delay_alu instid0(VALU_DEP_4)
	v_sub_co_u32 v11, vcc_lo, v11, v1
	s_wait_alu 0xfffd
	v_sub_co_ci_u32_e64 v12, null, 0, v2, vcc_lo
	s_wait_alu 0xf1ff
	v_subrev_co_ci_u32_e64 v18, null, 0, v2, s3
	v_add_co_u32 v11, vcc_lo, v11, v13
	s_wait_alu 0xfffd
	v_add_co_ci_u32_e64 v12, null, v12, v14, vcc_lo
	s_mov_b32 s3, exec_lo
	v_cmp_gt_i64_e32 vcc_lo, v[11:12], v[7:8]
	s_wait_alu 0xfffd
	v_dual_cndmask_b32 v20, v8, v12 :: v_dual_cndmask_b32 v11, v7, v11
	v_add_co_u32 v12, vcc_lo, v17, v16
	s_wait_alu 0xfffd
	v_add_co_ci_u32_e64 v15, null, v18, v15, vcc_lo
	v_mov_b32_e32 v18, v10
	s_delay_alu instid0(VALU_DEP_3) | instskip(SKIP_3) | instid1(VALU_DEP_3)
	v_add_co_u32 v19, vcc_lo, v12, v11
	v_mov_b32_e32 v12, 0
	s_wait_alu 0xfffd
	v_add_co_ci_u32_e64 v20, null, v15, v20, vcc_lo
	v_dual_mov_b32 v16, v6 :: v_dual_and_b32 v11, 12, v19
	s_delay_alu instid0(VALU_DEP_3)
	v_mov_b32_e32 v25, v12
	v_mov_b32_e32 v15, v5
	v_dual_mov_b32 v27, v12 :: v_dual_mov_b32 v26, v12
	v_mov_b32_e32 v17, v9
	v_cmpx_ne_u64_e32 12, v[11:12]
	s_cbranch_execz .LBB115_21
; %bb.18:
	v_lshrrev_b32_e32 v11, 2, v19
	v_dual_mov_b32 v25, 0 :: v_dual_mov_b32 v18, v10
	v_dual_mov_b32 v17, v9 :: v_dual_mov_b32 v26, 0
	s_delay_alu instid0(VALU_DEP_3) | instskip(SKIP_3) | instid1(VALU_DEP_4)
	v_dual_mov_b32 v16, v6 :: v_dual_add_nc_u32 v21, 1, v11
	v_lshlrev_b64_e32 v[11:12], 3, v[5:6]
	v_mov_b32_e32 v15, v5
	v_mov_b32_e32 v27, 0
	v_and_b32_e32 v23, 3, v21
	s_delay_alu instid0(VALU_DEP_4) | instskip(NEXT) | instid1(VALU_DEP_2)
	v_add_co_u32 v21, vcc_lo, s8, v11
	v_sub_co_u32 v23, s7, 0, v23
	s_wait_alu 0xfffd
	v_add_co_ci_u32_e64 v22, null, s9, v12, vcc_lo
	s_wait_alu 0xf1ff
	v_sub_co_ci_u32_e64 v24, null, 0, 0, s7
	v_mov_b32_e32 v12, 0
	s_mov_b32 s7, 0
.LBB115_19:                             ; =>This Inner Loop Header: Depth=1
	global_load_b64 v[32:33], v[21:22], off
	global_load_b128 v[28:31], v[17:18], off
	s_wait_loadcnt 0x1
	v_sub_co_u32 v32, vcc_lo, v32, v1
	s_wait_alu 0xfffd
	v_sub_co_ci_u32_e64 v33, null, v33, v2, vcc_lo
	s_delay_alu instid0(VALU_DEP_1) | instskip(SKIP_1) | instid1(VALU_DEP_1)
	v_lshlrev_b64_e32 v[32:33], 3, v[32:33]
	s_wait_kmcnt 0x0
	v_add_co_u32 v36, vcc_lo, s4, v32
	s_wait_alu 0xfffd
	s_delay_alu instid0(VALU_DEP_2)
	v_add_co_ci_u32_e64 v37, null, s5, v33, vcc_lo
	global_load_b128 v[32:35], v[17:18], off offset:16
	global_load_b64 v[36:37], v[36:37], off
	v_add_co_u32 v17, vcc_lo, 0x80, v17
	s_wait_alu 0xfffd
	v_add_co_ci_u32_e64 v18, null, 0, v18, vcc_lo
	v_add_co_u32 v15, vcc_lo, v15, 4
	s_wait_alu 0xfffd
	v_add_co_ci_u32_e64 v16, null, 0, v16, vcc_lo
	;; [unrolled: 3-line block ×4, first 2 shown]
	s_delay_alu instid0(VALU_DEP_1)
	v_cmp_eq_u64_e32 vcc_lo, 0, v[23:24]
	s_wait_alu 0xfffe
	s_or_b32 s7, vcc_lo, s7
	s_wait_loadcnt 0x1
	v_lshlrev_b32_e32 v41, 16, v32
	s_wait_loadcnt 0x0
	v_lshlrev_b32_e32 v45, 16, v36
	v_lshlrev_b32_e32 v11, 16, v28
	;; [unrolled: 1-line block ×3, first 2 shown]
	v_and_b32_e32 v36, 0xffff0000, v36
	s_delay_alu instid0(VALU_DEP_4) | instskip(NEXT) | instid1(VALU_DEP_4)
	v_dual_fmac_f32 v26, v41, v45 :: v_dual_lshlrev_b32 v39, 16, v30
	v_fmac_f32_e32 v12, v11, v45
	v_and_b32_e32 v28, 0xffff0000, v28
	v_dual_fmac_f32 v25, v43, v45 :: v_dual_and_b32 v30, 0xffff0000, v30
	s_delay_alu instid0(VALU_DEP_4) | instskip(SKIP_1) | instid1(VALU_DEP_4)
	v_fmac_f32_e32 v27, v39, v45
	v_lshlrev_b32_e32 v38, 16, v29
	v_dual_fmac_f32 v12, v28, v36 :: v_dual_and_b32 v29, 0xffff0000, v29
	v_and_b32_e32 v28, 0xffff0000, v37
	v_and_b32_e32 v34, 0xffff0000, v34
	v_lshlrev_b32_e32 v40, 16, v31
	v_lshlrev_b32_e32 v11, 16, v37
	v_dual_fmac_f32 v27, v30, v36 :: v_dual_lshlrev_b32 v44, 16, v35
	s_delay_alu instid0(VALU_DEP_4) | instskip(SKIP_1) | instid1(VALU_DEP_3)
	v_fmac_f32_e32 v25, v34, v36
	v_and_b32_e32 v32, 0xffff0000, v32
	v_dual_fmac_f32 v27, v40, v11 :: v_dual_lshlrev_b32 v42, 16, v33
	v_and_b32_e32 v31, 0xffff0000, v31
	v_fmac_f32_e32 v12, v38, v11
	s_delay_alu instid0(VALU_DEP_4)
	v_fmac_f32_e32 v26, v32, v36
	v_fmac_f32_e32 v25, v44, v11
	v_and_b32_e32 v33, 0xffff0000, v33
	v_fmac_f32_e32 v27, v31, v28
	v_fmac_f32_e32 v12, v29, v28
	;; [unrolled: 1-line block ×3, first 2 shown]
	s_delay_alu instid0(VALU_DEP_1) | instskip(NEXT) | instid1(VALU_DEP_1)
	v_dual_fmac_f32 v26, v33, v28 :: v_dual_and_b32 v35, 0xffff0000, v35
	v_fmac_f32_e32 v25, v35, v28
	s_wait_alu 0xfffe
	s_and_not1_b32 exec_lo, exec_lo, s7
	s_cbranch_execnz .LBB115_19
; %bb.20:
	s_or_b32 exec_lo, exec_lo, s7
.LBB115_21:
	s_wait_alu 0xfffe
	s_or_b32 exec_lo, exec_lo, s3
	s_delay_alu instid0(SALU_CYCLE_1)
	s_mov_b32 s7, exec_lo
	v_cmpx_lt_u64_e32 11, v[19:20]
	s_cbranch_execz .LBB115_25
; %bb.22:
	v_lshlrev_b64_e32 v[19:20], 3, v[15:16]
	s_mov_b32 s10, 0
	s_delay_alu instid0(VALU_DEP_1) | instskip(SKIP_1) | instid1(VALU_DEP_2)
	v_add_co_u32 v11, vcc_lo, s8, v19
	s_wait_alu 0xfffd
	v_add_co_ci_u32_e64 v20, null, s9, v20, vcc_lo
	s_delay_alu instid0(VALU_DEP_2) | instskip(SKIP_1) | instid1(VALU_DEP_2)
	v_add_co_u32 v19, vcc_lo, v11, 64
	s_wait_alu 0xfffd
	v_add_co_ci_u32_e64 v20, null, 0, v20, vcc_lo
.LBB115_23:                             ; =>This Inner Loop Header: Depth=1
	s_clause 0x3
	global_load_b64 v[56:57], v[19:20], off offset:-64
	global_load_b64 v[58:59], v[19:20], off offset:-32
	global_load_b64 v[60:61], v[19:20], off
	global_load_b64 v[62:63], v[19:20], off offset:32
	s_clause 0x7
	global_load_b128 v[21:24], v[17:18], off
	global_load_b128 v[28:31], v[17:18], off offset:16
	global_load_b128 v[32:35], v[17:18], off offset:128
	;; [unrolled: 1-line block ×7, first 2 shown]
	s_wait_loadcnt 0xb
	v_sub_co_u32 v56, vcc_lo, v56, v1
	s_wait_alu 0xfffd
	v_sub_co_ci_u32_e64 v57, null, v57, v2, vcc_lo
	s_wait_loadcnt 0xa
	v_sub_co_u32 v58, vcc_lo, v58, v1
	s_wait_alu 0xfffd
	v_sub_co_ci_u32_e64 v59, null, v59, v2, vcc_lo
	v_lshlrev_b64_e32 v[56:57], 3, v[56:57]
	s_wait_loadcnt 0x6
	v_lshlrev_b32_e32 v67, 16, v28
	s_wait_loadcnt 0x4
	v_lshlrev_b32_e32 v77, 16, v38
	v_lshlrev_b64_e32 v[58:59], 3, v[58:59]
	v_and_b32_e32 v38, 0xffff0000, v38
	s_wait_loadcnt 0x2
	v_lshlrev_b32_e32 v85, 16, v46
	s_wait_kmcnt 0x0
	v_add_co_u32 v56, vcc_lo, s4, v56
	s_wait_alu 0xfffd
	v_add_co_ci_u32_e64 v57, null, s5, v57, vcc_lo
	v_sub_co_u32 v60, vcc_lo, v60, v1
	s_wait_alu 0xfffd
	v_sub_co_ci_u32_e64 v61, null, v61, v2, vcc_lo
	global_load_b64 v[56:57], v[56:57], off
	v_add_co_u32 v58, vcc_lo, s4, v58
	s_wait_alu 0xfffd
	v_add_co_ci_u32_e64 v59, null, s5, v59, vcc_lo
	v_lshlrev_b64_e32 v[60:61], 3, v[60:61]
	v_sub_co_u32 v62, vcc_lo, v62, v1
	global_load_b64 v[58:59], v[58:59], off
	s_wait_alu 0xfffd
	v_sub_co_ci_u32_e64 v63, null, v63, v2, vcc_lo
	v_add_co_u32 v60, s3, s4, v60
	s_wait_alu 0xf1ff
	v_add_co_ci_u32_e64 v61, null, s5, v61, s3
	s_delay_alu instid0(VALU_DEP_3)
	v_lshlrev_b64_e32 v[62:63], 3, v[62:63]
	v_and_b32_e32 v46, 0xffff0000, v46
	s_wait_loadcnt 0x2
	v_lshlrev_b32_e32 v93, 16, v54
	global_load_b64 v[60:61], v[60:61], off
	v_and_b32_e32 v54, 0xffff0000, v54
	v_add_co_u32 v62, vcc_lo, s4, v62
	s_wait_alu 0xfffd
	v_add_co_ci_u32_e64 v63, null, s5, v63, vcc_lo
	v_add_co_u32 v17, vcc_lo, 0x200, v17
	s_wait_alu 0xfffd
	v_add_co_ci_u32_e64 v18, null, 0, v18, vcc_lo
	global_load_b64 v[62:63], v[62:63], off
	v_add_co_u32 v15, vcc_lo, v15, 16
	s_wait_alu 0xfffd
	v_add_co_ci_u32_e64 v16, null, 0, v16, vcc_lo
	v_add_co_u32 v19, vcc_lo, 0x80, v19
	s_wait_alu 0xfffd
	v_add_co_ci_u32_e64 v20, null, 0, v20, vcc_lo
	s_delay_alu instid0(VALU_DEP_3)
	v_cmp_ge_i64_e32 vcc_lo, v[15:16], v[7:8]
	s_wait_alu 0xfffe
	s_or_b32 s10, vcc_lo, s10
	s_wait_loadcnt 0x3
	v_lshlrev_b32_e32 v95, 16, v56
	v_lshlrev_b32_e32 v11, 16, v21
	v_and_b32_e32 v56, 0xffff0000, v56
	s_delay_alu instid0(VALU_DEP_3) | instskip(NEXT) | instid1(VALU_DEP_3)
	v_dual_fmac_f32 v26, v67, v95 :: v_dual_and_b32 v21, 0xffff0000, v21
	v_fmac_f32_e32 v12, v11, v95
	v_lshlrev_b32_e32 v65, 16, v23
	s_delay_alu instid0(VALU_DEP_2) | instskip(SKIP_2) | instid1(VALU_DEP_4)
	v_dual_fmac_f32 v12, v21, v56 :: v_dual_lshlrev_b32 v11, 16, v57
	v_and_b32_e32 v21, 0xffff0000, v57
	v_and_b32_e32 v28, 0xffff0000, v28
	v_dual_fmac_f32 v27, v65, v95 :: v_dual_lshlrev_b32 v64, 16, v22
	s_delay_alu instid0(VALU_DEP_2) | instskip(SKIP_1) | instid1(VALU_DEP_3)
	v_dual_fmac_f32 v26, v28, v56 :: v_dual_and_b32 v23, 0xffff0000, v23
	v_lshlrev_b32_e32 v68, 16, v29
	v_dual_fmac_f32 v12, v64, v11 :: v_dual_lshlrev_b32 v69, 16, v30
	s_delay_alu instid0(VALU_DEP_3) | instskip(NEXT) | instid1(VALU_DEP_3)
	v_fmac_f32_e32 v27, v23, v56
	v_dual_fmac_f32 v26, v68, v11 :: v_dual_and_b32 v29, 0xffff0000, v29
	s_delay_alu instid0(VALU_DEP_3) | instskip(SKIP_1) | instid1(VALU_DEP_3)
	v_dual_fmac_f32 v25, v69, v95 :: v_dual_and_b32 v22, 0xffff0000, v22
	v_lshlrev_b32_e32 v70, 16, v31
	v_dual_fmac_f32 v26, v29, v21 :: v_dual_and_b32 v31, 0xffff0000, v31
	v_and_b32_e32 v30, 0xffff0000, v30
	s_delay_alu instid0(VALU_DEP_4) | instskip(NEXT) | instid1(VALU_DEP_2)
	v_fmac_f32_e32 v12, v22, v21
	v_fmac_f32_e32 v25, v30, v56
	s_delay_alu instid0(VALU_DEP_1) | instskip(NEXT) | instid1(VALU_DEP_1)
	v_dual_fmac_f32 v25, v70, v11 :: v_dual_lshlrev_b32 v66, 16, v24
	v_dual_fmac_f32 v27, v66, v11 :: v_dual_and_b32 v24, 0xffff0000, v24
	s_wait_loadcnt 0x2
	v_lshlrev_b32_e32 v11, 16, v58
	s_delay_alu instid0(VALU_DEP_3) | instskip(SKIP_3) | instid1(VALU_DEP_4)
	v_fmac_f32_e32 v25, v31, v21
	v_lshlrev_b32_e32 v72, 16, v33
	v_fmac_f32_e32 v27, v24, v21
	v_and_b32_e32 v21, 0xffff0000, v58
	v_fmac_f32_e32 v25, v77, v11
	v_lshlrev_b32_e32 v75, 16, v36
	v_lshlrev_b32_e32 v71, 16, v32
	s_delay_alu instid0(VALU_DEP_2) | instskip(NEXT) | instid1(VALU_DEP_2)
	v_dual_fmac_f32 v25, v38, v21 :: v_dual_fmac_f32 v26, v75, v11
	v_dual_fmac_f32 v12, v71, v11 :: v_dual_and_b32 v33, 0xffff0000, v33
	v_lshlrev_b32_e32 v73, 16, v34
	v_and_b32_e32 v32, 0xffff0000, v32
	s_delay_alu instid0(VALU_DEP_2) | instskip(SKIP_1) | instid1(VALU_DEP_3)
	v_dual_fmac_f32 v27, v73, v11 :: v_dual_and_b32 v34, 0xffff0000, v34
	v_lshlrev_b32_e32 v74, 16, v35
	v_dual_fmac_f32 v12, v32, v21 :: v_dual_lshlrev_b32 v11, 16, v59
	s_delay_alu instid0(VALU_DEP_3) | instskip(NEXT) | instid1(VALU_DEP_2)
	v_dual_fmac_f32 v27, v34, v21 :: v_dual_and_b32 v36, 0xffff0000, v36
	v_fmac_f32_e32 v12, v72, v11
	s_delay_alu instid0(VALU_DEP_2) | instskip(NEXT) | instid1(VALU_DEP_3)
	v_fmac_f32_e32 v27, v74, v11
	v_dual_fmac_f32 v26, v36, v21 :: v_dual_and_b32 v35, 0xffff0000, v35
	v_and_b32_e32 v21, 0xffff0000, v59
	v_lshlrev_b32_e32 v78, 16, v39
	v_lshlrev_b32_e32 v76, 16, v37
	s_delay_alu instid0(VALU_DEP_2) | instskip(NEXT) | instid1(VALU_DEP_2)
	v_dual_fmac_f32 v12, v33, v21 :: v_dual_fmac_f32 v25, v78, v11
	v_dual_fmac_f32 v26, v76, v11 :: v_dual_and_b32 v37, 0xffff0000, v37
	v_and_b32_e32 v39, 0xffff0000, v39
	s_wait_loadcnt 0x1
	v_lshlrev_b32_e32 v11, 16, v60
	v_fmac_f32_e32 v27, v35, v21
	v_fmac_f32_e32 v26, v37, v21
	;; [unrolled: 1-line block ×3, first 2 shown]
	v_lshlrev_b32_e32 v80, 16, v41
	v_and_b32_e32 v21, 0xffff0000, v60
	s_delay_alu instid0(VALU_DEP_3) | instskip(SKIP_2) | instid1(VALU_DEP_2)
	v_fmac_f32_e32 v25, v85, v11
	v_lshlrev_b32_e32 v83, 16, v44
	v_lshlrev_b32_e32 v79, 16, v40
	v_dual_fmac_f32 v25, v46, v21 :: v_dual_fmac_f32 v26, v83, v11
	s_delay_alu instid0(VALU_DEP_2) | instskip(SKIP_2) | instid1(VALU_DEP_2)
	v_dual_fmac_f32 v12, v79, v11 :: v_dual_and_b32 v41, 0xffff0000, v41
	v_lshlrev_b32_e32 v81, 16, v42
	v_and_b32_e32 v40, 0xffff0000, v40
	v_dual_fmac_f32 v27, v81, v11 :: v_dual_and_b32 v42, 0xffff0000, v42
	v_lshlrev_b32_e32 v82, 16, v43
	v_lshlrev_b32_e32 v11, 16, v61
	s_delay_alu instid0(VALU_DEP_4) | instskip(NEXT) | instid1(VALU_DEP_4)
	v_fmac_f32_e32 v12, v40, v21
	v_dual_fmac_f32 v27, v42, v21 :: v_dual_and_b32 v44, 0xffff0000, v44
	s_delay_alu instid0(VALU_DEP_2) | instskip(NEXT) | instid1(VALU_DEP_2)
	v_fmac_f32_e32 v12, v80, v11
	v_fmac_f32_e32 v27, v82, v11
	s_delay_alu instid0(VALU_DEP_3) | instskip(SKIP_3) | instid1(VALU_DEP_2)
	v_dual_fmac_f32 v26, v44, v21 :: v_dual_and_b32 v43, 0xffff0000, v43
	v_and_b32_e32 v21, 0xffff0000, v61
	v_lshlrev_b32_e32 v86, 16, v47
	v_lshlrev_b32_e32 v84, 16, v45
	v_dual_fmac_f32 v12, v41, v21 :: v_dual_fmac_f32 v25, v86, v11
	s_delay_alu instid0(VALU_DEP_2)
	v_dual_fmac_f32 v26, v84, v11 :: v_dual_and_b32 v45, 0xffff0000, v45
	v_and_b32_e32 v47, 0xffff0000, v47
	s_wait_loadcnt 0x0
	v_lshlrev_b32_e32 v11, 16, v62
	v_fmac_f32_e32 v27, v43, v21
	v_fmac_f32_e32 v26, v45, v21
	;; [unrolled: 1-line block ×3, first 2 shown]
	v_lshlrev_b32_e32 v88, 16, v49
	v_and_b32_e32 v21, 0xffff0000, v62
	s_delay_alu instid0(VALU_DEP_3) | instskip(SKIP_2) | instid1(VALU_DEP_2)
	v_fmac_f32_e32 v25, v93, v11
	v_lshlrev_b32_e32 v91, 16, v52
	v_lshlrev_b32_e32 v87, 16, v48
	v_dual_fmac_f32 v25, v54, v21 :: v_dual_fmac_f32 v26, v91, v11
	s_delay_alu instid0(VALU_DEP_2) | instskip(SKIP_2) | instid1(VALU_DEP_2)
	v_dual_fmac_f32 v12, v87, v11 :: v_dual_and_b32 v49, 0xffff0000, v49
	v_lshlrev_b32_e32 v89, 16, v50
	v_and_b32_e32 v48, 0xffff0000, v48
	v_dual_fmac_f32 v27, v89, v11 :: v_dual_and_b32 v50, 0xffff0000, v50
	v_lshlrev_b32_e32 v90, 16, v51
	s_delay_alu instid0(VALU_DEP_3) | instskip(NEXT) | instid1(VALU_DEP_3)
	v_dual_fmac_f32 v12, v48, v21 :: v_dual_lshlrev_b32 v11, 16, v63
	v_dual_fmac_f32 v27, v50, v21 :: v_dual_and_b32 v52, 0xffff0000, v52
	s_delay_alu instid0(VALU_DEP_2) | instskip(NEXT) | instid1(VALU_DEP_2)
	v_fmac_f32_e32 v12, v88, v11
	v_fmac_f32_e32 v27, v90, v11
	s_delay_alu instid0(VALU_DEP_3) | instskip(SKIP_3) | instid1(VALU_DEP_2)
	v_dual_fmac_f32 v26, v52, v21 :: v_dual_and_b32 v51, 0xffff0000, v51
	v_and_b32_e32 v21, 0xffff0000, v63
	v_lshlrev_b32_e32 v94, 16, v55
	v_lshlrev_b32_e32 v92, 16, v53
	v_dual_fmac_f32 v12, v49, v21 :: v_dual_fmac_f32 v25, v94, v11
	s_delay_alu instid0(VALU_DEP_2) | instskip(SKIP_2) | instid1(VALU_DEP_3)
	v_dual_fmac_f32 v26, v92, v11 :: v_dual_and_b32 v53, 0xffff0000, v53
	v_and_b32_e32 v55, 0xffff0000, v55
	v_fmac_f32_e32 v27, v51, v21
	v_fmac_f32_e32 v26, v53, v21
	s_delay_alu instid0(VALU_DEP_3)
	v_fmac_f32_e32 v25, v55, v21
	s_wait_alu 0xfffe
	s_and_not1_b32 exec_lo, exec_lo, s10
	s_cbranch_execnz .LBB115_23
; %bb.24:
	s_or_b32 exec_lo, exec_lo, s10
.LBB115_25:
	s_wait_alu 0xfffe
	s_or_b32 exec_lo, exec_lo, s7
.LBB115_26:
	s_wait_alu 0xfffe
	s_or_b32 exec_lo, exec_lo, s6
	s_cbranch_execz .LBB115_28
	s_branch .LBB115_39
.LBB115_27:
                                        ; implicit-def: $vgpr25
                                        ; implicit-def: $vgpr26
                                        ; implicit-def: $vgpr27
                                        ; implicit-def: $vgpr12
.LBB115_28:
	v_dual_mov_b32 v25, 0 :: v_dual_mov_b32 v26, 0
	v_dual_mov_b32 v27, 0 :: v_dual_mov_b32 v12, 0
	s_and_saveexec_b32 s3, s2
	s_cbranch_execz .LBB115_38
; %bb.29:
	v_or_b32_e32 v11, 4, v0
	v_sub_co_u32 v15, s2, v1, v0
	s_wait_alu 0xf1ff
	v_subrev_co_ci_u32_e64 v16, null, 0, v2, s2
	s_delay_alu instid0(VALU_DEP_3)
	v_sub_co_u32 v11, vcc_lo, v11, v1
	s_wait_alu 0xfffd
	v_sub_co_ci_u32_e64 v12, null, 0, v2, vcc_lo
	s_mov_b32 s2, exec_lo
	v_add_co_u32 v11, vcc_lo, v11, v13
	s_wait_alu 0xfffd
	v_add_co_ci_u32_e64 v12, null, v12, v14, vcc_lo
	v_not_b32_e32 v13, v13
	v_not_b32_e32 v14, v14
	s_delay_alu instid0(VALU_DEP_3)
	v_cmp_gt_i64_e32 vcc_lo, v[11:12], v[7:8]
	s_wait_alu 0xfffd
	v_cndmask_b32_e32 v17, v8, v12, vcc_lo
	v_cndmask_b32_e32 v11, v7, v11, vcc_lo
	v_add_co_u32 v12, vcc_lo, v15, v13
	s_wait_alu 0xfffd
	v_add_co_ci_u32_e64 v14, null, v16, v14, vcc_lo
	s_delay_alu instid0(VALU_DEP_2) | instskip(SKIP_2) | instid1(VALU_DEP_3)
	v_add_co_u32 v13, vcc_lo, v12, v11
	v_mov_b32_e32 v12, 0
	s_wait_alu 0xfffd
	v_add_co_ci_u32_e64 v14, null, v14, v17, vcc_lo
	s_delay_alu instid0(VALU_DEP_3) | instskip(NEXT) | instid1(VALU_DEP_3)
	v_and_b32_e32 v11, 12, v13
	v_dual_mov_b32 v27, v12 :: v_dual_mov_b32 v26, v12
	v_mov_b32_e32 v25, v12
	s_delay_alu instid0(VALU_DEP_3)
	v_cmpx_ne_u64_e32 12, v[11:12]
	s_cbranch_execz .LBB115_33
; %bb.30:
	v_lshrrev_b32_e32 v11, 2, v13
	v_mov_b32_e32 v25, 0
	v_dual_mov_b32 v27, 0 :: v_dual_mov_b32 v26, 0
	s_delay_alu instid0(VALU_DEP_3) | instskip(SKIP_1) | instid1(VALU_DEP_2)
	v_add_nc_u32_e32 v15, 1, v11
	v_lshlrev_b64_e32 v[11:12], 3, v[5:6]
	v_and_b32_e32 v17, 3, v15
	s_delay_alu instid0(VALU_DEP_2) | instskip(SKIP_1) | instid1(VALU_DEP_3)
	v_add_co_u32 v15, vcc_lo, s8, v11
	s_wait_alu 0xfffd
	v_add_co_ci_u32_e64 v16, null, s9, v12, vcc_lo
	s_delay_alu instid0(VALU_DEP_3)
	v_sub_co_u32 v17, s6, 0, v17
	s_wait_alu 0xf1ff
	v_sub_co_ci_u32_e64 v18, null, 0, 0, s6
	v_mov_b32_e32 v12, 0
	s_mov_b32 s6, 0
.LBB115_31:                             ; =>This Inner Loop Header: Depth=1
	global_load_b64 v[23:24], v[15:16], off
	global_load_b128 v[19:22], v[9:10], off
	s_wait_loadcnt 0x1
	v_sub_co_u32 v23, vcc_lo, v23, v1
	s_wait_alu 0xfffd
	v_sub_co_ci_u32_e64 v24, null, v24, v2, vcc_lo
	s_wait_loadcnt 0x0
	v_lshlrev_b32_e32 v11, 16, v19
	v_and_b32_e32 v19, 0xffff0000, v19
	s_delay_alu instid0(VALU_DEP_3) | instskip(SKIP_1) | instid1(VALU_DEP_1)
	v_lshlrev_b64_e32 v[23:24], 3, v[23:24]
	s_wait_kmcnt 0x0
	v_add_co_u32 v23, vcc_lo, s4, v23
	s_wait_alu 0xfffd
	s_delay_alu instid0(VALU_DEP_2)
	v_add_co_ci_u32_e64 v24, null, s5, v24, vcc_lo
	global_load_b64 v[23:24], v[23:24], off
	global_load_b128 v[28:31], v[9:10], off offset:16
	v_add_co_u32 v9, vcc_lo, 0x80, v9
	s_wait_alu 0xfffd
	v_add_co_ci_u32_e64 v10, null, 0, v10, vcc_lo
	v_add_co_u32 v5, vcc_lo, v5, 4
	s_wait_alu 0xfffd
	v_add_co_ci_u32_e64 v6, null, 0, v6, vcc_lo
	;; [unrolled: 3-line block ×4, first 2 shown]
	s_delay_alu instid0(VALU_DEP_1)
	v_cmp_eq_u64_e32 vcc_lo, 0, v[17:18]
	s_wait_alu 0xfffe
	s_or_b32 s6, vcc_lo, s6
	s_wait_loadcnt 0x1
	v_lshlrev_b32_e32 v39, 16, v23
	v_lshlrev_b32_e32 v33, 16, v21
	v_and_b32_e32 v23, 0xffff0000, v23
	v_lshlrev_b32_e32 v32, 16, v20
	s_wait_loadcnt 0x0
	v_lshlrev_b32_e32 v38, 16, v31
	v_dual_fmac_f32 v12, v11, v39 :: v_dual_lshlrev_b32 v35, 16, v28
	v_fmac_f32_e32 v27, v19, v39
	v_and_b32_e32 v19, 0xffff0000, v24
	s_delay_alu instid0(VALU_DEP_3) | instskip(SKIP_2) | instid1(VALU_DEP_3)
	v_dual_fmac_f32 v12, v33, v23 :: v_dual_lshlrev_b32 v11, 16, v24
	v_dual_fmac_f32 v26, v32, v39 :: v_dual_and_b32 v21, 0xffff0000, v21
	v_and_b32_e32 v20, 0xffff0000, v20
	v_dual_fmac_f32 v12, v35, v11 :: v_dual_lshlrev_b32 v37, 16, v30
	s_delay_alu instid0(VALU_DEP_3) | instskip(NEXT) | instid1(VALU_DEP_3)
	v_dual_fmac_f32 v27, v21, v23 :: v_dual_lshlrev_b32 v34, 16, v22
	v_dual_fmac_f32 v25, v20, v39 :: v_dual_and_b32 v28, 0xffff0000, v28
	s_delay_alu instid0(VALU_DEP_3) | instskip(SKIP_4) | instid1(VALU_DEP_4)
	v_fmac_f32_e32 v12, v37, v19
	v_and_b32_e32 v22, 0xffff0000, v22
	v_and_b32_e32 v31, 0xffff0000, v31
	v_fmac_f32_e32 v26, v34, v23
	v_fmac_f32_e32 v27, v28, v11
	v_dual_fmac_f32 v25, v22, v23 :: v_dual_lshlrev_b32 v36, 16, v29
	v_and_b32_e32 v29, 0xffff0000, v29
	s_delay_alu instid0(VALU_DEP_1) | instskip(NEXT) | instid1(VALU_DEP_3)
	v_fmac_f32_e32 v25, v29, v11
	v_fmac_f32_e32 v26, v36, v11
	s_delay_alu instid0(VALU_DEP_2) | instskip(NEXT) | instid1(VALU_DEP_2)
	v_dual_fmac_f32 v25, v31, v19 :: v_dual_and_b32 v30, 0xffff0000, v30
	v_fmac_f32_e32 v26, v38, v19
	s_delay_alu instid0(VALU_DEP_2)
	v_fmac_f32_e32 v27, v30, v19
	s_wait_alu 0xfffe
	s_and_not1_b32 exec_lo, exec_lo, s6
	s_cbranch_execnz .LBB115_31
; %bb.32:
	s_or_b32 exec_lo, exec_lo, s6
.LBB115_33:
	s_wait_alu 0xfffe
	s_or_b32 exec_lo, exec_lo, s2
	s_delay_alu instid0(SALU_CYCLE_1)
	s_mov_b32 s2, exec_lo
	v_cmpx_lt_u64_e32 11, v[13:14]
	s_cbranch_execz .LBB115_37
; %bb.34:
	v_lshlrev_b64_e32 v[13:14], 3, v[5:6]
	s_mov_b32 s6, 0
	s_delay_alu instid0(VALU_DEP_1) | instskip(SKIP_1) | instid1(VALU_DEP_2)
	v_add_co_u32 v11, vcc_lo, s8, v13
	s_wait_alu 0xfffd
	v_add_co_ci_u32_e64 v14, null, s9, v14, vcc_lo
	s_delay_alu instid0(VALU_DEP_2) | instskip(SKIP_1) | instid1(VALU_DEP_2)
	v_add_co_u32 v13, vcc_lo, v11, 64
	s_wait_alu 0xfffd
	v_add_co_ci_u32_e64 v14, null, 0, v14, vcc_lo
.LBB115_35:                             ; =>This Inner Loop Header: Depth=1
	s_clause 0x3
	global_load_b64 v[23:24], v[13:14], off offset:-64
	global_load_b64 v[48:49], v[13:14], off offset:-32
	global_load_b64 v[50:51], v[13:14], off
	global_load_b64 v[52:53], v[13:14], off offset:32
	s_clause 0x6
	global_load_b128 v[15:18], v[9:10], off
	global_load_b128 v[19:22], v[9:10], off offset:16
	global_load_b128 v[28:31], v[9:10], off offset:128
	;; [unrolled: 1-line block ×6, first 2 shown]
	s_wait_loadcnt 0xa
	v_sub_co_u32 v23, vcc_lo, v23, v1
	s_wait_alu 0xfffd
	v_sub_co_ci_u32_e64 v24, null, v24, v2, vcc_lo
	s_wait_loadcnt 0x9
	v_sub_co_u32 v48, vcc_lo, v48, v1
	s_wait_alu 0xfffd
	v_sub_co_ci_u32_e64 v49, null, v49, v2, vcc_lo
	;; [unrolled: 4-line block ×3, first 2 shown]
	s_wait_loadcnt 0x7
	v_sub_co_u32 v52, vcc_lo, v52, v1
	v_lshlrev_b64_e32 v[23:24], 3, v[23:24]
	s_wait_alu 0xfffd
	v_sub_co_ci_u32_e64 v53, null, v53, v2, vcc_lo
	v_lshlrev_b64_e32 v[48:49], 3, v[48:49]
	v_lshlrev_b64_e32 v[50:51], 3, v[50:51]
	s_wait_loadcnt 0x5
	v_lshlrev_b32_e32 v61, 16, v19
	v_lshlrev_b64_e32 v[52:53], 3, v[52:53]
	s_wait_kmcnt 0x0
	v_add_co_u32 v23, vcc_lo, s4, v23
	s_wait_alu 0xfffd
	v_add_co_ci_u32_e64 v24, null, s5, v24, vcc_lo
	v_add_co_u32 v48, vcc_lo, s4, v48
	s_wait_alu 0xfffd
	v_add_co_ci_u32_e64 v49, null, s5, v49, vcc_lo
	;; [unrolled: 3-line block ×4, first 2 shown]
	s_clause 0x3
	global_load_b64 v[23:24], v[23:24], off
	global_load_b64 v[54:55], v[48:49], off
	;; [unrolled: 1-line block ×4, first 2 shown]
	global_load_b128 v[48:51], v[9:10], off offset:400
	v_and_b32_e32 v19, 0xffff0000, v19
	s_wait_loadcnt 0x5
	v_lshlrev_b32_e32 v84, 16, v47
	v_lshlrev_b32_e32 v68, 16, v31
	v_and_b32_e32 v31, 0xffff0000, v31
	v_lshlrev_b32_e32 v72, 16, v35
	v_and_b32_e32 v35, 0xffff0000, v35
	;; [unrolled: 2-line block ×4, first 2 shown]
	v_and_b32_e32 v47, 0xffff0000, v47
	v_add_co_u32 v9, vcc_lo, 0x200, v9
	s_wait_alu 0xfffd
	v_add_co_ci_u32_e64 v10, null, 0, v10, vcc_lo
	v_add_co_u32 v5, vcc_lo, v5, 16
	s_wait_alu 0xfffd
	v_add_co_ci_u32_e64 v6, null, 0, v6, vcc_lo
	;; [unrolled: 3-line block ×3, first 2 shown]
	s_delay_alu instid0(VALU_DEP_3)
	v_cmp_ge_i64_e32 vcc_lo, v[5:6], v[7:8]
	s_wait_alu 0xfffe
	s_or_b32 s6, vcc_lo, s6
	s_wait_loadcnt 0x4
	v_lshlrev_b32_e32 v89, 16, v23
	v_lshlrev_b32_e32 v58, 16, v16
	;; [unrolled: 1-line block ×4, first 2 shown]
	v_and_b32_e32 v23, 0xffff0000, v23
	s_wait_loadcnt 0x0
	v_lshlrev_b32_e32 v88, 16, v51
	v_dual_fmac_f32 v26, v58, v89 :: v_dual_and_b32 v15, 0xffff0000, v15
	v_fmac_f32_e32 v12, v11, v89
	v_lshlrev_b32_e32 v59, 16, v17
	s_delay_alu instid0(VALU_DEP_3) | instskip(SKIP_2) | instid1(VALU_DEP_4)
	v_dual_fmac_f32 v26, v60, v23 :: v_dual_lshlrev_b32 v11, 16, v24
	v_and_b32_e32 v17, 0xffff0000, v17
	v_fmac_f32_e32 v27, v15, v89
	v_fmac_f32_e32 v12, v59, v23
	v_and_b32_e32 v16, 0xffff0000, v16
	v_lshlrev_b32_e32 v63, 16, v21
	v_and_b32_e32 v15, 0xffff0000, v24
	v_dual_fmac_f32 v27, v17, v23 :: v_dual_and_b32 v18, 0xffff0000, v18
	s_delay_alu instid0(VALU_DEP_4) | instskip(SKIP_1) | instid1(VALU_DEP_3)
	v_dual_fmac_f32 v25, v16, v89 :: v_dual_fmac_f32 v12, v61, v11
	v_lshlrev_b32_e32 v65, 16, v28
	v_dual_fmac_f32 v27, v19, v11 :: v_dual_lshlrev_b32 v62, 16, v20
	s_delay_alu instid0(VALU_DEP_3) | instskip(NEXT) | instid1(VALU_DEP_4)
	v_fmac_f32_e32 v25, v18, v23
	v_dual_fmac_f32 v12, v63, v15 :: v_dual_and_b32 v21, 0xffff0000, v21
	v_and_b32_e32 v51, 0xffff0000, v51
	s_delay_alu instid0(VALU_DEP_4) | instskip(NEXT) | instid1(VALU_DEP_3)
	v_fmac_f32_e32 v26, v62, v11
	v_dual_fmac_f32 v27, v21, v15 :: v_dual_and_b32 v20, 0xffff0000, v20
	s_delay_alu instid0(VALU_DEP_1) | instskip(SKIP_3) | instid1(VALU_DEP_4)
	v_dual_fmac_f32 v25, v20, v11 :: v_dual_lshlrev_b32 v64, 16, v22
	v_and_b32_e32 v28, 0xffff0000, v28
	v_lshlrev_b32_e32 v11, 16, v54
	v_and_b32_e32 v22, 0xffff0000, v22
	v_dual_fmac_f32 v26, v64, v15 :: v_dual_lshlrev_b32 v67, 16, v30
	s_delay_alu instid0(VALU_DEP_3) | instskip(SKIP_1) | instid1(VALU_DEP_4)
	v_fmac_f32_e32 v12, v65, v11
	v_fmac_f32_e32 v27, v28, v11
	v_dual_fmac_f32 v25, v22, v15 :: v_dual_lshlrev_b32 v66, 16, v29
	v_and_b32_e32 v29, 0xffff0000, v29
	v_and_b32_e32 v15, 0xffff0000, v54
	s_delay_alu instid0(VALU_DEP_2) | instskip(NEXT) | instid1(VALU_DEP_4)
	v_dual_fmac_f32 v25, v29, v11 :: v_dual_and_b32 v30, 0xffff0000, v30
	v_dual_fmac_f32 v26, v66, v11 :: v_dual_lshlrev_b32 v69, 16, v32
	v_lshlrev_b32_e32 v71, 16, v34
	v_lshlrev_b32_e32 v11, 16, v55
	v_fmac_f32_e32 v12, v67, v15
	v_dual_fmac_f32 v25, v31, v15 :: v_dual_and_b32 v32, 0xffff0000, v32
	v_dual_fmac_f32 v27, v30, v15 :: v_dual_lshlrev_b32 v70, 16, v33
	v_dual_fmac_f32 v26, v68, v15 :: v_dual_and_b32 v33, 0xffff0000, v33
	v_and_b32_e32 v34, 0xffff0000, v34
	v_dual_fmac_f32 v12, v69, v11 :: v_dual_lshlrev_b32 v73, 16, v36
	v_and_b32_e32 v15, 0xffff0000, v55
	v_fmac_f32_e32 v27, v32, v11
	v_fmac_f32_e32 v26, v70, v11
	v_dual_fmac_f32 v25, v33, v11 :: v_dual_lshlrev_b32 v74, 16, v37
	v_and_b32_e32 v37, 0xffff0000, v37
	s_delay_alu instid0(VALU_DEP_4)
	v_dual_fmac_f32 v27, v34, v15 :: v_dual_and_b32 v36, 0xffff0000, v36
	v_dual_fmac_f32 v12, v71, v15 :: v_dual_lshlrev_b32 v75, 16, v38
	v_dual_fmac_f32 v26, v72, v15 :: v_dual_lshlrev_b32 v77, 16, v40
	v_lshlrev_b32_e32 v11, 16, v56
	v_dual_fmac_f32 v25, v35, v15 :: v_dual_and_b32 v38, 0xffff0000, v38
	v_and_b32_e32 v40, 0xffff0000, v40
	s_delay_alu instid0(VALU_DEP_3) | instskip(SKIP_4) | instid1(VALU_DEP_4)
	v_dual_fmac_f32 v26, v74, v11 :: v_dual_lshlrev_b32 v79, 16, v42
	v_dual_fmac_f32 v12, v73, v11 :: v_dual_and_b32 v15, 0xffff0000, v56
	v_dual_fmac_f32 v27, v36, v11 :: v_dual_lshlrev_b32 v78, 16, v41
	v_and_b32_e32 v41, 0xffff0000, v41
	v_dual_fmac_f32 v25, v37, v11 :: v_dual_and_b32 v42, 0xffff0000, v42
	v_dual_fmac_f32 v12, v75, v15 :: v_dual_lshlrev_b32 v81, 16, v44
	v_lshlrev_b32_e32 v11, 16, v57
	v_fmac_f32_e32 v27, v38, v15
	v_fmac_f32_e32 v26, v76, v15
	v_dual_fmac_f32 v25, v39, v15 :: v_dual_lshlrev_b32 v82, 16, v45
	v_and_b32_e32 v45, 0xffff0000, v45
	s_delay_alu instid0(VALU_DEP_4)
	v_dual_fmac_f32 v27, v40, v11 :: v_dual_and_b32 v44, 0xffff0000, v44
	v_dual_fmac_f32 v12, v77, v11 :: v_dual_lshlrev_b32 v83, 16, v46
	v_dual_fmac_f32 v26, v78, v11 :: v_dual_lshlrev_b32 v85, 16, v48
	v_and_b32_e32 v15, 0xffff0000, v57
	v_dual_fmac_f32 v25, v41, v11 :: v_dual_and_b32 v46, 0xffff0000, v46
	v_and_b32_e32 v48, 0xffff0000, v48
	s_delay_alu instid0(VALU_DEP_3) | instskip(SKIP_4) | instid1(VALU_DEP_4)
	v_dual_fmac_f32 v26, v80, v15 :: v_dual_lshlrev_b32 v87, 16, v50
	v_dual_fmac_f32 v12, v79, v15 :: v_dual_lshlrev_b32 v11, 16, v52
	;; [unrolled: 1-line block ×3, first 2 shown]
	v_and_b32_e32 v49, 0xffff0000, v49
	v_dual_fmac_f32 v25, v43, v15 :: v_dual_and_b32 v50, 0xffff0000, v50
	v_dual_fmac_f32 v12, v81, v11 :: v_dual_and_b32 v15, 0xffff0000, v52
	s_delay_alu instid0(VALU_DEP_4) | instskip(SKIP_1) | instid1(VALU_DEP_4)
	v_fmac_f32_e32 v27, v44, v11
	v_fmac_f32_e32 v26, v82, v11
	;; [unrolled: 1-line block ×3, first 2 shown]
	s_delay_alu instid0(VALU_DEP_4) | instskip(NEXT) | instid1(VALU_DEP_4)
	v_dual_fmac_f32 v12, v83, v15 :: v_dual_lshlrev_b32 v11, 16, v53
	v_fmac_f32_e32 v27, v46, v15
	s_delay_alu instid0(VALU_DEP_4) | instskip(NEXT) | instid1(VALU_DEP_4)
	v_fmac_f32_e32 v26, v84, v15
	v_fmac_f32_e32 v25, v47, v15
	s_delay_alu instid0(VALU_DEP_4) | instskip(NEXT) | instid1(VALU_DEP_4)
	v_dual_fmac_f32 v12, v85, v11 :: v_dual_and_b32 v15, 0xffff0000, v53
	v_fmac_f32_e32 v27, v48, v11
	s_delay_alu instid0(VALU_DEP_4) | instskip(NEXT) | instid1(VALU_DEP_4)
	v_fmac_f32_e32 v26, v86, v11
	v_fmac_f32_e32 v25, v49, v11
	s_delay_alu instid0(VALU_DEP_4) | instskip(NEXT) | instid1(VALU_DEP_4)
	v_fmac_f32_e32 v12, v87, v15
	;; [unrolled: 3-line block ×3, first 2 shown]
	v_fmac_f32_e32 v25, v51, v15
	s_wait_alu 0xfffe
	s_and_not1_b32 exec_lo, exec_lo, s6
	s_cbranch_execnz .LBB115_35
; %bb.36:
	s_or_b32 exec_lo, exec_lo, s6
.LBB115_37:
	s_wait_alu 0xfffe
	s_or_b32 exec_lo, exec_lo, s2
.LBB115_38:
	s_wait_alu 0xfffe
	s_or_b32 exec_lo, exec_lo, s3
.LBB115_39:
	v_mbcnt_lo_u32_b32 v1, -1, 0
	s_mov_b32 s2, -1
	s_delay_alu instid0(VALU_DEP_1) | instskip(NEXT) | instid1(VALU_DEP_1)
	v_xor_b32_e32 v2, 2, v1
	v_cmp_gt_i32_e32 vcc_lo, 32, v2
	s_wait_alu 0xfffd
	v_cndmask_b32_e32 v2, v1, v2, vcc_lo
	s_delay_alu instid0(VALU_DEP_1)
	v_lshlrev_b32_e32 v2, 2, v2
	ds_bpermute_b32 v5, v2, v12
	ds_bpermute_b32 v6, v2, v27
	;; [unrolled: 1-line block ×4, first 2 shown]
	v_xor_b32_e32 v2, 1, v1
	s_delay_alu instid0(VALU_DEP_1) | instskip(SKIP_3) | instid1(VALU_DEP_2)
	v_cmp_gt_i32_e32 vcc_lo, 32, v2
	s_wait_alu 0xfffd
	v_cndmask_b32_e32 v1, v1, v2, vcc_lo
	v_cmp_eq_u32_e32 vcc_lo, 3, v0
	v_lshlrev_b32_e32 v10, 2, v1
	s_wait_dscnt 0x2
	v_dual_add_f32 v1, v12, v5 :: v_dual_add_f32 v2, v27, v6
	s_wait_dscnt 0x0
	v_dual_add_f32 v5, v26, v7 :: v_dual_add_f32 v6, v25, v8
	ds_bpermute_b32 v7, v10, v1
	ds_bpermute_b32 v8, v10, v2
	;; [unrolled: 1-line block ×4, first 2 shown]
	s_and_b32 exec_lo, exec_lo, vcc_lo
	s_cbranch_execz .LBB115_10
; %bb.40:
	s_load_b64 s[0:1], s[0:1], 0x58
	s_wait_dscnt 0x2
	v_dual_add_f32 v0, v1, v7 :: v_dual_add_f32 v1, v2, v8
	s_wait_dscnt 0x0
	v_add_f32_e32 v6, v6, v10
	s_cmp_eq_f32 s16, 0
	s_delay_alu instid0(VALU_DEP_2) | instskip(SKIP_3) | instid1(VALU_DEP_3)
	v_dual_mul_f32 v0, s12, v0 :: v_dual_mul_f32 v1, s12, v1
	v_add_f32_e32 v2, v5, v9
	v_lshlrev_b64_e32 v[4:5], 4, v[3:4]
	v_mul_f32_e32 v3, s12, v6
	v_mul_f32_e32 v2, s12, v2
	s_cbranch_scc0 .LBB115_42
; %bb.41:
	s_wait_kmcnt 0x0
	s_delay_alu instid0(VALU_DEP_3)
	v_add_co_u32 v6, vcc_lo, s0, v4
	s_wait_alu 0xfffd
	v_add_co_ci_u32_e64 v7, null, s1, v5, vcc_lo
	s_mov_b32 s2, 0
	global_store_b128 v[6:7], v[0:3], off
.LBB115_42:
	s_wait_alu 0xfffe
	s_and_not1_b32 vcc_lo, exec_lo, s2
	s_wait_alu 0xfffe
	s_cbranch_vccnz .LBB115_10
; %bb.43:
	s_wait_kmcnt 0x0
	v_add_co_u32 v8, vcc_lo, s0, v4
	s_wait_alu 0xfffd
	v_add_co_ci_u32_e64 v9, null, s1, v5, vcc_lo
	global_load_b128 v[4:7], v[8:9], off
	s_wait_loadcnt 0x0
	v_dual_fmac_f32 v0, s16, v4 :: v_dual_fmac_f32 v1, s16, v5
	v_dual_fmac_f32 v2, s16, v6 :: v_dual_fmac_f32 v3, s16, v7
	global_store_b128 v[8:9], v[0:3], off
	s_endpgm
	.section	.rodata,"a",@progbits
	.p2align	6, 0x0
	.amdhsa_kernel _ZN9rocsparseL18bsrxmvn_4x4_kernelILj128ELj4Efll18rocsparse_bfloat16S1_fEEvT3_20rocsparse_direction_NS_24const_host_device_scalarIT1_EES2_PKS2_PKT2_SB_S8_PKT4_PKT5_S6_PT6_21rocsparse_index_base_b
		.amdhsa_group_segment_fixed_size 0
		.amdhsa_private_segment_fixed_size 0
		.amdhsa_kernarg_size 104
		.amdhsa_user_sgpr_count 2
		.amdhsa_user_sgpr_dispatch_ptr 0
		.amdhsa_user_sgpr_queue_ptr 0
		.amdhsa_user_sgpr_kernarg_segment_ptr 1
		.amdhsa_user_sgpr_dispatch_id 0
		.amdhsa_user_sgpr_private_segment_size 0
		.amdhsa_wavefront_size32 1
		.amdhsa_uses_dynamic_stack 0
		.amdhsa_enable_private_segment 0
		.amdhsa_system_sgpr_workgroup_id_x 1
		.amdhsa_system_sgpr_workgroup_id_y 0
		.amdhsa_system_sgpr_workgroup_id_z 0
		.amdhsa_system_sgpr_workgroup_info 0
		.amdhsa_system_vgpr_workitem_id 0
		.amdhsa_next_free_vgpr 96
		.amdhsa_next_free_sgpr 18
		.amdhsa_reserve_vcc 1
		.amdhsa_float_round_mode_32 0
		.amdhsa_float_round_mode_16_64 0
		.amdhsa_float_denorm_mode_32 3
		.amdhsa_float_denorm_mode_16_64 3
		.amdhsa_fp16_overflow 0
		.amdhsa_workgroup_processor_mode 1
		.amdhsa_memory_ordered 1
		.amdhsa_forward_progress 1
		.amdhsa_inst_pref_size 42
		.amdhsa_round_robin_scheduling 0
		.amdhsa_exception_fp_ieee_invalid_op 0
		.amdhsa_exception_fp_denorm_src 0
		.amdhsa_exception_fp_ieee_div_zero 0
		.amdhsa_exception_fp_ieee_overflow 0
		.amdhsa_exception_fp_ieee_underflow 0
		.amdhsa_exception_fp_ieee_inexact 0
		.amdhsa_exception_int_div_zero 0
	.end_amdhsa_kernel
	.section	.text._ZN9rocsparseL18bsrxmvn_4x4_kernelILj128ELj4Efll18rocsparse_bfloat16S1_fEEvT3_20rocsparse_direction_NS_24const_host_device_scalarIT1_EES2_PKS2_PKT2_SB_S8_PKT4_PKT5_S6_PT6_21rocsparse_index_base_b,"axG",@progbits,_ZN9rocsparseL18bsrxmvn_4x4_kernelILj128ELj4Efll18rocsparse_bfloat16S1_fEEvT3_20rocsparse_direction_NS_24const_host_device_scalarIT1_EES2_PKS2_PKT2_SB_S8_PKT4_PKT5_S6_PT6_21rocsparse_index_base_b,comdat
.Lfunc_end115:
	.size	_ZN9rocsparseL18bsrxmvn_4x4_kernelILj128ELj4Efll18rocsparse_bfloat16S1_fEEvT3_20rocsparse_direction_NS_24const_host_device_scalarIT1_EES2_PKS2_PKT2_SB_S8_PKT4_PKT5_S6_PT6_21rocsparse_index_base_b, .Lfunc_end115-_ZN9rocsparseL18bsrxmvn_4x4_kernelILj128ELj4Efll18rocsparse_bfloat16S1_fEEvT3_20rocsparse_direction_NS_24const_host_device_scalarIT1_EES2_PKS2_PKT2_SB_S8_PKT4_PKT5_S6_PT6_21rocsparse_index_base_b
                                        ; -- End function
	.set _ZN9rocsparseL18bsrxmvn_4x4_kernelILj128ELj4Efll18rocsparse_bfloat16S1_fEEvT3_20rocsparse_direction_NS_24const_host_device_scalarIT1_EES2_PKS2_PKT2_SB_S8_PKT4_PKT5_S6_PT6_21rocsparse_index_base_b.num_vgpr, 96
	.set _ZN9rocsparseL18bsrxmvn_4x4_kernelILj128ELj4Efll18rocsparse_bfloat16S1_fEEvT3_20rocsparse_direction_NS_24const_host_device_scalarIT1_EES2_PKS2_PKT2_SB_S8_PKT4_PKT5_S6_PT6_21rocsparse_index_base_b.num_agpr, 0
	.set _ZN9rocsparseL18bsrxmvn_4x4_kernelILj128ELj4Efll18rocsparse_bfloat16S1_fEEvT3_20rocsparse_direction_NS_24const_host_device_scalarIT1_EES2_PKS2_PKT2_SB_S8_PKT4_PKT5_S6_PT6_21rocsparse_index_base_b.numbered_sgpr, 18
	.set _ZN9rocsparseL18bsrxmvn_4x4_kernelILj128ELj4Efll18rocsparse_bfloat16S1_fEEvT3_20rocsparse_direction_NS_24const_host_device_scalarIT1_EES2_PKS2_PKT2_SB_S8_PKT4_PKT5_S6_PT6_21rocsparse_index_base_b.num_named_barrier, 0
	.set _ZN9rocsparseL18bsrxmvn_4x4_kernelILj128ELj4Efll18rocsparse_bfloat16S1_fEEvT3_20rocsparse_direction_NS_24const_host_device_scalarIT1_EES2_PKS2_PKT2_SB_S8_PKT4_PKT5_S6_PT6_21rocsparse_index_base_b.private_seg_size, 0
	.set _ZN9rocsparseL18bsrxmvn_4x4_kernelILj128ELj4Efll18rocsparse_bfloat16S1_fEEvT3_20rocsparse_direction_NS_24const_host_device_scalarIT1_EES2_PKS2_PKT2_SB_S8_PKT4_PKT5_S6_PT6_21rocsparse_index_base_b.uses_vcc, 1
	.set _ZN9rocsparseL18bsrxmvn_4x4_kernelILj128ELj4Efll18rocsparse_bfloat16S1_fEEvT3_20rocsparse_direction_NS_24const_host_device_scalarIT1_EES2_PKS2_PKT2_SB_S8_PKT4_PKT5_S6_PT6_21rocsparse_index_base_b.uses_flat_scratch, 0
	.set _ZN9rocsparseL18bsrxmvn_4x4_kernelILj128ELj4Efll18rocsparse_bfloat16S1_fEEvT3_20rocsparse_direction_NS_24const_host_device_scalarIT1_EES2_PKS2_PKT2_SB_S8_PKT4_PKT5_S6_PT6_21rocsparse_index_base_b.has_dyn_sized_stack, 0
	.set _ZN9rocsparseL18bsrxmvn_4x4_kernelILj128ELj4Efll18rocsparse_bfloat16S1_fEEvT3_20rocsparse_direction_NS_24const_host_device_scalarIT1_EES2_PKS2_PKT2_SB_S8_PKT4_PKT5_S6_PT6_21rocsparse_index_base_b.has_recursion, 0
	.set _ZN9rocsparseL18bsrxmvn_4x4_kernelILj128ELj4Efll18rocsparse_bfloat16S1_fEEvT3_20rocsparse_direction_NS_24const_host_device_scalarIT1_EES2_PKS2_PKT2_SB_S8_PKT4_PKT5_S6_PT6_21rocsparse_index_base_b.has_indirect_call, 0
	.section	.AMDGPU.csdata,"",@progbits
; Kernel info:
; codeLenInByte = 5352
; TotalNumSgprs: 20
; NumVgprs: 96
; ScratchSize: 0
; MemoryBound: 0
; FloatMode: 240
; IeeeMode: 1
; LDSByteSize: 0 bytes/workgroup (compile time only)
; SGPRBlocks: 0
; VGPRBlocks: 11
; NumSGPRsForWavesPerEU: 20
; NumVGPRsForWavesPerEU: 96
; Occupancy: 16
; WaveLimiterHint : 1
; COMPUTE_PGM_RSRC2:SCRATCH_EN: 0
; COMPUTE_PGM_RSRC2:USER_SGPR: 2
; COMPUTE_PGM_RSRC2:TRAP_HANDLER: 0
; COMPUTE_PGM_RSRC2:TGID_X_EN: 1
; COMPUTE_PGM_RSRC2:TGID_Y_EN: 0
; COMPUTE_PGM_RSRC2:TGID_Z_EN: 0
; COMPUTE_PGM_RSRC2:TIDIG_COMP_CNT: 0
	.section	.text._ZN9rocsparseL18bsrxmvn_4x4_kernelILj128ELj8Efll18rocsparse_bfloat16S1_fEEvT3_20rocsparse_direction_NS_24const_host_device_scalarIT1_EES2_PKS2_PKT2_SB_S8_PKT4_PKT5_S6_PT6_21rocsparse_index_base_b,"axG",@progbits,_ZN9rocsparseL18bsrxmvn_4x4_kernelILj128ELj8Efll18rocsparse_bfloat16S1_fEEvT3_20rocsparse_direction_NS_24const_host_device_scalarIT1_EES2_PKS2_PKT2_SB_S8_PKT4_PKT5_S6_PT6_21rocsparse_index_base_b,comdat
	.globl	_ZN9rocsparseL18bsrxmvn_4x4_kernelILj128ELj8Efll18rocsparse_bfloat16S1_fEEvT3_20rocsparse_direction_NS_24const_host_device_scalarIT1_EES2_PKS2_PKT2_SB_S8_PKT4_PKT5_S6_PT6_21rocsparse_index_base_b ; -- Begin function _ZN9rocsparseL18bsrxmvn_4x4_kernelILj128ELj8Efll18rocsparse_bfloat16S1_fEEvT3_20rocsparse_direction_NS_24const_host_device_scalarIT1_EES2_PKS2_PKT2_SB_S8_PKT4_PKT5_S6_PT6_21rocsparse_index_base_b
	.p2align	8
	.type	_ZN9rocsparseL18bsrxmvn_4x4_kernelILj128ELj8Efll18rocsparse_bfloat16S1_fEEvT3_20rocsparse_direction_NS_24const_host_device_scalarIT1_EES2_PKS2_PKT2_SB_S8_PKT4_PKT5_S6_PT6_21rocsparse_index_base_b,@function
_ZN9rocsparseL18bsrxmvn_4x4_kernelILj128ELj8Efll18rocsparse_bfloat16S1_fEEvT3_20rocsparse_direction_NS_24const_host_device_scalarIT1_EES2_PKS2_PKT2_SB_S8_PKT4_PKT5_S6_PT6_21rocsparse_index_base_b: ; @_ZN9rocsparseL18bsrxmvn_4x4_kernelILj128ELj8Efll18rocsparse_bfloat16S1_fEEvT3_20rocsparse_direction_NS_24const_host_device_scalarIT1_EES2_PKS2_PKT2_SB_S8_PKT4_PKT5_S6_PT6_21rocsparse_index_base_b
; %bb.0:
	s_clause 0x2
	s_load_b64 s[2:3], s[0:1], 0x60
	s_load_b128 s[12:15], s[0:1], 0x10
	s_load_b64 s[16:17], s[0:1], 0x50
	s_wait_kmcnt 0x0
	s_bitcmp1_b32 s3, 0
	s_cselect_b32 s3, -1, 0
	s_delay_alu instid0(SALU_CYCLE_1)
	s_and_b32 vcc_lo, exec_lo, s3
	s_xor_b32 s3, s3, -1
	s_cbranch_vccnz .LBB116_2
; %bb.1:
	s_load_b32 s12, s[12:13], 0x0
.LBB116_2:
	s_and_not1_b32 vcc_lo, exec_lo, s3
	s_cbranch_vccnz .LBB116_4
; %bb.3:
	s_load_b32 s16, s[16:17], 0x0
.LBB116_4:
	s_wait_kmcnt 0x0
	s_cmp_neq_f32 s12, 0
	s_mov_b32 s6, 0
	s_cselect_b32 s3, -1, 0
	s_cmp_neq_f32 s16, 1.0
	s_cselect_b32 s4, -1, 0
	s_delay_alu instid0(SALU_CYCLE_1) | instskip(NEXT) | instid1(SALU_CYCLE_1)
	s_or_b32 s3, s3, s4
	s_and_not1_b32 vcc_lo, exec_lo, s3
	s_cbranch_vccnz .LBB116_10
; %bb.5:
	s_load_b64 s[4:5], s[0:1], 0x20
	v_lshrrev_b32_e32 v1, 3, v0
	v_mov_b32_e32 v6, 0
	s_delay_alu instid0(VALU_DEP_2)
	v_lshl_or_b32 v5, ttmp9, 4, v1
	s_wait_kmcnt 0x0
	s_cmp_lg_u64 s[4:5], 0
	s_cbranch_scc0 .LBB116_11
; %bb.6:
	s_mov_b32 s7, 0
                                        ; implicit-def: $vgpr3_vgpr4
                                        ; implicit-def: $vgpr1_vgpr2
	s_mov_b32 s3, exec_lo
	v_cmpx_gt_i64_e64 s[14:15], v[5:6]
	s_xor_b32 s8, exec_lo, s3
	s_cbranch_execz .LBB116_8
; %bb.7:
	v_lshlrev_b64_e32 v[1:2], 3, v[5:6]
	s_mov_b32 s3, 0
	s_mov_b32 s6, exec_lo
	s_delay_alu instid0(VALU_DEP_1) | instskip(NEXT) | instid1(VALU_DEP_1)
	v_add_co_u32 v1, vcc_lo, s4, v1
	v_add_co_ci_u32_e64 v2, null, s5, v2, vcc_lo
	global_load_b64 v[1:2], v[1:2], off
	s_wait_loadcnt 0x0
	v_sub_co_u32 v3, vcc_lo, v1, s2
	s_wait_alu 0xfffd
	v_subrev_co_ci_u32_e64 v4, null, 0, v2, vcc_lo
	v_dual_mov_b32 v1, s2 :: v_dual_mov_b32 v2, s3
.LBB116_8:
	s_or_b32 exec_lo, exec_lo, s8
	s_delay_alu instid0(SALU_CYCLE_1)
	s_and_b32 vcc_lo, exec_lo, s7
	s_wait_alu 0xfffe
	s_cbranch_vccnz .LBB116_12
.LBB116_9:
	s_and_saveexec_b32 s2, s6
	s_cbranch_execnz .LBB116_15
.LBB116_10:
	s_endpgm
.LBB116_11:
                                        ; implicit-def: $vgpr3_vgpr4
                                        ; implicit-def: $vgpr1_vgpr2
	s_cbranch_execz .LBB116_9
.LBB116_12:
	s_load_b64 s[4:5], s[0:1], 0x0
	s_wait_kmcnt 0x0
	v_cmp_gt_i64_e32 vcc_lo, s[4:5], v[5:6]
	s_and_saveexec_b32 s4, vcc_lo
; %bb.13:
	s_mov_b32 s3, 0
	s_or_b32 s6, s6, exec_lo
; %bb.14:
	s_wait_alu 0xfffe
	s_or_b32 exec_lo, exec_lo, s4
	v_dual_mov_b32 v1, s2 :: v_dual_mov_b32 v2, s3
	v_dual_mov_b32 v3, v5 :: v_dual_mov_b32 v4, v6
	s_and_saveexec_b32 s2, s6
	s_cbranch_execz .LBB116_10
.LBB116_15:
	s_load_b256 s[4:11], s[0:1], 0x28
	s_delay_alu instid0(VALU_DEP_1) | instskip(SKIP_3) | instid1(VALU_DEP_2)
	v_lshlrev_b64_e32 v[5:6], 3, v[3:4]
	v_dual_mov_b32 v25, 0 :: v_dual_and_b32 v0, 7, v0
	s_load_b32 s3, s[0:1], 0x8
	s_wait_kmcnt 0x0
	v_add_co_u32 v7, vcc_lo, s4, v5
	s_wait_alu 0xfffd
	v_add_co_ci_u32_e64 v8, null, s5, v6, vcc_lo
	v_add_co_u32 v5, vcc_lo, s6, v5
	s_wait_alu 0xfffd
	v_add_co_ci_u32_e64 v6, null, s7, v6, vcc_lo
	v_add_co_u32 v9, vcc_lo, v7, 8
	global_load_b64 v[13:14], v[7:8], off
	s_wait_alu 0xfffd
	v_add_co_ci_u32_e64 v10, null, 0, v8, vcc_lo
	s_cmp_eq_u64 s[6:7], 0
	s_load_b64 s[4:5], s[0:1], 0x48
	s_cselect_b32 vcc_lo, -1, 0
	s_cmp_eq_u32 s3, 1
	s_wait_alu 0xfffe
	v_dual_cndmask_b32 v6, v6, v10 :: v_dual_cndmask_b32 v5, v5, v9
	global_load_b64 v[7:8], v[5:6], off
	s_wait_loadcnt 0x1
	v_sub_co_u32 v5, vcc_lo, v13, v1
	s_wait_alu 0xfffd
	v_sub_co_ci_u32_e64 v6, null, v14, v2, vcc_lo
	s_delay_alu instid0(VALU_DEP_2) | instskip(SKIP_1) | instid1(VALU_DEP_2)
	v_add_co_u32 v5, vcc_lo, v5, v0
	s_wait_alu 0xfffd
	v_add_co_ci_u32_e64 v6, null, 0, v6, vcc_lo
	s_delay_alu instid0(VALU_DEP_1) | instskip(SKIP_4) | instid1(VALU_DEP_3)
	v_lshlrev_b64_e32 v[9:10], 5, v[5:6]
	s_wait_loadcnt 0x0
	v_sub_co_u32 v7, vcc_lo, v7, v1
	s_wait_alu 0xfffd
	v_sub_co_ci_u32_e64 v8, null, v8, v2, vcc_lo
	v_add_co_u32 v9, vcc_lo, s10, v9
	s_delay_alu instid0(VALU_DEP_2)
	v_cmp_lt_i64_e64 s2, v[5:6], v[7:8]
	s_wait_alu 0xfffd
	v_add_co_ci_u32_e64 v10, null, s11, v10, vcc_lo
	s_cbranch_scc1 .LBB116_27
; %bb.16:
	v_dual_mov_b32 v26, 0 :: v_dual_mov_b32 v27, 0
	v_mov_b32_e32 v12, 0
	s_and_saveexec_b32 s6, s2
	s_cbranch_execz .LBB116_26
; %bb.17:
	v_or_b32_e32 v11, 8, v0
	v_not_b32_e32 v16, v13
	v_sub_co_u32 v17, s3, v1, v0
	v_not_b32_e32 v15, v14
	s_delay_alu instid0(VALU_DEP_4)
	v_sub_co_u32 v11, vcc_lo, v11, v1
	s_wait_alu 0xfffd
	v_sub_co_ci_u32_e64 v12, null, 0, v2, vcc_lo
	s_wait_alu 0xf1ff
	v_subrev_co_ci_u32_e64 v18, null, 0, v2, s3
	v_add_co_u32 v11, vcc_lo, v11, v13
	s_wait_alu 0xfffd
	v_add_co_ci_u32_e64 v12, null, v12, v14, vcc_lo
	s_mov_b32 s3, exec_lo
	v_cmp_gt_i64_e32 vcc_lo, v[11:12], v[7:8]
	s_wait_alu 0xfffd
	v_dual_cndmask_b32 v20, v8, v12 :: v_dual_cndmask_b32 v11, v7, v11
	v_add_co_u32 v12, vcc_lo, v17, v16
	s_wait_alu 0xfffd
	v_add_co_ci_u32_e64 v15, null, v18, v15, vcc_lo
	v_mov_b32_e32 v18, v10
	s_delay_alu instid0(VALU_DEP_3) | instskip(SKIP_3) | instid1(VALU_DEP_3)
	v_add_co_u32 v19, vcc_lo, v12, v11
	v_mov_b32_e32 v12, 0
	s_wait_alu 0xfffd
	v_add_co_ci_u32_e64 v20, null, v15, v20, vcc_lo
	v_dual_mov_b32 v16, v6 :: v_dual_and_b32 v11, 24, v19
	s_delay_alu instid0(VALU_DEP_3)
	v_mov_b32_e32 v25, v12
	v_mov_b32_e32 v15, v5
	v_dual_mov_b32 v27, v12 :: v_dual_mov_b32 v26, v12
	v_mov_b32_e32 v17, v9
	v_cmpx_ne_u64_e32 24, v[11:12]
	s_cbranch_execz .LBB116_21
; %bb.18:
	v_lshrrev_b32_e32 v11, 3, v19
	v_dual_mov_b32 v25, 0 :: v_dual_mov_b32 v18, v10
	v_dual_mov_b32 v17, v9 :: v_dual_mov_b32 v26, 0
	s_delay_alu instid0(VALU_DEP_3) | instskip(SKIP_3) | instid1(VALU_DEP_4)
	v_dual_mov_b32 v16, v6 :: v_dual_add_nc_u32 v21, 1, v11
	v_lshlrev_b64_e32 v[11:12], 3, v[5:6]
	v_mov_b32_e32 v15, v5
	v_mov_b32_e32 v27, 0
	v_and_b32_e32 v23, 3, v21
	s_delay_alu instid0(VALU_DEP_4) | instskip(NEXT) | instid1(VALU_DEP_2)
	v_add_co_u32 v21, vcc_lo, s8, v11
	v_sub_co_u32 v23, s7, 0, v23
	s_wait_alu 0xfffd
	v_add_co_ci_u32_e64 v22, null, s9, v12, vcc_lo
	s_wait_alu 0xf1ff
	v_sub_co_ci_u32_e64 v24, null, 0, 0, s7
	v_mov_b32_e32 v12, 0
	s_mov_b32 s7, 0
.LBB116_19:                             ; =>This Inner Loop Header: Depth=1
	global_load_b64 v[32:33], v[21:22], off
	global_load_b128 v[28:31], v[17:18], off
	s_wait_loadcnt 0x1
	v_sub_co_u32 v32, vcc_lo, v32, v1
	s_wait_alu 0xfffd
	v_sub_co_ci_u32_e64 v33, null, v33, v2, vcc_lo
	s_delay_alu instid0(VALU_DEP_1) | instskip(SKIP_1) | instid1(VALU_DEP_1)
	v_lshlrev_b64_e32 v[32:33], 3, v[32:33]
	s_wait_kmcnt 0x0
	v_add_co_u32 v36, vcc_lo, s4, v32
	s_wait_alu 0xfffd
	s_delay_alu instid0(VALU_DEP_2)
	v_add_co_ci_u32_e64 v37, null, s5, v33, vcc_lo
	global_load_b128 v[32:35], v[17:18], off offset:16
	global_load_b64 v[36:37], v[36:37], off
	v_add_co_u32 v17, vcc_lo, 0x100, v17
	s_wait_alu 0xfffd
	v_add_co_ci_u32_e64 v18, null, 0, v18, vcc_lo
	v_add_co_u32 v15, vcc_lo, v15, 8
	s_wait_alu 0xfffd
	v_add_co_ci_u32_e64 v16, null, 0, v16, vcc_lo
	;; [unrolled: 3-line block ×4, first 2 shown]
	s_delay_alu instid0(VALU_DEP_1)
	v_cmp_eq_u64_e32 vcc_lo, 0, v[23:24]
	s_wait_alu 0xfffe
	s_or_b32 s7, vcc_lo, s7
	s_wait_loadcnt 0x1
	v_lshlrev_b32_e32 v41, 16, v32
	s_wait_loadcnt 0x0
	v_lshlrev_b32_e32 v45, 16, v36
	v_lshlrev_b32_e32 v11, 16, v28
	;; [unrolled: 1-line block ×3, first 2 shown]
	v_and_b32_e32 v36, 0xffff0000, v36
	s_delay_alu instid0(VALU_DEP_4) | instskip(NEXT) | instid1(VALU_DEP_4)
	v_dual_fmac_f32 v26, v41, v45 :: v_dual_lshlrev_b32 v39, 16, v30
	v_fmac_f32_e32 v12, v11, v45
	v_and_b32_e32 v28, 0xffff0000, v28
	v_dual_fmac_f32 v25, v43, v45 :: v_dual_and_b32 v30, 0xffff0000, v30
	s_delay_alu instid0(VALU_DEP_4) | instskip(SKIP_1) | instid1(VALU_DEP_4)
	v_fmac_f32_e32 v27, v39, v45
	v_lshlrev_b32_e32 v38, 16, v29
	v_dual_fmac_f32 v12, v28, v36 :: v_dual_and_b32 v29, 0xffff0000, v29
	v_and_b32_e32 v28, 0xffff0000, v37
	v_and_b32_e32 v34, 0xffff0000, v34
	v_lshlrev_b32_e32 v40, 16, v31
	v_lshlrev_b32_e32 v11, 16, v37
	v_dual_fmac_f32 v27, v30, v36 :: v_dual_lshlrev_b32 v44, 16, v35
	s_delay_alu instid0(VALU_DEP_4) | instskip(SKIP_1) | instid1(VALU_DEP_3)
	v_fmac_f32_e32 v25, v34, v36
	v_and_b32_e32 v32, 0xffff0000, v32
	v_dual_fmac_f32 v27, v40, v11 :: v_dual_lshlrev_b32 v42, 16, v33
	v_and_b32_e32 v31, 0xffff0000, v31
	v_fmac_f32_e32 v12, v38, v11
	s_delay_alu instid0(VALU_DEP_4)
	v_fmac_f32_e32 v26, v32, v36
	v_fmac_f32_e32 v25, v44, v11
	v_and_b32_e32 v33, 0xffff0000, v33
	v_fmac_f32_e32 v27, v31, v28
	v_fmac_f32_e32 v12, v29, v28
	;; [unrolled: 1-line block ×3, first 2 shown]
	s_delay_alu instid0(VALU_DEP_1) | instskip(NEXT) | instid1(VALU_DEP_1)
	v_dual_fmac_f32 v26, v33, v28 :: v_dual_and_b32 v35, 0xffff0000, v35
	v_fmac_f32_e32 v25, v35, v28
	s_wait_alu 0xfffe
	s_and_not1_b32 exec_lo, exec_lo, s7
	s_cbranch_execnz .LBB116_19
; %bb.20:
	s_or_b32 exec_lo, exec_lo, s7
.LBB116_21:
	s_wait_alu 0xfffe
	s_or_b32 exec_lo, exec_lo, s3
	s_delay_alu instid0(SALU_CYCLE_1)
	s_mov_b32 s7, exec_lo
	v_cmpx_lt_u64_e32 23, v[19:20]
	s_cbranch_execz .LBB116_25
; %bb.22:
	v_lshlrev_b64_e32 v[19:20], 3, v[15:16]
	s_mov_b32 s10, 0
	s_delay_alu instid0(VALU_DEP_1) | instskip(SKIP_1) | instid1(VALU_DEP_2)
	v_add_co_u32 v11, vcc_lo, s8, v19
	s_wait_alu 0xfffd
	v_add_co_ci_u32_e64 v20, null, s9, v20, vcc_lo
	s_delay_alu instid0(VALU_DEP_2) | instskip(SKIP_1) | instid1(VALU_DEP_2)
	v_add_co_u32 v19, vcc_lo, 0x80, v11
	s_wait_alu 0xfffd
	v_add_co_ci_u32_e64 v20, null, 0, v20, vcc_lo
.LBB116_23:                             ; =>This Inner Loop Header: Depth=1
	s_clause 0x3
	global_load_b64 v[56:57], v[19:20], off offset:-128
	global_load_b64 v[58:59], v[19:20], off offset:-64
	global_load_b64 v[60:61], v[19:20], off
	global_load_b64 v[62:63], v[19:20], off offset:64
	s_clause 0x7
	global_load_b128 v[21:24], v[17:18], off
	global_load_b128 v[28:31], v[17:18], off offset:16
	global_load_b128 v[32:35], v[17:18], off offset:256
	;; [unrolled: 1-line block ×7, first 2 shown]
	s_wait_loadcnt 0xb
	v_sub_co_u32 v56, vcc_lo, v56, v1
	s_wait_alu 0xfffd
	v_sub_co_ci_u32_e64 v57, null, v57, v2, vcc_lo
	s_wait_loadcnt 0xa
	v_sub_co_u32 v58, vcc_lo, v58, v1
	s_wait_alu 0xfffd
	v_sub_co_ci_u32_e64 v59, null, v59, v2, vcc_lo
	v_lshlrev_b64_e32 v[56:57], 3, v[56:57]
	s_wait_loadcnt 0x6
	v_lshlrev_b32_e32 v67, 16, v28
	s_wait_loadcnt 0x4
	v_lshlrev_b32_e32 v77, 16, v38
	v_lshlrev_b64_e32 v[58:59], 3, v[58:59]
	v_and_b32_e32 v38, 0xffff0000, v38
	s_wait_loadcnt 0x2
	v_lshlrev_b32_e32 v85, 16, v46
	s_wait_kmcnt 0x0
	v_add_co_u32 v56, vcc_lo, s4, v56
	s_wait_alu 0xfffd
	v_add_co_ci_u32_e64 v57, null, s5, v57, vcc_lo
	v_sub_co_u32 v60, vcc_lo, v60, v1
	s_wait_alu 0xfffd
	v_sub_co_ci_u32_e64 v61, null, v61, v2, vcc_lo
	global_load_b64 v[56:57], v[56:57], off
	v_add_co_u32 v58, vcc_lo, s4, v58
	s_wait_alu 0xfffd
	v_add_co_ci_u32_e64 v59, null, s5, v59, vcc_lo
	v_lshlrev_b64_e32 v[60:61], 3, v[60:61]
	v_sub_co_u32 v62, vcc_lo, v62, v1
	global_load_b64 v[58:59], v[58:59], off
	s_wait_alu 0xfffd
	v_sub_co_ci_u32_e64 v63, null, v63, v2, vcc_lo
	v_add_co_u32 v60, s3, s4, v60
	s_wait_alu 0xf1ff
	v_add_co_ci_u32_e64 v61, null, s5, v61, s3
	s_delay_alu instid0(VALU_DEP_3)
	v_lshlrev_b64_e32 v[62:63], 3, v[62:63]
	v_and_b32_e32 v46, 0xffff0000, v46
	s_wait_loadcnt 0x2
	v_lshlrev_b32_e32 v93, 16, v54
	global_load_b64 v[60:61], v[60:61], off
	v_and_b32_e32 v54, 0xffff0000, v54
	v_add_co_u32 v62, vcc_lo, s4, v62
	s_wait_alu 0xfffd
	v_add_co_ci_u32_e64 v63, null, s5, v63, vcc_lo
	v_add_co_u32 v17, vcc_lo, 0x400, v17
	s_wait_alu 0xfffd
	v_add_co_ci_u32_e64 v18, null, 0, v18, vcc_lo
	global_load_b64 v[62:63], v[62:63], off
	v_add_co_u32 v15, vcc_lo, v15, 32
	s_wait_alu 0xfffd
	v_add_co_ci_u32_e64 v16, null, 0, v16, vcc_lo
	v_add_co_u32 v19, vcc_lo, 0x100, v19
	s_wait_alu 0xfffd
	v_add_co_ci_u32_e64 v20, null, 0, v20, vcc_lo
	s_delay_alu instid0(VALU_DEP_3)
	v_cmp_ge_i64_e32 vcc_lo, v[15:16], v[7:8]
	s_wait_alu 0xfffe
	s_or_b32 s10, vcc_lo, s10
	s_wait_loadcnt 0x3
	v_lshlrev_b32_e32 v95, 16, v56
	v_lshlrev_b32_e32 v11, 16, v21
	v_and_b32_e32 v56, 0xffff0000, v56
	s_delay_alu instid0(VALU_DEP_3) | instskip(NEXT) | instid1(VALU_DEP_3)
	v_dual_fmac_f32 v26, v67, v95 :: v_dual_and_b32 v21, 0xffff0000, v21
	v_fmac_f32_e32 v12, v11, v95
	v_lshlrev_b32_e32 v65, 16, v23
	s_delay_alu instid0(VALU_DEP_2) | instskip(SKIP_2) | instid1(VALU_DEP_4)
	v_dual_fmac_f32 v12, v21, v56 :: v_dual_lshlrev_b32 v11, 16, v57
	v_and_b32_e32 v21, 0xffff0000, v57
	v_and_b32_e32 v28, 0xffff0000, v28
	v_dual_fmac_f32 v27, v65, v95 :: v_dual_lshlrev_b32 v64, 16, v22
	s_delay_alu instid0(VALU_DEP_2) | instskip(SKIP_1) | instid1(VALU_DEP_3)
	v_dual_fmac_f32 v26, v28, v56 :: v_dual_and_b32 v23, 0xffff0000, v23
	v_lshlrev_b32_e32 v68, 16, v29
	v_dual_fmac_f32 v12, v64, v11 :: v_dual_lshlrev_b32 v69, 16, v30
	s_delay_alu instid0(VALU_DEP_3) | instskip(NEXT) | instid1(VALU_DEP_3)
	v_fmac_f32_e32 v27, v23, v56
	v_dual_fmac_f32 v26, v68, v11 :: v_dual_and_b32 v29, 0xffff0000, v29
	s_delay_alu instid0(VALU_DEP_3) | instskip(SKIP_1) | instid1(VALU_DEP_3)
	v_dual_fmac_f32 v25, v69, v95 :: v_dual_and_b32 v22, 0xffff0000, v22
	v_lshlrev_b32_e32 v70, 16, v31
	v_dual_fmac_f32 v26, v29, v21 :: v_dual_and_b32 v31, 0xffff0000, v31
	v_and_b32_e32 v30, 0xffff0000, v30
	s_delay_alu instid0(VALU_DEP_4) | instskip(NEXT) | instid1(VALU_DEP_2)
	v_fmac_f32_e32 v12, v22, v21
	v_fmac_f32_e32 v25, v30, v56
	s_delay_alu instid0(VALU_DEP_1) | instskip(NEXT) | instid1(VALU_DEP_1)
	v_dual_fmac_f32 v25, v70, v11 :: v_dual_lshlrev_b32 v66, 16, v24
	v_dual_fmac_f32 v27, v66, v11 :: v_dual_and_b32 v24, 0xffff0000, v24
	s_wait_loadcnt 0x2
	v_lshlrev_b32_e32 v11, 16, v58
	s_delay_alu instid0(VALU_DEP_3) | instskip(SKIP_3) | instid1(VALU_DEP_4)
	v_fmac_f32_e32 v25, v31, v21
	v_lshlrev_b32_e32 v72, 16, v33
	v_fmac_f32_e32 v27, v24, v21
	v_and_b32_e32 v21, 0xffff0000, v58
	v_fmac_f32_e32 v25, v77, v11
	v_lshlrev_b32_e32 v75, 16, v36
	v_lshlrev_b32_e32 v71, 16, v32
	s_delay_alu instid0(VALU_DEP_2) | instskip(NEXT) | instid1(VALU_DEP_2)
	v_dual_fmac_f32 v25, v38, v21 :: v_dual_fmac_f32 v26, v75, v11
	v_dual_fmac_f32 v12, v71, v11 :: v_dual_and_b32 v33, 0xffff0000, v33
	v_lshlrev_b32_e32 v73, 16, v34
	v_and_b32_e32 v32, 0xffff0000, v32
	s_delay_alu instid0(VALU_DEP_2) | instskip(SKIP_1) | instid1(VALU_DEP_3)
	v_dual_fmac_f32 v27, v73, v11 :: v_dual_and_b32 v34, 0xffff0000, v34
	v_lshlrev_b32_e32 v74, 16, v35
	v_dual_fmac_f32 v12, v32, v21 :: v_dual_lshlrev_b32 v11, 16, v59
	s_delay_alu instid0(VALU_DEP_3) | instskip(NEXT) | instid1(VALU_DEP_2)
	v_dual_fmac_f32 v27, v34, v21 :: v_dual_and_b32 v36, 0xffff0000, v36
	v_fmac_f32_e32 v12, v72, v11
	s_delay_alu instid0(VALU_DEP_2) | instskip(NEXT) | instid1(VALU_DEP_3)
	v_fmac_f32_e32 v27, v74, v11
	v_dual_fmac_f32 v26, v36, v21 :: v_dual_and_b32 v35, 0xffff0000, v35
	v_and_b32_e32 v21, 0xffff0000, v59
	v_lshlrev_b32_e32 v78, 16, v39
	v_lshlrev_b32_e32 v76, 16, v37
	s_delay_alu instid0(VALU_DEP_2) | instskip(NEXT) | instid1(VALU_DEP_2)
	v_dual_fmac_f32 v12, v33, v21 :: v_dual_fmac_f32 v25, v78, v11
	v_dual_fmac_f32 v26, v76, v11 :: v_dual_and_b32 v37, 0xffff0000, v37
	v_and_b32_e32 v39, 0xffff0000, v39
	s_wait_loadcnt 0x1
	v_lshlrev_b32_e32 v11, 16, v60
	v_fmac_f32_e32 v27, v35, v21
	v_fmac_f32_e32 v26, v37, v21
	;; [unrolled: 1-line block ×3, first 2 shown]
	v_lshlrev_b32_e32 v80, 16, v41
	v_and_b32_e32 v21, 0xffff0000, v60
	s_delay_alu instid0(VALU_DEP_3) | instskip(SKIP_2) | instid1(VALU_DEP_2)
	v_fmac_f32_e32 v25, v85, v11
	v_lshlrev_b32_e32 v83, 16, v44
	v_lshlrev_b32_e32 v79, 16, v40
	v_dual_fmac_f32 v25, v46, v21 :: v_dual_fmac_f32 v26, v83, v11
	s_delay_alu instid0(VALU_DEP_2) | instskip(SKIP_2) | instid1(VALU_DEP_2)
	v_dual_fmac_f32 v12, v79, v11 :: v_dual_and_b32 v41, 0xffff0000, v41
	v_lshlrev_b32_e32 v81, 16, v42
	v_and_b32_e32 v40, 0xffff0000, v40
	v_dual_fmac_f32 v27, v81, v11 :: v_dual_and_b32 v42, 0xffff0000, v42
	v_lshlrev_b32_e32 v82, 16, v43
	v_lshlrev_b32_e32 v11, 16, v61
	s_delay_alu instid0(VALU_DEP_4) | instskip(NEXT) | instid1(VALU_DEP_4)
	v_fmac_f32_e32 v12, v40, v21
	v_dual_fmac_f32 v27, v42, v21 :: v_dual_and_b32 v44, 0xffff0000, v44
	s_delay_alu instid0(VALU_DEP_2) | instskip(NEXT) | instid1(VALU_DEP_2)
	v_fmac_f32_e32 v12, v80, v11
	v_fmac_f32_e32 v27, v82, v11
	s_delay_alu instid0(VALU_DEP_3) | instskip(SKIP_3) | instid1(VALU_DEP_2)
	v_dual_fmac_f32 v26, v44, v21 :: v_dual_and_b32 v43, 0xffff0000, v43
	v_and_b32_e32 v21, 0xffff0000, v61
	v_lshlrev_b32_e32 v86, 16, v47
	v_lshlrev_b32_e32 v84, 16, v45
	v_dual_fmac_f32 v12, v41, v21 :: v_dual_fmac_f32 v25, v86, v11
	s_delay_alu instid0(VALU_DEP_2)
	v_dual_fmac_f32 v26, v84, v11 :: v_dual_and_b32 v45, 0xffff0000, v45
	v_and_b32_e32 v47, 0xffff0000, v47
	s_wait_loadcnt 0x0
	v_lshlrev_b32_e32 v11, 16, v62
	v_fmac_f32_e32 v27, v43, v21
	v_fmac_f32_e32 v26, v45, v21
	;; [unrolled: 1-line block ×3, first 2 shown]
	v_lshlrev_b32_e32 v88, 16, v49
	v_and_b32_e32 v21, 0xffff0000, v62
	s_delay_alu instid0(VALU_DEP_3) | instskip(SKIP_2) | instid1(VALU_DEP_2)
	v_fmac_f32_e32 v25, v93, v11
	v_lshlrev_b32_e32 v91, 16, v52
	v_lshlrev_b32_e32 v87, 16, v48
	v_dual_fmac_f32 v25, v54, v21 :: v_dual_fmac_f32 v26, v91, v11
	s_delay_alu instid0(VALU_DEP_2) | instskip(SKIP_2) | instid1(VALU_DEP_2)
	v_dual_fmac_f32 v12, v87, v11 :: v_dual_and_b32 v49, 0xffff0000, v49
	v_lshlrev_b32_e32 v89, 16, v50
	v_and_b32_e32 v48, 0xffff0000, v48
	v_dual_fmac_f32 v27, v89, v11 :: v_dual_and_b32 v50, 0xffff0000, v50
	v_lshlrev_b32_e32 v90, 16, v51
	s_delay_alu instid0(VALU_DEP_3) | instskip(NEXT) | instid1(VALU_DEP_3)
	v_dual_fmac_f32 v12, v48, v21 :: v_dual_lshlrev_b32 v11, 16, v63
	v_dual_fmac_f32 v27, v50, v21 :: v_dual_and_b32 v52, 0xffff0000, v52
	s_delay_alu instid0(VALU_DEP_2) | instskip(NEXT) | instid1(VALU_DEP_2)
	v_fmac_f32_e32 v12, v88, v11
	v_fmac_f32_e32 v27, v90, v11
	s_delay_alu instid0(VALU_DEP_3) | instskip(SKIP_3) | instid1(VALU_DEP_2)
	v_dual_fmac_f32 v26, v52, v21 :: v_dual_and_b32 v51, 0xffff0000, v51
	v_and_b32_e32 v21, 0xffff0000, v63
	v_lshlrev_b32_e32 v94, 16, v55
	v_lshlrev_b32_e32 v92, 16, v53
	v_dual_fmac_f32 v12, v49, v21 :: v_dual_fmac_f32 v25, v94, v11
	s_delay_alu instid0(VALU_DEP_2) | instskip(SKIP_2) | instid1(VALU_DEP_3)
	v_dual_fmac_f32 v26, v92, v11 :: v_dual_and_b32 v53, 0xffff0000, v53
	v_and_b32_e32 v55, 0xffff0000, v55
	v_fmac_f32_e32 v27, v51, v21
	v_fmac_f32_e32 v26, v53, v21
	s_delay_alu instid0(VALU_DEP_3)
	v_fmac_f32_e32 v25, v55, v21
	s_wait_alu 0xfffe
	s_and_not1_b32 exec_lo, exec_lo, s10
	s_cbranch_execnz .LBB116_23
; %bb.24:
	s_or_b32 exec_lo, exec_lo, s10
.LBB116_25:
	s_wait_alu 0xfffe
	s_or_b32 exec_lo, exec_lo, s7
.LBB116_26:
	s_wait_alu 0xfffe
	s_or_b32 exec_lo, exec_lo, s6
	s_cbranch_execz .LBB116_28
	s_branch .LBB116_39
.LBB116_27:
                                        ; implicit-def: $vgpr25
                                        ; implicit-def: $vgpr26
                                        ; implicit-def: $vgpr27
                                        ; implicit-def: $vgpr12
.LBB116_28:
	v_dual_mov_b32 v25, 0 :: v_dual_mov_b32 v26, 0
	v_dual_mov_b32 v27, 0 :: v_dual_mov_b32 v12, 0
	s_and_saveexec_b32 s3, s2
	s_cbranch_execz .LBB116_38
; %bb.29:
	v_or_b32_e32 v11, 8, v0
	v_sub_co_u32 v15, s2, v1, v0
	s_wait_alu 0xf1ff
	v_subrev_co_ci_u32_e64 v16, null, 0, v2, s2
	s_delay_alu instid0(VALU_DEP_3)
	v_sub_co_u32 v11, vcc_lo, v11, v1
	s_wait_alu 0xfffd
	v_sub_co_ci_u32_e64 v12, null, 0, v2, vcc_lo
	s_mov_b32 s2, exec_lo
	v_add_co_u32 v11, vcc_lo, v11, v13
	s_wait_alu 0xfffd
	v_add_co_ci_u32_e64 v12, null, v12, v14, vcc_lo
	v_not_b32_e32 v13, v13
	v_not_b32_e32 v14, v14
	s_delay_alu instid0(VALU_DEP_3)
	v_cmp_gt_i64_e32 vcc_lo, v[11:12], v[7:8]
	s_wait_alu 0xfffd
	v_cndmask_b32_e32 v17, v8, v12, vcc_lo
	v_cndmask_b32_e32 v11, v7, v11, vcc_lo
	v_add_co_u32 v12, vcc_lo, v15, v13
	s_wait_alu 0xfffd
	v_add_co_ci_u32_e64 v14, null, v16, v14, vcc_lo
	s_delay_alu instid0(VALU_DEP_2) | instskip(SKIP_2) | instid1(VALU_DEP_3)
	v_add_co_u32 v13, vcc_lo, v12, v11
	v_mov_b32_e32 v12, 0
	s_wait_alu 0xfffd
	v_add_co_ci_u32_e64 v14, null, v14, v17, vcc_lo
	s_delay_alu instid0(VALU_DEP_3) | instskip(NEXT) | instid1(VALU_DEP_3)
	v_and_b32_e32 v11, 24, v13
	v_dual_mov_b32 v27, v12 :: v_dual_mov_b32 v26, v12
	v_mov_b32_e32 v25, v12
	s_delay_alu instid0(VALU_DEP_3)
	v_cmpx_ne_u64_e32 24, v[11:12]
	s_cbranch_execz .LBB116_33
; %bb.30:
	v_lshrrev_b32_e32 v11, 3, v13
	v_mov_b32_e32 v25, 0
	v_dual_mov_b32 v27, 0 :: v_dual_mov_b32 v26, 0
	s_delay_alu instid0(VALU_DEP_3) | instskip(SKIP_1) | instid1(VALU_DEP_2)
	v_add_nc_u32_e32 v15, 1, v11
	v_lshlrev_b64_e32 v[11:12], 3, v[5:6]
	v_and_b32_e32 v17, 3, v15
	s_delay_alu instid0(VALU_DEP_2) | instskip(SKIP_1) | instid1(VALU_DEP_3)
	v_add_co_u32 v15, vcc_lo, s8, v11
	s_wait_alu 0xfffd
	v_add_co_ci_u32_e64 v16, null, s9, v12, vcc_lo
	s_delay_alu instid0(VALU_DEP_3)
	v_sub_co_u32 v17, s6, 0, v17
	s_wait_alu 0xf1ff
	v_sub_co_ci_u32_e64 v18, null, 0, 0, s6
	v_mov_b32_e32 v12, 0
	s_mov_b32 s6, 0
.LBB116_31:                             ; =>This Inner Loop Header: Depth=1
	global_load_b64 v[23:24], v[15:16], off
	global_load_b128 v[19:22], v[9:10], off
	s_wait_loadcnt 0x1
	v_sub_co_u32 v23, vcc_lo, v23, v1
	s_wait_alu 0xfffd
	v_sub_co_ci_u32_e64 v24, null, v24, v2, vcc_lo
	s_wait_loadcnt 0x0
	v_lshlrev_b32_e32 v11, 16, v19
	v_and_b32_e32 v19, 0xffff0000, v19
	s_delay_alu instid0(VALU_DEP_3) | instskip(SKIP_1) | instid1(VALU_DEP_1)
	v_lshlrev_b64_e32 v[23:24], 3, v[23:24]
	s_wait_kmcnt 0x0
	v_add_co_u32 v23, vcc_lo, s4, v23
	s_wait_alu 0xfffd
	s_delay_alu instid0(VALU_DEP_2)
	v_add_co_ci_u32_e64 v24, null, s5, v24, vcc_lo
	global_load_b64 v[23:24], v[23:24], off
	global_load_b128 v[28:31], v[9:10], off offset:16
	v_add_co_u32 v9, vcc_lo, 0x100, v9
	s_wait_alu 0xfffd
	v_add_co_ci_u32_e64 v10, null, 0, v10, vcc_lo
	v_add_co_u32 v5, vcc_lo, v5, 8
	s_wait_alu 0xfffd
	v_add_co_ci_u32_e64 v6, null, 0, v6, vcc_lo
	;; [unrolled: 3-line block ×4, first 2 shown]
	s_delay_alu instid0(VALU_DEP_1)
	v_cmp_eq_u64_e32 vcc_lo, 0, v[17:18]
	s_wait_alu 0xfffe
	s_or_b32 s6, vcc_lo, s6
	s_wait_loadcnt 0x1
	v_lshlrev_b32_e32 v39, 16, v23
	v_lshlrev_b32_e32 v33, 16, v21
	v_and_b32_e32 v23, 0xffff0000, v23
	v_lshlrev_b32_e32 v32, 16, v20
	s_wait_loadcnt 0x0
	v_lshlrev_b32_e32 v38, 16, v31
	v_dual_fmac_f32 v12, v11, v39 :: v_dual_lshlrev_b32 v35, 16, v28
	v_fmac_f32_e32 v27, v19, v39
	v_and_b32_e32 v19, 0xffff0000, v24
	s_delay_alu instid0(VALU_DEP_3) | instskip(SKIP_2) | instid1(VALU_DEP_3)
	v_dual_fmac_f32 v12, v33, v23 :: v_dual_lshlrev_b32 v11, 16, v24
	v_dual_fmac_f32 v26, v32, v39 :: v_dual_and_b32 v21, 0xffff0000, v21
	v_and_b32_e32 v20, 0xffff0000, v20
	v_dual_fmac_f32 v12, v35, v11 :: v_dual_lshlrev_b32 v37, 16, v30
	s_delay_alu instid0(VALU_DEP_3) | instskip(NEXT) | instid1(VALU_DEP_3)
	v_dual_fmac_f32 v27, v21, v23 :: v_dual_lshlrev_b32 v34, 16, v22
	v_dual_fmac_f32 v25, v20, v39 :: v_dual_and_b32 v28, 0xffff0000, v28
	s_delay_alu instid0(VALU_DEP_3) | instskip(SKIP_4) | instid1(VALU_DEP_4)
	v_fmac_f32_e32 v12, v37, v19
	v_and_b32_e32 v22, 0xffff0000, v22
	v_and_b32_e32 v31, 0xffff0000, v31
	v_fmac_f32_e32 v26, v34, v23
	v_fmac_f32_e32 v27, v28, v11
	v_dual_fmac_f32 v25, v22, v23 :: v_dual_lshlrev_b32 v36, 16, v29
	v_and_b32_e32 v29, 0xffff0000, v29
	s_delay_alu instid0(VALU_DEP_1) | instskip(NEXT) | instid1(VALU_DEP_3)
	v_fmac_f32_e32 v25, v29, v11
	v_fmac_f32_e32 v26, v36, v11
	s_delay_alu instid0(VALU_DEP_2) | instskip(NEXT) | instid1(VALU_DEP_2)
	v_dual_fmac_f32 v25, v31, v19 :: v_dual_and_b32 v30, 0xffff0000, v30
	v_fmac_f32_e32 v26, v38, v19
	s_delay_alu instid0(VALU_DEP_2)
	v_fmac_f32_e32 v27, v30, v19
	s_wait_alu 0xfffe
	s_and_not1_b32 exec_lo, exec_lo, s6
	s_cbranch_execnz .LBB116_31
; %bb.32:
	s_or_b32 exec_lo, exec_lo, s6
.LBB116_33:
	s_wait_alu 0xfffe
	s_or_b32 exec_lo, exec_lo, s2
	s_delay_alu instid0(SALU_CYCLE_1)
	s_mov_b32 s2, exec_lo
	v_cmpx_lt_u64_e32 23, v[13:14]
	s_cbranch_execz .LBB116_37
; %bb.34:
	v_lshlrev_b64_e32 v[13:14], 3, v[5:6]
	s_mov_b32 s6, 0
	s_delay_alu instid0(VALU_DEP_1) | instskip(SKIP_1) | instid1(VALU_DEP_2)
	v_add_co_u32 v11, vcc_lo, s8, v13
	s_wait_alu 0xfffd
	v_add_co_ci_u32_e64 v14, null, s9, v14, vcc_lo
	s_delay_alu instid0(VALU_DEP_2) | instskip(SKIP_1) | instid1(VALU_DEP_2)
	v_add_co_u32 v13, vcc_lo, 0x80, v11
	s_wait_alu 0xfffd
	v_add_co_ci_u32_e64 v14, null, 0, v14, vcc_lo
.LBB116_35:                             ; =>This Inner Loop Header: Depth=1
	s_clause 0x3
	global_load_b64 v[23:24], v[13:14], off offset:-128
	global_load_b64 v[48:49], v[13:14], off offset:-64
	global_load_b64 v[50:51], v[13:14], off
	global_load_b64 v[52:53], v[13:14], off offset:64
	s_clause 0x6
	global_load_b128 v[15:18], v[9:10], off
	global_load_b128 v[19:22], v[9:10], off offset:16
	global_load_b128 v[28:31], v[9:10], off offset:256
	;; [unrolled: 1-line block ×6, first 2 shown]
	s_wait_loadcnt 0xa
	v_sub_co_u32 v23, vcc_lo, v23, v1
	s_wait_alu 0xfffd
	v_sub_co_ci_u32_e64 v24, null, v24, v2, vcc_lo
	s_wait_loadcnt 0x9
	v_sub_co_u32 v48, vcc_lo, v48, v1
	s_wait_alu 0xfffd
	v_sub_co_ci_u32_e64 v49, null, v49, v2, vcc_lo
	;; [unrolled: 4-line block ×3, first 2 shown]
	s_wait_loadcnt 0x7
	v_sub_co_u32 v52, vcc_lo, v52, v1
	v_lshlrev_b64_e32 v[23:24], 3, v[23:24]
	s_wait_alu 0xfffd
	v_sub_co_ci_u32_e64 v53, null, v53, v2, vcc_lo
	v_lshlrev_b64_e32 v[48:49], 3, v[48:49]
	v_lshlrev_b64_e32 v[50:51], 3, v[50:51]
	s_wait_loadcnt 0x5
	v_lshlrev_b32_e32 v61, 16, v19
	v_lshlrev_b64_e32 v[52:53], 3, v[52:53]
	s_wait_kmcnt 0x0
	v_add_co_u32 v23, vcc_lo, s4, v23
	s_wait_alu 0xfffd
	v_add_co_ci_u32_e64 v24, null, s5, v24, vcc_lo
	v_add_co_u32 v48, vcc_lo, s4, v48
	s_wait_alu 0xfffd
	v_add_co_ci_u32_e64 v49, null, s5, v49, vcc_lo
	;; [unrolled: 3-line block ×4, first 2 shown]
	s_clause 0x3
	global_load_b64 v[23:24], v[23:24], off
	global_load_b64 v[54:55], v[48:49], off
	;; [unrolled: 1-line block ×4, first 2 shown]
	global_load_b128 v[48:51], v[9:10], off offset:784
	v_and_b32_e32 v19, 0xffff0000, v19
	s_wait_loadcnt 0x5
	v_lshlrev_b32_e32 v84, 16, v47
	v_lshlrev_b32_e32 v68, 16, v31
	v_and_b32_e32 v31, 0xffff0000, v31
	v_lshlrev_b32_e32 v72, 16, v35
	v_and_b32_e32 v35, 0xffff0000, v35
	;; [unrolled: 2-line block ×4, first 2 shown]
	v_and_b32_e32 v47, 0xffff0000, v47
	v_add_co_u32 v9, vcc_lo, 0x400, v9
	s_wait_alu 0xfffd
	v_add_co_ci_u32_e64 v10, null, 0, v10, vcc_lo
	v_add_co_u32 v5, vcc_lo, v5, 32
	s_wait_alu 0xfffd
	v_add_co_ci_u32_e64 v6, null, 0, v6, vcc_lo
	;; [unrolled: 3-line block ×3, first 2 shown]
	s_delay_alu instid0(VALU_DEP_3)
	v_cmp_ge_i64_e32 vcc_lo, v[5:6], v[7:8]
	s_wait_alu 0xfffe
	s_or_b32 s6, vcc_lo, s6
	s_wait_loadcnt 0x4
	v_lshlrev_b32_e32 v89, 16, v23
	v_lshlrev_b32_e32 v58, 16, v16
	;; [unrolled: 1-line block ×4, first 2 shown]
	v_and_b32_e32 v23, 0xffff0000, v23
	s_wait_loadcnt 0x0
	v_lshlrev_b32_e32 v88, 16, v51
	v_dual_fmac_f32 v26, v58, v89 :: v_dual_and_b32 v15, 0xffff0000, v15
	v_fmac_f32_e32 v12, v11, v89
	v_lshlrev_b32_e32 v59, 16, v17
	s_delay_alu instid0(VALU_DEP_3) | instskip(SKIP_2) | instid1(VALU_DEP_4)
	v_dual_fmac_f32 v26, v60, v23 :: v_dual_lshlrev_b32 v11, 16, v24
	v_and_b32_e32 v17, 0xffff0000, v17
	v_fmac_f32_e32 v27, v15, v89
	v_fmac_f32_e32 v12, v59, v23
	v_and_b32_e32 v16, 0xffff0000, v16
	v_lshlrev_b32_e32 v63, 16, v21
	v_and_b32_e32 v15, 0xffff0000, v24
	v_dual_fmac_f32 v27, v17, v23 :: v_dual_and_b32 v18, 0xffff0000, v18
	s_delay_alu instid0(VALU_DEP_4) | instskip(SKIP_1) | instid1(VALU_DEP_3)
	v_dual_fmac_f32 v25, v16, v89 :: v_dual_fmac_f32 v12, v61, v11
	v_lshlrev_b32_e32 v65, 16, v28
	v_dual_fmac_f32 v27, v19, v11 :: v_dual_lshlrev_b32 v62, 16, v20
	s_delay_alu instid0(VALU_DEP_3) | instskip(NEXT) | instid1(VALU_DEP_4)
	v_fmac_f32_e32 v25, v18, v23
	v_dual_fmac_f32 v12, v63, v15 :: v_dual_and_b32 v21, 0xffff0000, v21
	v_and_b32_e32 v51, 0xffff0000, v51
	s_delay_alu instid0(VALU_DEP_4) | instskip(NEXT) | instid1(VALU_DEP_3)
	v_fmac_f32_e32 v26, v62, v11
	v_dual_fmac_f32 v27, v21, v15 :: v_dual_and_b32 v20, 0xffff0000, v20
	s_delay_alu instid0(VALU_DEP_1) | instskip(SKIP_3) | instid1(VALU_DEP_4)
	v_dual_fmac_f32 v25, v20, v11 :: v_dual_lshlrev_b32 v64, 16, v22
	v_and_b32_e32 v28, 0xffff0000, v28
	v_lshlrev_b32_e32 v11, 16, v54
	v_and_b32_e32 v22, 0xffff0000, v22
	v_dual_fmac_f32 v26, v64, v15 :: v_dual_lshlrev_b32 v67, 16, v30
	s_delay_alu instid0(VALU_DEP_3) | instskip(SKIP_1) | instid1(VALU_DEP_4)
	v_fmac_f32_e32 v12, v65, v11
	v_fmac_f32_e32 v27, v28, v11
	v_dual_fmac_f32 v25, v22, v15 :: v_dual_lshlrev_b32 v66, 16, v29
	v_and_b32_e32 v29, 0xffff0000, v29
	v_and_b32_e32 v15, 0xffff0000, v54
	s_delay_alu instid0(VALU_DEP_2) | instskip(NEXT) | instid1(VALU_DEP_4)
	v_dual_fmac_f32 v25, v29, v11 :: v_dual_and_b32 v30, 0xffff0000, v30
	v_dual_fmac_f32 v26, v66, v11 :: v_dual_lshlrev_b32 v69, 16, v32
	v_lshlrev_b32_e32 v71, 16, v34
	v_lshlrev_b32_e32 v11, 16, v55
	v_fmac_f32_e32 v12, v67, v15
	v_dual_fmac_f32 v25, v31, v15 :: v_dual_and_b32 v32, 0xffff0000, v32
	v_dual_fmac_f32 v27, v30, v15 :: v_dual_lshlrev_b32 v70, 16, v33
	v_dual_fmac_f32 v26, v68, v15 :: v_dual_and_b32 v33, 0xffff0000, v33
	v_and_b32_e32 v34, 0xffff0000, v34
	v_dual_fmac_f32 v12, v69, v11 :: v_dual_lshlrev_b32 v73, 16, v36
	v_and_b32_e32 v15, 0xffff0000, v55
	v_fmac_f32_e32 v27, v32, v11
	v_fmac_f32_e32 v26, v70, v11
	v_dual_fmac_f32 v25, v33, v11 :: v_dual_lshlrev_b32 v74, 16, v37
	v_and_b32_e32 v37, 0xffff0000, v37
	s_delay_alu instid0(VALU_DEP_4)
	v_dual_fmac_f32 v27, v34, v15 :: v_dual_and_b32 v36, 0xffff0000, v36
	v_dual_fmac_f32 v12, v71, v15 :: v_dual_lshlrev_b32 v75, 16, v38
	v_dual_fmac_f32 v26, v72, v15 :: v_dual_lshlrev_b32 v77, 16, v40
	v_lshlrev_b32_e32 v11, 16, v56
	v_dual_fmac_f32 v25, v35, v15 :: v_dual_and_b32 v38, 0xffff0000, v38
	v_and_b32_e32 v40, 0xffff0000, v40
	s_delay_alu instid0(VALU_DEP_3) | instskip(SKIP_4) | instid1(VALU_DEP_4)
	v_dual_fmac_f32 v26, v74, v11 :: v_dual_lshlrev_b32 v79, 16, v42
	v_dual_fmac_f32 v12, v73, v11 :: v_dual_and_b32 v15, 0xffff0000, v56
	v_dual_fmac_f32 v27, v36, v11 :: v_dual_lshlrev_b32 v78, 16, v41
	v_and_b32_e32 v41, 0xffff0000, v41
	v_dual_fmac_f32 v25, v37, v11 :: v_dual_and_b32 v42, 0xffff0000, v42
	v_dual_fmac_f32 v12, v75, v15 :: v_dual_lshlrev_b32 v81, 16, v44
	v_lshlrev_b32_e32 v11, 16, v57
	v_fmac_f32_e32 v27, v38, v15
	v_fmac_f32_e32 v26, v76, v15
	v_dual_fmac_f32 v25, v39, v15 :: v_dual_lshlrev_b32 v82, 16, v45
	v_and_b32_e32 v45, 0xffff0000, v45
	s_delay_alu instid0(VALU_DEP_4)
	v_dual_fmac_f32 v27, v40, v11 :: v_dual_and_b32 v44, 0xffff0000, v44
	v_dual_fmac_f32 v12, v77, v11 :: v_dual_lshlrev_b32 v83, 16, v46
	v_dual_fmac_f32 v26, v78, v11 :: v_dual_lshlrev_b32 v85, 16, v48
	v_and_b32_e32 v15, 0xffff0000, v57
	v_dual_fmac_f32 v25, v41, v11 :: v_dual_and_b32 v46, 0xffff0000, v46
	v_and_b32_e32 v48, 0xffff0000, v48
	s_delay_alu instid0(VALU_DEP_3) | instskip(SKIP_4) | instid1(VALU_DEP_4)
	v_dual_fmac_f32 v26, v80, v15 :: v_dual_lshlrev_b32 v87, 16, v50
	v_dual_fmac_f32 v12, v79, v15 :: v_dual_lshlrev_b32 v11, 16, v52
	;; [unrolled: 1-line block ×3, first 2 shown]
	v_and_b32_e32 v49, 0xffff0000, v49
	v_dual_fmac_f32 v25, v43, v15 :: v_dual_and_b32 v50, 0xffff0000, v50
	v_dual_fmac_f32 v12, v81, v11 :: v_dual_and_b32 v15, 0xffff0000, v52
	s_delay_alu instid0(VALU_DEP_4) | instskip(SKIP_1) | instid1(VALU_DEP_4)
	v_fmac_f32_e32 v27, v44, v11
	v_fmac_f32_e32 v26, v82, v11
	v_fmac_f32_e32 v25, v45, v11
	s_delay_alu instid0(VALU_DEP_4) | instskip(NEXT) | instid1(VALU_DEP_4)
	v_dual_fmac_f32 v12, v83, v15 :: v_dual_lshlrev_b32 v11, 16, v53
	v_fmac_f32_e32 v27, v46, v15
	s_delay_alu instid0(VALU_DEP_4) | instskip(NEXT) | instid1(VALU_DEP_4)
	v_fmac_f32_e32 v26, v84, v15
	v_fmac_f32_e32 v25, v47, v15
	s_delay_alu instid0(VALU_DEP_4) | instskip(NEXT) | instid1(VALU_DEP_4)
	v_dual_fmac_f32 v12, v85, v11 :: v_dual_and_b32 v15, 0xffff0000, v53
	v_fmac_f32_e32 v27, v48, v11
	s_delay_alu instid0(VALU_DEP_4) | instskip(NEXT) | instid1(VALU_DEP_4)
	v_fmac_f32_e32 v26, v86, v11
	v_fmac_f32_e32 v25, v49, v11
	s_delay_alu instid0(VALU_DEP_4) | instskip(NEXT) | instid1(VALU_DEP_4)
	v_fmac_f32_e32 v12, v87, v15
	;; [unrolled: 3-line block ×3, first 2 shown]
	v_fmac_f32_e32 v25, v51, v15
	s_wait_alu 0xfffe
	s_and_not1_b32 exec_lo, exec_lo, s6
	s_cbranch_execnz .LBB116_35
; %bb.36:
	s_or_b32 exec_lo, exec_lo, s6
.LBB116_37:
	s_wait_alu 0xfffe
	s_or_b32 exec_lo, exec_lo, s2
.LBB116_38:
	s_wait_alu 0xfffe
	s_or_b32 exec_lo, exec_lo, s3
.LBB116_39:
	v_mbcnt_lo_u32_b32 v1, -1, 0
	s_mov_b32 s2, -1
	s_delay_alu instid0(VALU_DEP_1) | instskip(SKIP_1) | instid1(VALU_DEP_2)
	v_xor_b32_e32 v2, 4, v1
	v_xor_b32_e32 v8, 2, v1
	v_cmp_gt_i32_e32 vcc_lo, 32, v2
	s_wait_alu 0xfffd
	v_cndmask_b32_e32 v2, v1, v2, vcc_lo
	s_delay_alu instid0(VALU_DEP_3) | instskip(NEXT) | instid1(VALU_DEP_2)
	v_cmp_gt_i32_e32 vcc_lo, 32, v8
	v_lshlrev_b32_e32 v2, 2, v2
	ds_bpermute_b32 v7, v2, v26
	s_wait_dscnt 0x0
	v_add_f32_e32 v7, v26, v7
	ds_bpermute_b32 v5, v2, v12
	ds_bpermute_b32 v6, v2, v27
	;; [unrolled: 1-line block ×3, first 2 shown]
	s_wait_alu 0xfffd
	v_cndmask_b32_e32 v8, v1, v8, vcc_lo
	s_wait_dscnt 0x2
	s_delay_alu instid0(VALU_DEP_1)
	v_dual_add_f32 v5, v12, v5 :: v_dual_lshlrev_b32 v8, 2, v8
	v_xor_b32_e32 v12, 1, v1
	s_wait_dscnt 0x0
	v_add_f32_e32 v9, v25, v2
	ds_bpermute_b32 v11, v8, v7
	ds_bpermute_b32 v2, v8, v5
	v_cmp_gt_i32_e32 vcc_lo, 32, v12
	s_wait_alu 0xfffd
	v_dual_add_f32 v6, v27, v6 :: v_dual_cndmask_b32 v1, v1, v12
	ds_bpermute_b32 v10, v8, v6
	ds_bpermute_b32 v8, v8, v9
	v_cmp_eq_u32_e32 vcc_lo, 7, v0
	s_wait_dscnt 0x2
	v_dual_add_f32 v1, v5, v2 :: v_dual_lshlrev_b32 v12, 2, v1
	v_add_f32_e32 v5, v7, v11
	ds_bpermute_b32 v7, v12, v1
	s_wait_dscnt 0x2
	v_add_f32_e32 v2, v6, v10
	s_wait_dscnt 0x1
	v_add_f32_e32 v6, v9, v8
	ds_bpermute_b32 v9, v12, v5
	ds_bpermute_b32 v8, v12, v2
	;; [unrolled: 1-line block ×3, first 2 shown]
	s_and_b32 exec_lo, exec_lo, vcc_lo
	s_cbranch_execz .LBB116_10
; %bb.40:
	s_load_b64 s[0:1], s[0:1], 0x58
	s_wait_dscnt 0x1
	v_dual_add_f32 v0, v1, v7 :: v_dual_add_f32 v1, v2, v8
	s_wait_dscnt 0x0
	v_add_f32_e32 v6, v6, v10
	s_cmp_eq_f32 s16, 0
	s_delay_alu instid0(VALU_DEP_2) | instskip(SKIP_3) | instid1(VALU_DEP_3)
	v_dual_mul_f32 v0, s12, v0 :: v_dual_mul_f32 v1, s12, v1
	v_add_f32_e32 v2, v5, v9
	v_lshlrev_b64_e32 v[4:5], 4, v[3:4]
	v_mul_f32_e32 v3, s12, v6
	v_mul_f32_e32 v2, s12, v2
	s_cbranch_scc0 .LBB116_42
; %bb.41:
	s_wait_kmcnt 0x0
	s_delay_alu instid0(VALU_DEP_3)
	v_add_co_u32 v6, vcc_lo, s0, v4
	s_wait_alu 0xfffd
	v_add_co_ci_u32_e64 v7, null, s1, v5, vcc_lo
	s_mov_b32 s2, 0
	global_store_b128 v[6:7], v[0:3], off
.LBB116_42:
	s_wait_alu 0xfffe
	s_and_not1_b32 vcc_lo, exec_lo, s2
	s_wait_alu 0xfffe
	s_cbranch_vccnz .LBB116_10
; %bb.43:
	s_wait_kmcnt 0x0
	v_add_co_u32 v8, vcc_lo, s0, v4
	s_wait_alu 0xfffd
	v_add_co_ci_u32_e64 v9, null, s1, v5, vcc_lo
	global_load_b128 v[4:7], v[8:9], off
	s_wait_loadcnt 0x0
	v_dual_fmac_f32 v0, s16, v4 :: v_dual_fmac_f32 v1, s16, v5
	v_dual_fmac_f32 v2, s16, v6 :: v_dual_fmac_f32 v3, s16, v7
	global_store_b128 v[8:9], v[0:3], off
	s_endpgm
	.section	.rodata,"a",@progbits
	.p2align	6, 0x0
	.amdhsa_kernel _ZN9rocsparseL18bsrxmvn_4x4_kernelILj128ELj8Efll18rocsparse_bfloat16S1_fEEvT3_20rocsparse_direction_NS_24const_host_device_scalarIT1_EES2_PKS2_PKT2_SB_S8_PKT4_PKT5_S6_PT6_21rocsparse_index_base_b
		.amdhsa_group_segment_fixed_size 0
		.amdhsa_private_segment_fixed_size 0
		.amdhsa_kernarg_size 104
		.amdhsa_user_sgpr_count 2
		.amdhsa_user_sgpr_dispatch_ptr 0
		.amdhsa_user_sgpr_queue_ptr 0
		.amdhsa_user_sgpr_kernarg_segment_ptr 1
		.amdhsa_user_sgpr_dispatch_id 0
		.amdhsa_user_sgpr_private_segment_size 0
		.amdhsa_wavefront_size32 1
		.amdhsa_uses_dynamic_stack 0
		.amdhsa_enable_private_segment 0
		.amdhsa_system_sgpr_workgroup_id_x 1
		.amdhsa_system_sgpr_workgroup_id_y 0
		.amdhsa_system_sgpr_workgroup_id_z 0
		.amdhsa_system_sgpr_workgroup_info 0
		.amdhsa_system_vgpr_workitem_id 0
		.amdhsa_next_free_vgpr 96
		.amdhsa_next_free_sgpr 18
		.amdhsa_reserve_vcc 1
		.amdhsa_float_round_mode_32 0
		.amdhsa_float_round_mode_16_64 0
		.amdhsa_float_denorm_mode_32 3
		.amdhsa_float_denorm_mode_16_64 3
		.amdhsa_fp16_overflow 0
		.amdhsa_workgroup_processor_mode 1
		.amdhsa_memory_ordered 1
		.amdhsa_forward_progress 1
		.amdhsa_inst_pref_size 43
		.amdhsa_round_robin_scheduling 0
		.amdhsa_exception_fp_ieee_invalid_op 0
		.amdhsa_exception_fp_denorm_src 0
		.amdhsa_exception_fp_ieee_div_zero 0
		.amdhsa_exception_fp_ieee_overflow 0
		.amdhsa_exception_fp_ieee_underflow 0
		.amdhsa_exception_fp_ieee_inexact 0
		.amdhsa_exception_int_div_zero 0
	.end_amdhsa_kernel
	.section	.text._ZN9rocsparseL18bsrxmvn_4x4_kernelILj128ELj8Efll18rocsparse_bfloat16S1_fEEvT3_20rocsparse_direction_NS_24const_host_device_scalarIT1_EES2_PKS2_PKT2_SB_S8_PKT4_PKT5_S6_PT6_21rocsparse_index_base_b,"axG",@progbits,_ZN9rocsparseL18bsrxmvn_4x4_kernelILj128ELj8Efll18rocsparse_bfloat16S1_fEEvT3_20rocsparse_direction_NS_24const_host_device_scalarIT1_EES2_PKS2_PKT2_SB_S8_PKT4_PKT5_S6_PT6_21rocsparse_index_base_b,comdat
.Lfunc_end116:
	.size	_ZN9rocsparseL18bsrxmvn_4x4_kernelILj128ELj8Efll18rocsparse_bfloat16S1_fEEvT3_20rocsparse_direction_NS_24const_host_device_scalarIT1_EES2_PKS2_PKT2_SB_S8_PKT4_PKT5_S6_PT6_21rocsparse_index_base_b, .Lfunc_end116-_ZN9rocsparseL18bsrxmvn_4x4_kernelILj128ELj8Efll18rocsparse_bfloat16S1_fEEvT3_20rocsparse_direction_NS_24const_host_device_scalarIT1_EES2_PKS2_PKT2_SB_S8_PKT4_PKT5_S6_PT6_21rocsparse_index_base_b
                                        ; -- End function
	.set _ZN9rocsparseL18bsrxmvn_4x4_kernelILj128ELj8Efll18rocsparse_bfloat16S1_fEEvT3_20rocsparse_direction_NS_24const_host_device_scalarIT1_EES2_PKS2_PKT2_SB_S8_PKT4_PKT5_S6_PT6_21rocsparse_index_base_b.num_vgpr, 96
	.set _ZN9rocsparseL18bsrxmvn_4x4_kernelILj128ELj8Efll18rocsparse_bfloat16S1_fEEvT3_20rocsparse_direction_NS_24const_host_device_scalarIT1_EES2_PKS2_PKT2_SB_S8_PKT4_PKT5_S6_PT6_21rocsparse_index_base_b.num_agpr, 0
	.set _ZN9rocsparseL18bsrxmvn_4x4_kernelILj128ELj8Efll18rocsparse_bfloat16S1_fEEvT3_20rocsparse_direction_NS_24const_host_device_scalarIT1_EES2_PKS2_PKT2_SB_S8_PKT4_PKT5_S6_PT6_21rocsparse_index_base_b.numbered_sgpr, 18
	.set _ZN9rocsparseL18bsrxmvn_4x4_kernelILj128ELj8Efll18rocsparse_bfloat16S1_fEEvT3_20rocsparse_direction_NS_24const_host_device_scalarIT1_EES2_PKS2_PKT2_SB_S8_PKT4_PKT5_S6_PT6_21rocsparse_index_base_b.num_named_barrier, 0
	.set _ZN9rocsparseL18bsrxmvn_4x4_kernelILj128ELj8Efll18rocsparse_bfloat16S1_fEEvT3_20rocsparse_direction_NS_24const_host_device_scalarIT1_EES2_PKS2_PKT2_SB_S8_PKT4_PKT5_S6_PT6_21rocsparse_index_base_b.private_seg_size, 0
	.set _ZN9rocsparseL18bsrxmvn_4x4_kernelILj128ELj8Efll18rocsparse_bfloat16S1_fEEvT3_20rocsparse_direction_NS_24const_host_device_scalarIT1_EES2_PKS2_PKT2_SB_S8_PKT4_PKT5_S6_PT6_21rocsparse_index_base_b.uses_vcc, 1
	.set _ZN9rocsparseL18bsrxmvn_4x4_kernelILj128ELj8Efll18rocsparse_bfloat16S1_fEEvT3_20rocsparse_direction_NS_24const_host_device_scalarIT1_EES2_PKS2_PKT2_SB_S8_PKT4_PKT5_S6_PT6_21rocsparse_index_base_b.uses_flat_scratch, 0
	.set _ZN9rocsparseL18bsrxmvn_4x4_kernelILj128ELj8Efll18rocsparse_bfloat16S1_fEEvT3_20rocsparse_direction_NS_24const_host_device_scalarIT1_EES2_PKS2_PKT2_SB_S8_PKT4_PKT5_S6_PT6_21rocsparse_index_base_b.has_dyn_sized_stack, 0
	.set _ZN9rocsparseL18bsrxmvn_4x4_kernelILj128ELj8Efll18rocsparse_bfloat16S1_fEEvT3_20rocsparse_direction_NS_24const_host_device_scalarIT1_EES2_PKS2_PKT2_SB_S8_PKT4_PKT5_S6_PT6_21rocsparse_index_base_b.has_recursion, 0
	.set _ZN9rocsparseL18bsrxmvn_4x4_kernelILj128ELj8Efll18rocsparse_bfloat16S1_fEEvT3_20rocsparse_direction_NS_24const_host_device_scalarIT1_EES2_PKS2_PKT2_SB_S8_PKT4_PKT5_S6_PT6_21rocsparse_index_base_b.has_indirect_call, 0
	.section	.AMDGPU.csdata,"",@progbits
; Kernel info:
; codeLenInByte = 5444
; TotalNumSgprs: 20
; NumVgprs: 96
; ScratchSize: 0
; MemoryBound: 0
; FloatMode: 240
; IeeeMode: 1
; LDSByteSize: 0 bytes/workgroup (compile time only)
; SGPRBlocks: 0
; VGPRBlocks: 11
; NumSGPRsForWavesPerEU: 20
; NumVGPRsForWavesPerEU: 96
; Occupancy: 16
; WaveLimiterHint : 1
; COMPUTE_PGM_RSRC2:SCRATCH_EN: 0
; COMPUTE_PGM_RSRC2:USER_SGPR: 2
; COMPUTE_PGM_RSRC2:TRAP_HANDLER: 0
; COMPUTE_PGM_RSRC2:TGID_X_EN: 1
; COMPUTE_PGM_RSRC2:TGID_Y_EN: 0
; COMPUTE_PGM_RSRC2:TGID_Z_EN: 0
; COMPUTE_PGM_RSRC2:TIDIG_COMP_CNT: 0
	.section	.text._ZN9rocsparseL18bsrxmvn_4x4_kernelILj128ELj16Efll18rocsparse_bfloat16S1_fEEvT3_20rocsparse_direction_NS_24const_host_device_scalarIT1_EES2_PKS2_PKT2_SB_S8_PKT4_PKT5_S6_PT6_21rocsparse_index_base_b,"axG",@progbits,_ZN9rocsparseL18bsrxmvn_4x4_kernelILj128ELj16Efll18rocsparse_bfloat16S1_fEEvT3_20rocsparse_direction_NS_24const_host_device_scalarIT1_EES2_PKS2_PKT2_SB_S8_PKT4_PKT5_S6_PT6_21rocsparse_index_base_b,comdat
	.globl	_ZN9rocsparseL18bsrxmvn_4x4_kernelILj128ELj16Efll18rocsparse_bfloat16S1_fEEvT3_20rocsparse_direction_NS_24const_host_device_scalarIT1_EES2_PKS2_PKT2_SB_S8_PKT4_PKT5_S6_PT6_21rocsparse_index_base_b ; -- Begin function _ZN9rocsparseL18bsrxmvn_4x4_kernelILj128ELj16Efll18rocsparse_bfloat16S1_fEEvT3_20rocsparse_direction_NS_24const_host_device_scalarIT1_EES2_PKS2_PKT2_SB_S8_PKT4_PKT5_S6_PT6_21rocsparse_index_base_b
	.p2align	8
	.type	_ZN9rocsparseL18bsrxmvn_4x4_kernelILj128ELj16Efll18rocsparse_bfloat16S1_fEEvT3_20rocsparse_direction_NS_24const_host_device_scalarIT1_EES2_PKS2_PKT2_SB_S8_PKT4_PKT5_S6_PT6_21rocsparse_index_base_b,@function
_ZN9rocsparseL18bsrxmvn_4x4_kernelILj128ELj16Efll18rocsparse_bfloat16S1_fEEvT3_20rocsparse_direction_NS_24const_host_device_scalarIT1_EES2_PKS2_PKT2_SB_S8_PKT4_PKT5_S6_PT6_21rocsparse_index_base_b: ; @_ZN9rocsparseL18bsrxmvn_4x4_kernelILj128ELj16Efll18rocsparse_bfloat16S1_fEEvT3_20rocsparse_direction_NS_24const_host_device_scalarIT1_EES2_PKS2_PKT2_SB_S8_PKT4_PKT5_S6_PT6_21rocsparse_index_base_b
; %bb.0:
	s_clause 0x2
	s_load_b64 s[2:3], s[0:1], 0x60
	s_load_b128 s[12:15], s[0:1], 0x10
	s_load_b64 s[16:17], s[0:1], 0x50
	s_wait_kmcnt 0x0
	s_bitcmp1_b32 s3, 0
	s_cselect_b32 s3, -1, 0
	s_delay_alu instid0(SALU_CYCLE_1)
	s_and_b32 vcc_lo, exec_lo, s3
	s_xor_b32 s3, s3, -1
	s_cbranch_vccnz .LBB117_2
; %bb.1:
	s_load_b32 s12, s[12:13], 0x0
.LBB117_2:
	s_and_not1_b32 vcc_lo, exec_lo, s3
	s_cbranch_vccnz .LBB117_4
; %bb.3:
	s_load_b32 s16, s[16:17], 0x0
.LBB117_4:
	s_wait_kmcnt 0x0
	s_cmp_neq_f32 s12, 0
	s_mov_b32 s6, 0
	s_cselect_b32 s3, -1, 0
	s_cmp_neq_f32 s16, 1.0
	s_cselect_b32 s4, -1, 0
	s_delay_alu instid0(SALU_CYCLE_1) | instskip(NEXT) | instid1(SALU_CYCLE_1)
	s_or_b32 s3, s3, s4
	s_and_not1_b32 vcc_lo, exec_lo, s3
	s_cbranch_vccnz .LBB117_10
; %bb.5:
	s_load_b64 s[4:5], s[0:1], 0x20
	v_lshrrev_b32_e32 v1, 4, v0
	v_mov_b32_e32 v6, 0
	s_delay_alu instid0(VALU_DEP_2)
	v_lshl_or_b32 v5, ttmp9, 3, v1
	s_wait_kmcnt 0x0
	s_cmp_lg_u64 s[4:5], 0
	s_cbranch_scc0 .LBB117_11
; %bb.6:
	s_mov_b32 s7, 0
                                        ; implicit-def: $vgpr3_vgpr4
                                        ; implicit-def: $vgpr1_vgpr2
	s_mov_b32 s3, exec_lo
	v_cmpx_gt_i64_e64 s[14:15], v[5:6]
	s_xor_b32 s8, exec_lo, s3
	s_cbranch_execz .LBB117_8
; %bb.7:
	v_lshlrev_b64_e32 v[1:2], 3, v[5:6]
	s_mov_b32 s3, 0
	s_mov_b32 s6, exec_lo
	s_delay_alu instid0(VALU_DEP_1) | instskip(NEXT) | instid1(VALU_DEP_1)
	v_add_co_u32 v1, vcc_lo, s4, v1
	v_add_co_ci_u32_e64 v2, null, s5, v2, vcc_lo
	global_load_b64 v[1:2], v[1:2], off
	s_wait_loadcnt 0x0
	v_sub_co_u32 v3, vcc_lo, v1, s2
	s_wait_alu 0xfffd
	v_subrev_co_ci_u32_e64 v4, null, 0, v2, vcc_lo
	v_dual_mov_b32 v1, s2 :: v_dual_mov_b32 v2, s3
.LBB117_8:
	s_or_b32 exec_lo, exec_lo, s8
	s_delay_alu instid0(SALU_CYCLE_1)
	s_and_b32 vcc_lo, exec_lo, s7
	s_wait_alu 0xfffe
	s_cbranch_vccnz .LBB117_12
.LBB117_9:
	s_and_saveexec_b32 s2, s6
	s_cbranch_execnz .LBB117_15
.LBB117_10:
	s_endpgm
.LBB117_11:
                                        ; implicit-def: $vgpr3_vgpr4
                                        ; implicit-def: $vgpr1_vgpr2
	s_cbranch_execz .LBB117_9
.LBB117_12:
	s_load_b64 s[4:5], s[0:1], 0x0
	s_wait_kmcnt 0x0
	v_cmp_gt_i64_e32 vcc_lo, s[4:5], v[5:6]
	s_and_saveexec_b32 s4, vcc_lo
; %bb.13:
	s_mov_b32 s3, 0
	s_or_b32 s6, s6, exec_lo
; %bb.14:
	s_wait_alu 0xfffe
	s_or_b32 exec_lo, exec_lo, s4
	v_dual_mov_b32 v1, s2 :: v_dual_mov_b32 v2, s3
	v_dual_mov_b32 v3, v5 :: v_dual_mov_b32 v4, v6
	s_and_saveexec_b32 s2, s6
	s_cbranch_execz .LBB117_10
.LBB117_15:
	s_load_b256 s[4:11], s[0:1], 0x28
	s_delay_alu instid0(VALU_DEP_1) | instskip(SKIP_3) | instid1(VALU_DEP_2)
	v_lshlrev_b64_e32 v[5:6], 3, v[3:4]
	v_dual_mov_b32 v25, 0 :: v_dual_and_b32 v0, 15, v0
	s_load_b32 s3, s[0:1], 0x8
	s_wait_kmcnt 0x0
	v_add_co_u32 v7, vcc_lo, s4, v5
	s_wait_alu 0xfffd
	v_add_co_ci_u32_e64 v8, null, s5, v6, vcc_lo
	v_add_co_u32 v5, vcc_lo, s6, v5
	s_wait_alu 0xfffd
	v_add_co_ci_u32_e64 v6, null, s7, v6, vcc_lo
	v_add_co_u32 v9, vcc_lo, v7, 8
	global_load_b64 v[13:14], v[7:8], off
	s_wait_alu 0xfffd
	v_add_co_ci_u32_e64 v10, null, 0, v8, vcc_lo
	s_cmp_eq_u64 s[6:7], 0
	s_load_b64 s[4:5], s[0:1], 0x48
	s_cselect_b32 vcc_lo, -1, 0
	s_cmp_eq_u32 s3, 1
	s_wait_alu 0xfffe
	v_dual_cndmask_b32 v6, v6, v10 :: v_dual_cndmask_b32 v5, v5, v9
	global_load_b64 v[7:8], v[5:6], off
	s_wait_loadcnt 0x1
	v_sub_co_u32 v5, vcc_lo, v13, v1
	s_wait_alu 0xfffd
	v_sub_co_ci_u32_e64 v6, null, v14, v2, vcc_lo
	s_delay_alu instid0(VALU_DEP_2) | instskip(SKIP_1) | instid1(VALU_DEP_2)
	v_add_co_u32 v5, vcc_lo, v5, v0
	s_wait_alu 0xfffd
	v_add_co_ci_u32_e64 v6, null, 0, v6, vcc_lo
	s_delay_alu instid0(VALU_DEP_1) | instskip(SKIP_4) | instid1(VALU_DEP_3)
	v_lshlrev_b64_e32 v[9:10], 5, v[5:6]
	s_wait_loadcnt 0x0
	v_sub_co_u32 v7, vcc_lo, v7, v1
	s_wait_alu 0xfffd
	v_sub_co_ci_u32_e64 v8, null, v8, v2, vcc_lo
	v_add_co_u32 v9, vcc_lo, s10, v9
	s_delay_alu instid0(VALU_DEP_2)
	v_cmp_lt_i64_e64 s2, v[5:6], v[7:8]
	s_wait_alu 0xfffd
	v_add_co_ci_u32_e64 v10, null, s11, v10, vcc_lo
	s_cbranch_scc1 .LBB117_27
; %bb.16:
	v_dual_mov_b32 v26, 0 :: v_dual_mov_b32 v27, 0
	v_mov_b32_e32 v12, 0
	s_and_saveexec_b32 s6, s2
	s_cbranch_execz .LBB117_26
; %bb.17:
	v_or_b32_e32 v11, 16, v0
	v_not_b32_e32 v16, v13
	v_sub_co_u32 v17, s3, v1, v0
	v_not_b32_e32 v15, v14
	s_delay_alu instid0(VALU_DEP_4)
	v_sub_co_u32 v11, vcc_lo, v11, v1
	s_wait_alu 0xfffd
	v_sub_co_ci_u32_e64 v12, null, 0, v2, vcc_lo
	s_wait_alu 0xf1ff
	v_subrev_co_ci_u32_e64 v18, null, 0, v2, s3
	v_add_co_u32 v11, vcc_lo, v11, v13
	s_wait_alu 0xfffd
	v_add_co_ci_u32_e64 v12, null, v12, v14, vcc_lo
	s_mov_b32 s3, exec_lo
	v_cmp_gt_i64_e32 vcc_lo, v[11:12], v[7:8]
	s_wait_alu 0xfffd
	v_dual_cndmask_b32 v20, v8, v12 :: v_dual_cndmask_b32 v11, v7, v11
	v_add_co_u32 v12, vcc_lo, v17, v16
	s_wait_alu 0xfffd
	v_add_co_ci_u32_e64 v15, null, v18, v15, vcc_lo
	v_mov_b32_e32 v18, v10
	s_delay_alu instid0(VALU_DEP_3) | instskip(SKIP_3) | instid1(VALU_DEP_3)
	v_add_co_u32 v19, vcc_lo, v12, v11
	v_mov_b32_e32 v12, 0
	s_wait_alu 0xfffd
	v_add_co_ci_u32_e64 v20, null, v15, v20, vcc_lo
	v_dual_mov_b32 v16, v6 :: v_dual_and_b32 v11, 48, v19
	s_delay_alu instid0(VALU_DEP_3)
	v_mov_b32_e32 v25, v12
	v_mov_b32_e32 v15, v5
	v_dual_mov_b32 v27, v12 :: v_dual_mov_b32 v26, v12
	v_mov_b32_e32 v17, v9
	v_cmpx_ne_u64_e32 48, v[11:12]
	s_cbranch_execz .LBB117_21
; %bb.18:
	v_lshrrev_b32_e32 v11, 4, v19
	v_dual_mov_b32 v25, 0 :: v_dual_mov_b32 v18, v10
	v_dual_mov_b32 v17, v9 :: v_dual_mov_b32 v26, 0
	s_delay_alu instid0(VALU_DEP_3) | instskip(SKIP_3) | instid1(VALU_DEP_4)
	v_dual_mov_b32 v16, v6 :: v_dual_add_nc_u32 v21, 1, v11
	v_lshlrev_b64_e32 v[11:12], 3, v[5:6]
	v_mov_b32_e32 v15, v5
	v_mov_b32_e32 v27, 0
	v_and_b32_e32 v23, 3, v21
	s_delay_alu instid0(VALU_DEP_4) | instskip(NEXT) | instid1(VALU_DEP_2)
	v_add_co_u32 v21, vcc_lo, s8, v11
	v_sub_co_u32 v23, s7, 0, v23
	s_wait_alu 0xfffd
	v_add_co_ci_u32_e64 v22, null, s9, v12, vcc_lo
	s_wait_alu 0xf1ff
	v_sub_co_ci_u32_e64 v24, null, 0, 0, s7
	v_mov_b32_e32 v12, 0
	s_mov_b32 s7, 0
.LBB117_19:                             ; =>This Inner Loop Header: Depth=1
	global_load_b64 v[32:33], v[21:22], off
	global_load_b128 v[28:31], v[17:18], off
	s_wait_loadcnt 0x1
	v_sub_co_u32 v32, vcc_lo, v32, v1
	s_wait_alu 0xfffd
	v_sub_co_ci_u32_e64 v33, null, v33, v2, vcc_lo
	s_delay_alu instid0(VALU_DEP_1) | instskip(SKIP_1) | instid1(VALU_DEP_1)
	v_lshlrev_b64_e32 v[32:33], 3, v[32:33]
	s_wait_kmcnt 0x0
	v_add_co_u32 v36, vcc_lo, s4, v32
	s_wait_alu 0xfffd
	s_delay_alu instid0(VALU_DEP_2)
	v_add_co_ci_u32_e64 v37, null, s5, v33, vcc_lo
	global_load_b128 v[32:35], v[17:18], off offset:16
	global_load_b64 v[36:37], v[36:37], off
	v_add_co_u32 v17, vcc_lo, 0x200, v17
	s_wait_alu 0xfffd
	v_add_co_ci_u32_e64 v18, null, 0, v18, vcc_lo
	v_add_co_u32 v15, vcc_lo, v15, 16
	s_wait_alu 0xfffd
	v_add_co_ci_u32_e64 v16, null, 0, v16, vcc_lo
	v_add_co_u32 v21, vcc_lo, 0x80, v21
	s_wait_alu 0xfffd
	v_add_co_ci_u32_e64 v22, null, 0, v22, vcc_lo
	v_add_co_u32 v23, vcc_lo, v23, 1
	s_wait_alu 0xfffd
	v_add_co_ci_u32_e64 v24, null, 0, v24, vcc_lo
	s_delay_alu instid0(VALU_DEP_1)
	v_cmp_eq_u64_e32 vcc_lo, 0, v[23:24]
	s_wait_alu 0xfffe
	s_or_b32 s7, vcc_lo, s7
	s_wait_loadcnt 0x1
	v_lshlrev_b32_e32 v41, 16, v32
	s_wait_loadcnt 0x0
	v_lshlrev_b32_e32 v45, 16, v36
	v_lshlrev_b32_e32 v11, 16, v28
	;; [unrolled: 1-line block ×3, first 2 shown]
	v_and_b32_e32 v36, 0xffff0000, v36
	s_delay_alu instid0(VALU_DEP_4) | instskip(NEXT) | instid1(VALU_DEP_4)
	v_dual_fmac_f32 v26, v41, v45 :: v_dual_lshlrev_b32 v39, 16, v30
	v_fmac_f32_e32 v12, v11, v45
	v_and_b32_e32 v28, 0xffff0000, v28
	v_dual_fmac_f32 v25, v43, v45 :: v_dual_and_b32 v30, 0xffff0000, v30
	s_delay_alu instid0(VALU_DEP_4) | instskip(SKIP_1) | instid1(VALU_DEP_4)
	v_fmac_f32_e32 v27, v39, v45
	v_lshlrev_b32_e32 v38, 16, v29
	v_dual_fmac_f32 v12, v28, v36 :: v_dual_and_b32 v29, 0xffff0000, v29
	v_and_b32_e32 v28, 0xffff0000, v37
	v_and_b32_e32 v34, 0xffff0000, v34
	v_lshlrev_b32_e32 v40, 16, v31
	v_lshlrev_b32_e32 v11, 16, v37
	v_dual_fmac_f32 v27, v30, v36 :: v_dual_lshlrev_b32 v44, 16, v35
	s_delay_alu instid0(VALU_DEP_4) | instskip(SKIP_1) | instid1(VALU_DEP_3)
	v_fmac_f32_e32 v25, v34, v36
	v_and_b32_e32 v32, 0xffff0000, v32
	v_dual_fmac_f32 v27, v40, v11 :: v_dual_lshlrev_b32 v42, 16, v33
	v_and_b32_e32 v31, 0xffff0000, v31
	v_fmac_f32_e32 v12, v38, v11
	s_delay_alu instid0(VALU_DEP_4)
	v_fmac_f32_e32 v26, v32, v36
	v_fmac_f32_e32 v25, v44, v11
	v_and_b32_e32 v33, 0xffff0000, v33
	v_fmac_f32_e32 v27, v31, v28
	v_fmac_f32_e32 v12, v29, v28
	;; [unrolled: 1-line block ×3, first 2 shown]
	s_delay_alu instid0(VALU_DEP_1) | instskip(NEXT) | instid1(VALU_DEP_1)
	v_dual_fmac_f32 v26, v33, v28 :: v_dual_and_b32 v35, 0xffff0000, v35
	v_fmac_f32_e32 v25, v35, v28
	s_wait_alu 0xfffe
	s_and_not1_b32 exec_lo, exec_lo, s7
	s_cbranch_execnz .LBB117_19
; %bb.20:
	s_or_b32 exec_lo, exec_lo, s7
.LBB117_21:
	s_wait_alu 0xfffe
	s_or_b32 exec_lo, exec_lo, s3
	s_delay_alu instid0(SALU_CYCLE_1)
	s_mov_b32 s7, exec_lo
	v_cmpx_lt_u64_e32 47, v[19:20]
	s_cbranch_execz .LBB117_25
; %bb.22:
	v_lshlrev_b64_e32 v[19:20], 3, v[15:16]
	s_mov_b32 s10, 0
	s_delay_alu instid0(VALU_DEP_1) | instskip(SKIP_1) | instid1(VALU_DEP_2)
	v_add_co_u32 v11, vcc_lo, s8, v19
	s_wait_alu 0xfffd
	v_add_co_ci_u32_e64 v20, null, s9, v20, vcc_lo
	s_delay_alu instid0(VALU_DEP_2) | instskip(SKIP_1) | instid1(VALU_DEP_2)
	v_add_co_u32 v19, vcc_lo, 0x100, v11
	s_wait_alu 0xfffd
	v_add_co_ci_u32_e64 v20, null, 0, v20, vcc_lo
.LBB117_23:                             ; =>This Inner Loop Header: Depth=1
	s_clause 0x3
	global_load_b64 v[56:57], v[19:20], off offset:-256
	global_load_b64 v[58:59], v[19:20], off offset:-128
	global_load_b64 v[60:61], v[19:20], off
	global_load_b64 v[62:63], v[19:20], off offset:128
	s_clause 0x7
	global_load_b128 v[21:24], v[17:18], off
	global_load_b128 v[28:31], v[17:18], off offset:16
	global_load_b128 v[32:35], v[17:18], off offset:512
	global_load_b128 v[36:39], v[17:18], off offset:528
	global_load_b128 v[40:43], v[17:18], off offset:1024
	global_load_b128 v[44:47], v[17:18], off offset:1040
	global_load_b128 v[48:51], v[17:18], off offset:1536
	global_load_b128 v[52:55], v[17:18], off offset:1552
	s_wait_loadcnt 0xb
	v_sub_co_u32 v56, vcc_lo, v56, v1
	s_wait_alu 0xfffd
	v_sub_co_ci_u32_e64 v57, null, v57, v2, vcc_lo
	s_wait_loadcnt 0xa
	v_sub_co_u32 v58, vcc_lo, v58, v1
	s_wait_alu 0xfffd
	v_sub_co_ci_u32_e64 v59, null, v59, v2, vcc_lo
	v_lshlrev_b64_e32 v[56:57], 3, v[56:57]
	s_wait_loadcnt 0x6
	v_lshlrev_b32_e32 v67, 16, v28
	s_wait_loadcnt 0x4
	v_lshlrev_b32_e32 v77, 16, v38
	v_lshlrev_b64_e32 v[58:59], 3, v[58:59]
	v_and_b32_e32 v38, 0xffff0000, v38
	s_wait_loadcnt 0x2
	v_lshlrev_b32_e32 v85, 16, v46
	s_wait_kmcnt 0x0
	v_add_co_u32 v56, vcc_lo, s4, v56
	s_wait_alu 0xfffd
	v_add_co_ci_u32_e64 v57, null, s5, v57, vcc_lo
	v_sub_co_u32 v60, vcc_lo, v60, v1
	s_wait_alu 0xfffd
	v_sub_co_ci_u32_e64 v61, null, v61, v2, vcc_lo
	global_load_b64 v[56:57], v[56:57], off
	v_add_co_u32 v58, vcc_lo, s4, v58
	s_wait_alu 0xfffd
	v_add_co_ci_u32_e64 v59, null, s5, v59, vcc_lo
	v_lshlrev_b64_e32 v[60:61], 3, v[60:61]
	v_sub_co_u32 v62, vcc_lo, v62, v1
	global_load_b64 v[58:59], v[58:59], off
	s_wait_alu 0xfffd
	v_sub_co_ci_u32_e64 v63, null, v63, v2, vcc_lo
	v_add_co_u32 v60, s3, s4, v60
	s_wait_alu 0xf1ff
	v_add_co_ci_u32_e64 v61, null, s5, v61, s3
	s_delay_alu instid0(VALU_DEP_3)
	v_lshlrev_b64_e32 v[62:63], 3, v[62:63]
	v_and_b32_e32 v46, 0xffff0000, v46
	s_wait_loadcnt 0x2
	v_lshlrev_b32_e32 v93, 16, v54
	global_load_b64 v[60:61], v[60:61], off
	v_and_b32_e32 v54, 0xffff0000, v54
	v_add_co_u32 v62, vcc_lo, s4, v62
	s_wait_alu 0xfffd
	v_add_co_ci_u32_e64 v63, null, s5, v63, vcc_lo
	v_add_co_u32 v17, vcc_lo, 0x800, v17
	s_wait_alu 0xfffd
	v_add_co_ci_u32_e64 v18, null, 0, v18, vcc_lo
	global_load_b64 v[62:63], v[62:63], off
	v_add_co_u32 v15, vcc_lo, v15, 64
	s_wait_alu 0xfffd
	v_add_co_ci_u32_e64 v16, null, 0, v16, vcc_lo
	v_add_co_u32 v19, vcc_lo, 0x200, v19
	s_wait_alu 0xfffd
	v_add_co_ci_u32_e64 v20, null, 0, v20, vcc_lo
	s_delay_alu instid0(VALU_DEP_3)
	v_cmp_ge_i64_e32 vcc_lo, v[15:16], v[7:8]
	s_wait_alu 0xfffe
	s_or_b32 s10, vcc_lo, s10
	s_wait_loadcnt 0x3
	v_lshlrev_b32_e32 v95, 16, v56
	v_lshlrev_b32_e32 v11, 16, v21
	v_and_b32_e32 v56, 0xffff0000, v56
	s_delay_alu instid0(VALU_DEP_3) | instskip(NEXT) | instid1(VALU_DEP_3)
	v_dual_fmac_f32 v26, v67, v95 :: v_dual_and_b32 v21, 0xffff0000, v21
	v_fmac_f32_e32 v12, v11, v95
	v_lshlrev_b32_e32 v65, 16, v23
	s_delay_alu instid0(VALU_DEP_2) | instskip(SKIP_2) | instid1(VALU_DEP_4)
	v_dual_fmac_f32 v12, v21, v56 :: v_dual_lshlrev_b32 v11, 16, v57
	v_and_b32_e32 v21, 0xffff0000, v57
	v_and_b32_e32 v28, 0xffff0000, v28
	v_dual_fmac_f32 v27, v65, v95 :: v_dual_lshlrev_b32 v64, 16, v22
	s_delay_alu instid0(VALU_DEP_2) | instskip(SKIP_1) | instid1(VALU_DEP_3)
	v_dual_fmac_f32 v26, v28, v56 :: v_dual_and_b32 v23, 0xffff0000, v23
	v_lshlrev_b32_e32 v68, 16, v29
	v_dual_fmac_f32 v12, v64, v11 :: v_dual_lshlrev_b32 v69, 16, v30
	s_delay_alu instid0(VALU_DEP_3) | instskip(NEXT) | instid1(VALU_DEP_3)
	v_fmac_f32_e32 v27, v23, v56
	v_dual_fmac_f32 v26, v68, v11 :: v_dual_and_b32 v29, 0xffff0000, v29
	s_delay_alu instid0(VALU_DEP_3) | instskip(SKIP_1) | instid1(VALU_DEP_3)
	v_dual_fmac_f32 v25, v69, v95 :: v_dual_and_b32 v22, 0xffff0000, v22
	v_lshlrev_b32_e32 v70, 16, v31
	v_dual_fmac_f32 v26, v29, v21 :: v_dual_and_b32 v31, 0xffff0000, v31
	v_and_b32_e32 v30, 0xffff0000, v30
	s_delay_alu instid0(VALU_DEP_4) | instskip(NEXT) | instid1(VALU_DEP_2)
	v_fmac_f32_e32 v12, v22, v21
	v_fmac_f32_e32 v25, v30, v56
	s_delay_alu instid0(VALU_DEP_1) | instskip(NEXT) | instid1(VALU_DEP_1)
	v_dual_fmac_f32 v25, v70, v11 :: v_dual_lshlrev_b32 v66, 16, v24
	v_dual_fmac_f32 v27, v66, v11 :: v_dual_and_b32 v24, 0xffff0000, v24
	s_wait_loadcnt 0x2
	v_lshlrev_b32_e32 v11, 16, v58
	s_delay_alu instid0(VALU_DEP_3) | instskip(SKIP_3) | instid1(VALU_DEP_4)
	v_fmac_f32_e32 v25, v31, v21
	v_lshlrev_b32_e32 v72, 16, v33
	v_fmac_f32_e32 v27, v24, v21
	v_and_b32_e32 v21, 0xffff0000, v58
	v_fmac_f32_e32 v25, v77, v11
	v_lshlrev_b32_e32 v75, 16, v36
	v_lshlrev_b32_e32 v71, 16, v32
	s_delay_alu instid0(VALU_DEP_2) | instskip(NEXT) | instid1(VALU_DEP_2)
	v_dual_fmac_f32 v25, v38, v21 :: v_dual_fmac_f32 v26, v75, v11
	v_dual_fmac_f32 v12, v71, v11 :: v_dual_and_b32 v33, 0xffff0000, v33
	v_lshlrev_b32_e32 v73, 16, v34
	v_and_b32_e32 v32, 0xffff0000, v32
	s_delay_alu instid0(VALU_DEP_2) | instskip(SKIP_1) | instid1(VALU_DEP_3)
	v_dual_fmac_f32 v27, v73, v11 :: v_dual_and_b32 v34, 0xffff0000, v34
	v_lshlrev_b32_e32 v74, 16, v35
	v_dual_fmac_f32 v12, v32, v21 :: v_dual_lshlrev_b32 v11, 16, v59
	s_delay_alu instid0(VALU_DEP_3) | instskip(NEXT) | instid1(VALU_DEP_2)
	v_dual_fmac_f32 v27, v34, v21 :: v_dual_and_b32 v36, 0xffff0000, v36
	v_fmac_f32_e32 v12, v72, v11
	s_delay_alu instid0(VALU_DEP_2) | instskip(NEXT) | instid1(VALU_DEP_3)
	v_fmac_f32_e32 v27, v74, v11
	v_dual_fmac_f32 v26, v36, v21 :: v_dual_and_b32 v35, 0xffff0000, v35
	v_and_b32_e32 v21, 0xffff0000, v59
	v_lshlrev_b32_e32 v78, 16, v39
	v_lshlrev_b32_e32 v76, 16, v37
	s_delay_alu instid0(VALU_DEP_2) | instskip(NEXT) | instid1(VALU_DEP_2)
	v_dual_fmac_f32 v12, v33, v21 :: v_dual_fmac_f32 v25, v78, v11
	v_dual_fmac_f32 v26, v76, v11 :: v_dual_and_b32 v37, 0xffff0000, v37
	v_and_b32_e32 v39, 0xffff0000, v39
	s_wait_loadcnt 0x1
	v_lshlrev_b32_e32 v11, 16, v60
	v_fmac_f32_e32 v27, v35, v21
	v_fmac_f32_e32 v26, v37, v21
	;; [unrolled: 1-line block ×3, first 2 shown]
	v_lshlrev_b32_e32 v80, 16, v41
	v_and_b32_e32 v21, 0xffff0000, v60
	s_delay_alu instid0(VALU_DEP_3) | instskip(SKIP_2) | instid1(VALU_DEP_2)
	v_fmac_f32_e32 v25, v85, v11
	v_lshlrev_b32_e32 v83, 16, v44
	v_lshlrev_b32_e32 v79, 16, v40
	v_dual_fmac_f32 v25, v46, v21 :: v_dual_fmac_f32 v26, v83, v11
	s_delay_alu instid0(VALU_DEP_2) | instskip(SKIP_2) | instid1(VALU_DEP_2)
	v_dual_fmac_f32 v12, v79, v11 :: v_dual_and_b32 v41, 0xffff0000, v41
	v_lshlrev_b32_e32 v81, 16, v42
	v_and_b32_e32 v40, 0xffff0000, v40
	v_dual_fmac_f32 v27, v81, v11 :: v_dual_and_b32 v42, 0xffff0000, v42
	v_lshlrev_b32_e32 v82, 16, v43
	v_lshlrev_b32_e32 v11, 16, v61
	s_delay_alu instid0(VALU_DEP_4) | instskip(NEXT) | instid1(VALU_DEP_4)
	v_fmac_f32_e32 v12, v40, v21
	v_dual_fmac_f32 v27, v42, v21 :: v_dual_and_b32 v44, 0xffff0000, v44
	s_delay_alu instid0(VALU_DEP_2) | instskip(NEXT) | instid1(VALU_DEP_2)
	v_fmac_f32_e32 v12, v80, v11
	v_fmac_f32_e32 v27, v82, v11
	s_delay_alu instid0(VALU_DEP_3) | instskip(SKIP_3) | instid1(VALU_DEP_2)
	v_dual_fmac_f32 v26, v44, v21 :: v_dual_and_b32 v43, 0xffff0000, v43
	v_and_b32_e32 v21, 0xffff0000, v61
	v_lshlrev_b32_e32 v86, 16, v47
	v_lshlrev_b32_e32 v84, 16, v45
	v_dual_fmac_f32 v12, v41, v21 :: v_dual_fmac_f32 v25, v86, v11
	s_delay_alu instid0(VALU_DEP_2)
	v_dual_fmac_f32 v26, v84, v11 :: v_dual_and_b32 v45, 0xffff0000, v45
	v_and_b32_e32 v47, 0xffff0000, v47
	s_wait_loadcnt 0x0
	v_lshlrev_b32_e32 v11, 16, v62
	v_fmac_f32_e32 v27, v43, v21
	v_fmac_f32_e32 v26, v45, v21
	;; [unrolled: 1-line block ×3, first 2 shown]
	v_lshlrev_b32_e32 v88, 16, v49
	v_and_b32_e32 v21, 0xffff0000, v62
	s_delay_alu instid0(VALU_DEP_3) | instskip(SKIP_2) | instid1(VALU_DEP_2)
	v_fmac_f32_e32 v25, v93, v11
	v_lshlrev_b32_e32 v91, 16, v52
	v_lshlrev_b32_e32 v87, 16, v48
	v_dual_fmac_f32 v25, v54, v21 :: v_dual_fmac_f32 v26, v91, v11
	s_delay_alu instid0(VALU_DEP_2) | instskip(SKIP_2) | instid1(VALU_DEP_2)
	v_dual_fmac_f32 v12, v87, v11 :: v_dual_and_b32 v49, 0xffff0000, v49
	v_lshlrev_b32_e32 v89, 16, v50
	v_and_b32_e32 v48, 0xffff0000, v48
	v_dual_fmac_f32 v27, v89, v11 :: v_dual_and_b32 v50, 0xffff0000, v50
	v_lshlrev_b32_e32 v90, 16, v51
	s_delay_alu instid0(VALU_DEP_3) | instskip(NEXT) | instid1(VALU_DEP_3)
	v_dual_fmac_f32 v12, v48, v21 :: v_dual_lshlrev_b32 v11, 16, v63
	v_dual_fmac_f32 v27, v50, v21 :: v_dual_and_b32 v52, 0xffff0000, v52
	s_delay_alu instid0(VALU_DEP_2) | instskip(NEXT) | instid1(VALU_DEP_2)
	v_fmac_f32_e32 v12, v88, v11
	v_fmac_f32_e32 v27, v90, v11
	s_delay_alu instid0(VALU_DEP_3) | instskip(SKIP_3) | instid1(VALU_DEP_2)
	v_dual_fmac_f32 v26, v52, v21 :: v_dual_and_b32 v51, 0xffff0000, v51
	v_and_b32_e32 v21, 0xffff0000, v63
	v_lshlrev_b32_e32 v94, 16, v55
	v_lshlrev_b32_e32 v92, 16, v53
	v_dual_fmac_f32 v12, v49, v21 :: v_dual_fmac_f32 v25, v94, v11
	s_delay_alu instid0(VALU_DEP_2) | instskip(SKIP_2) | instid1(VALU_DEP_3)
	v_dual_fmac_f32 v26, v92, v11 :: v_dual_and_b32 v53, 0xffff0000, v53
	v_and_b32_e32 v55, 0xffff0000, v55
	v_fmac_f32_e32 v27, v51, v21
	v_fmac_f32_e32 v26, v53, v21
	s_delay_alu instid0(VALU_DEP_3)
	v_fmac_f32_e32 v25, v55, v21
	s_wait_alu 0xfffe
	s_and_not1_b32 exec_lo, exec_lo, s10
	s_cbranch_execnz .LBB117_23
; %bb.24:
	s_or_b32 exec_lo, exec_lo, s10
.LBB117_25:
	s_wait_alu 0xfffe
	s_or_b32 exec_lo, exec_lo, s7
.LBB117_26:
	s_wait_alu 0xfffe
	s_or_b32 exec_lo, exec_lo, s6
	s_cbranch_execz .LBB117_28
	s_branch .LBB117_39
.LBB117_27:
                                        ; implicit-def: $vgpr25
                                        ; implicit-def: $vgpr26
                                        ; implicit-def: $vgpr27
                                        ; implicit-def: $vgpr12
.LBB117_28:
	v_dual_mov_b32 v25, 0 :: v_dual_mov_b32 v26, 0
	v_dual_mov_b32 v27, 0 :: v_dual_mov_b32 v12, 0
	s_and_saveexec_b32 s3, s2
	s_cbranch_execz .LBB117_38
; %bb.29:
	v_or_b32_e32 v11, 16, v0
	v_sub_co_u32 v15, s2, v1, v0
	s_wait_alu 0xf1ff
	v_subrev_co_ci_u32_e64 v16, null, 0, v2, s2
	s_delay_alu instid0(VALU_DEP_3)
	v_sub_co_u32 v11, vcc_lo, v11, v1
	s_wait_alu 0xfffd
	v_sub_co_ci_u32_e64 v12, null, 0, v2, vcc_lo
	s_mov_b32 s2, exec_lo
	v_add_co_u32 v11, vcc_lo, v11, v13
	s_wait_alu 0xfffd
	v_add_co_ci_u32_e64 v12, null, v12, v14, vcc_lo
	v_not_b32_e32 v13, v13
	v_not_b32_e32 v14, v14
	s_delay_alu instid0(VALU_DEP_3)
	v_cmp_gt_i64_e32 vcc_lo, v[11:12], v[7:8]
	s_wait_alu 0xfffd
	v_cndmask_b32_e32 v17, v8, v12, vcc_lo
	v_cndmask_b32_e32 v11, v7, v11, vcc_lo
	v_add_co_u32 v12, vcc_lo, v15, v13
	s_wait_alu 0xfffd
	v_add_co_ci_u32_e64 v14, null, v16, v14, vcc_lo
	s_delay_alu instid0(VALU_DEP_2) | instskip(SKIP_2) | instid1(VALU_DEP_3)
	v_add_co_u32 v13, vcc_lo, v12, v11
	v_mov_b32_e32 v12, 0
	s_wait_alu 0xfffd
	v_add_co_ci_u32_e64 v14, null, v14, v17, vcc_lo
	s_delay_alu instid0(VALU_DEP_3) | instskip(NEXT) | instid1(VALU_DEP_3)
	v_and_b32_e32 v11, 48, v13
	v_dual_mov_b32 v27, v12 :: v_dual_mov_b32 v26, v12
	v_mov_b32_e32 v25, v12
	s_delay_alu instid0(VALU_DEP_3)
	v_cmpx_ne_u64_e32 48, v[11:12]
	s_cbranch_execz .LBB117_33
; %bb.30:
	v_lshrrev_b32_e32 v11, 4, v13
	v_mov_b32_e32 v25, 0
	v_dual_mov_b32 v27, 0 :: v_dual_mov_b32 v26, 0
	s_delay_alu instid0(VALU_DEP_3) | instskip(SKIP_1) | instid1(VALU_DEP_2)
	v_add_nc_u32_e32 v15, 1, v11
	v_lshlrev_b64_e32 v[11:12], 3, v[5:6]
	v_and_b32_e32 v17, 3, v15
	s_delay_alu instid0(VALU_DEP_2) | instskip(SKIP_1) | instid1(VALU_DEP_3)
	v_add_co_u32 v15, vcc_lo, s8, v11
	s_wait_alu 0xfffd
	v_add_co_ci_u32_e64 v16, null, s9, v12, vcc_lo
	s_delay_alu instid0(VALU_DEP_3)
	v_sub_co_u32 v17, s6, 0, v17
	s_wait_alu 0xf1ff
	v_sub_co_ci_u32_e64 v18, null, 0, 0, s6
	v_mov_b32_e32 v12, 0
	s_mov_b32 s6, 0
.LBB117_31:                             ; =>This Inner Loop Header: Depth=1
	global_load_b64 v[23:24], v[15:16], off
	global_load_b128 v[19:22], v[9:10], off
	s_wait_loadcnt 0x1
	v_sub_co_u32 v23, vcc_lo, v23, v1
	s_wait_alu 0xfffd
	v_sub_co_ci_u32_e64 v24, null, v24, v2, vcc_lo
	s_wait_loadcnt 0x0
	v_lshlrev_b32_e32 v11, 16, v19
	v_and_b32_e32 v19, 0xffff0000, v19
	s_delay_alu instid0(VALU_DEP_3) | instskip(SKIP_1) | instid1(VALU_DEP_1)
	v_lshlrev_b64_e32 v[23:24], 3, v[23:24]
	s_wait_kmcnt 0x0
	v_add_co_u32 v23, vcc_lo, s4, v23
	s_wait_alu 0xfffd
	s_delay_alu instid0(VALU_DEP_2)
	v_add_co_ci_u32_e64 v24, null, s5, v24, vcc_lo
	global_load_b64 v[23:24], v[23:24], off
	global_load_b128 v[28:31], v[9:10], off offset:16
	v_add_co_u32 v9, vcc_lo, 0x200, v9
	s_wait_alu 0xfffd
	v_add_co_ci_u32_e64 v10, null, 0, v10, vcc_lo
	v_add_co_u32 v5, vcc_lo, v5, 16
	s_wait_alu 0xfffd
	v_add_co_ci_u32_e64 v6, null, 0, v6, vcc_lo
	v_add_co_u32 v15, vcc_lo, 0x80, v15
	s_wait_alu 0xfffd
	v_add_co_ci_u32_e64 v16, null, 0, v16, vcc_lo
	v_add_co_u32 v17, vcc_lo, v17, 1
	s_wait_alu 0xfffd
	v_add_co_ci_u32_e64 v18, null, 0, v18, vcc_lo
	s_delay_alu instid0(VALU_DEP_1)
	v_cmp_eq_u64_e32 vcc_lo, 0, v[17:18]
	s_wait_alu 0xfffe
	s_or_b32 s6, vcc_lo, s6
	s_wait_loadcnt 0x1
	v_lshlrev_b32_e32 v39, 16, v23
	v_lshlrev_b32_e32 v33, 16, v21
	v_and_b32_e32 v23, 0xffff0000, v23
	v_lshlrev_b32_e32 v32, 16, v20
	s_wait_loadcnt 0x0
	v_lshlrev_b32_e32 v38, 16, v31
	v_dual_fmac_f32 v12, v11, v39 :: v_dual_lshlrev_b32 v35, 16, v28
	v_fmac_f32_e32 v27, v19, v39
	v_and_b32_e32 v19, 0xffff0000, v24
	s_delay_alu instid0(VALU_DEP_3) | instskip(SKIP_2) | instid1(VALU_DEP_3)
	v_dual_fmac_f32 v12, v33, v23 :: v_dual_lshlrev_b32 v11, 16, v24
	v_dual_fmac_f32 v26, v32, v39 :: v_dual_and_b32 v21, 0xffff0000, v21
	v_and_b32_e32 v20, 0xffff0000, v20
	v_dual_fmac_f32 v12, v35, v11 :: v_dual_lshlrev_b32 v37, 16, v30
	s_delay_alu instid0(VALU_DEP_3) | instskip(NEXT) | instid1(VALU_DEP_3)
	v_dual_fmac_f32 v27, v21, v23 :: v_dual_lshlrev_b32 v34, 16, v22
	v_dual_fmac_f32 v25, v20, v39 :: v_dual_and_b32 v28, 0xffff0000, v28
	s_delay_alu instid0(VALU_DEP_3) | instskip(SKIP_4) | instid1(VALU_DEP_4)
	v_fmac_f32_e32 v12, v37, v19
	v_and_b32_e32 v22, 0xffff0000, v22
	v_and_b32_e32 v31, 0xffff0000, v31
	v_fmac_f32_e32 v26, v34, v23
	v_fmac_f32_e32 v27, v28, v11
	v_dual_fmac_f32 v25, v22, v23 :: v_dual_lshlrev_b32 v36, 16, v29
	v_and_b32_e32 v29, 0xffff0000, v29
	s_delay_alu instid0(VALU_DEP_1) | instskip(NEXT) | instid1(VALU_DEP_3)
	v_fmac_f32_e32 v25, v29, v11
	v_fmac_f32_e32 v26, v36, v11
	s_delay_alu instid0(VALU_DEP_2) | instskip(NEXT) | instid1(VALU_DEP_2)
	v_dual_fmac_f32 v25, v31, v19 :: v_dual_and_b32 v30, 0xffff0000, v30
	v_fmac_f32_e32 v26, v38, v19
	s_delay_alu instid0(VALU_DEP_2)
	v_fmac_f32_e32 v27, v30, v19
	s_wait_alu 0xfffe
	s_and_not1_b32 exec_lo, exec_lo, s6
	s_cbranch_execnz .LBB117_31
; %bb.32:
	s_or_b32 exec_lo, exec_lo, s6
.LBB117_33:
	s_wait_alu 0xfffe
	s_or_b32 exec_lo, exec_lo, s2
	s_delay_alu instid0(SALU_CYCLE_1)
	s_mov_b32 s2, exec_lo
	v_cmpx_lt_u64_e32 47, v[13:14]
	s_cbranch_execz .LBB117_37
; %bb.34:
	v_lshlrev_b64_e32 v[13:14], 3, v[5:6]
	s_mov_b32 s6, 0
	s_delay_alu instid0(VALU_DEP_1) | instskip(SKIP_1) | instid1(VALU_DEP_2)
	v_add_co_u32 v11, vcc_lo, s8, v13
	s_wait_alu 0xfffd
	v_add_co_ci_u32_e64 v14, null, s9, v14, vcc_lo
	s_delay_alu instid0(VALU_DEP_2) | instskip(SKIP_1) | instid1(VALU_DEP_2)
	v_add_co_u32 v13, vcc_lo, 0x100, v11
	s_wait_alu 0xfffd
	v_add_co_ci_u32_e64 v14, null, 0, v14, vcc_lo
.LBB117_35:                             ; =>This Inner Loop Header: Depth=1
	s_clause 0x3
	global_load_b64 v[23:24], v[13:14], off offset:-256
	global_load_b64 v[48:49], v[13:14], off offset:-128
	global_load_b64 v[50:51], v[13:14], off
	global_load_b64 v[52:53], v[13:14], off offset:128
	s_clause 0x6
	global_load_b128 v[15:18], v[9:10], off
	global_load_b128 v[19:22], v[9:10], off offset:16
	global_load_b128 v[28:31], v[9:10], off offset:512
	;; [unrolled: 1-line block ×6, first 2 shown]
	s_wait_loadcnt 0xa
	v_sub_co_u32 v23, vcc_lo, v23, v1
	s_wait_alu 0xfffd
	v_sub_co_ci_u32_e64 v24, null, v24, v2, vcc_lo
	s_wait_loadcnt 0x9
	v_sub_co_u32 v48, vcc_lo, v48, v1
	s_wait_alu 0xfffd
	v_sub_co_ci_u32_e64 v49, null, v49, v2, vcc_lo
	;; [unrolled: 4-line block ×3, first 2 shown]
	s_wait_loadcnt 0x7
	v_sub_co_u32 v52, vcc_lo, v52, v1
	v_lshlrev_b64_e32 v[23:24], 3, v[23:24]
	s_wait_alu 0xfffd
	v_sub_co_ci_u32_e64 v53, null, v53, v2, vcc_lo
	v_lshlrev_b64_e32 v[48:49], 3, v[48:49]
	v_lshlrev_b64_e32 v[50:51], 3, v[50:51]
	s_wait_loadcnt 0x5
	v_lshlrev_b32_e32 v61, 16, v19
	v_lshlrev_b64_e32 v[52:53], 3, v[52:53]
	s_wait_kmcnt 0x0
	v_add_co_u32 v23, vcc_lo, s4, v23
	s_wait_alu 0xfffd
	v_add_co_ci_u32_e64 v24, null, s5, v24, vcc_lo
	v_add_co_u32 v48, vcc_lo, s4, v48
	s_wait_alu 0xfffd
	v_add_co_ci_u32_e64 v49, null, s5, v49, vcc_lo
	v_add_co_u32 v50, vcc_lo, s4, v50
	s_wait_alu 0xfffd
	v_add_co_ci_u32_e64 v51, null, s5, v51, vcc_lo
	v_add_co_u32 v52, vcc_lo, s4, v52
	s_wait_alu 0xfffd
	v_add_co_ci_u32_e64 v53, null, s5, v53, vcc_lo
	s_clause 0x3
	global_load_b64 v[23:24], v[23:24], off
	global_load_b64 v[54:55], v[48:49], off
	;; [unrolled: 1-line block ×4, first 2 shown]
	global_load_b128 v[48:51], v[9:10], off offset:1552
	v_and_b32_e32 v19, 0xffff0000, v19
	s_wait_loadcnt 0x5
	v_lshlrev_b32_e32 v84, 16, v47
	v_lshlrev_b32_e32 v68, 16, v31
	v_and_b32_e32 v31, 0xffff0000, v31
	v_lshlrev_b32_e32 v72, 16, v35
	v_and_b32_e32 v35, 0xffff0000, v35
	;; [unrolled: 2-line block ×4, first 2 shown]
	v_and_b32_e32 v47, 0xffff0000, v47
	v_add_co_u32 v9, vcc_lo, 0x800, v9
	s_wait_alu 0xfffd
	v_add_co_ci_u32_e64 v10, null, 0, v10, vcc_lo
	v_add_co_u32 v5, vcc_lo, v5, 64
	s_wait_alu 0xfffd
	v_add_co_ci_u32_e64 v6, null, 0, v6, vcc_lo
	;; [unrolled: 3-line block ×3, first 2 shown]
	s_delay_alu instid0(VALU_DEP_3)
	v_cmp_ge_i64_e32 vcc_lo, v[5:6], v[7:8]
	s_wait_alu 0xfffe
	s_or_b32 s6, vcc_lo, s6
	s_wait_loadcnt 0x4
	v_lshlrev_b32_e32 v89, 16, v23
	v_lshlrev_b32_e32 v58, 16, v16
	;; [unrolled: 1-line block ×4, first 2 shown]
	v_and_b32_e32 v23, 0xffff0000, v23
	s_wait_loadcnt 0x0
	v_lshlrev_b32_e32 v88, 16, v51
	v_dual_fmac_f32 v26, v58, v89 :: v_dual_and_b32 v15, 0xffff0000, v15
	v_fmac_f32_e32 v12, v11, v89
	v_lshlrev_b32_e32 v59, 16, v17
	s_delay_alu instid0(VALU_DEP_3) | instskip(SKIP_2) | instid1(VALU_DEP_4)
	v_dual_fmac_f32 v26, v60, v23 :: v_dual_lshlrev_b32 v11, 16, v24
	v_and_b32_e32 v17, 0xffff0000, v17
	v_fmac_f32_e32 v27, v15, v89
	v_fmac_f32_e32 v12, v59, v23
	v_and_b32_e32 v16, 0xffff0000, v16
	v_lshlrev_b32_e32 v63, 16, v21
	v_and_b32_e32 v15, 0xffff0000, v24
	v_dual_fmac_f32 v27, v17, v23 :: v_dual_and_b32 v18, 0xffff0000, v18
	s_delay_alu instid0(VALU_DEP_4) | instskip(SKIP_1) | instid1(VALU_DEP_3)
	v_dual_fmac_f32 v25, v16, v89 :: v_dual_fmac_f32 v12, v61, v11
	v_lshlrev_b32_e32 v65, 16, v28
	v_dual_fmac_f32 v27, v19, v11 :: v_dual_lshlrev_b32 v62, 16, v20
	s_delay_alu instid0(VALU_DEP_3) | instskip(NEXT) | instid1(VALU_DEP_4)
	v_fmac_f32_e32 v25, v18, v23
	v_dual_fmac_f32 v12, v63, v15 :: v_dual_and_b32 v21, 0xffff0000, v21
	v_and_b32_e32 v51, 0xffff0000, v51
	s_delay_alu instid0(VALU_DEP_4) | instskip(NEXT) | instid1(VALU_DEP_3)
	v_fmac_f32_e32 v26, v62, v11
	v_dual_fmac_f32 v27, v21, v15 :: v_dual_and_b32 v20, 0xffff0000, v20
	s_delay_alu instid0(VALU_DEP_1) | instskip(SKIP_3) | instid1(VALU_DEP_4)
	v_dual_fmac_f32 v25, v20, v11 :: v_dual_lshlrev_b32 v64, 16, v22
	v_and_b32_e32 v28, 0xffff0000, v28
	v_lshlrev_b32_e32 v11, 16, v54
	v_and_b32_e32 v22, 0xffff0000, v22
	v_dual_fmac_f32 v26, v64, v15 :: v_dual_lshlrev_b32 v67, 16, v30
	s_delay_alu instid0(VALU_DEP_3) | instskip(SKIP_1) | instid1(VALU_DEP_4)
	v_fmac_f32_e32 v12, v65, v11
	v_fmac_f32_e32 v27, v28, v11
	v_dual_fmac_f32 v25, v22, v15 :: v_dual_lshlrev_b32 v66, 16, v29
	v_and_b32_e32 v29, 0xffff0000, v29
	v_and_b32_e32 v15, 0xffff0000, v54
	s_delay_alu instid0(VALU_DEP_2) | instskip(NEXT) | instid1(VALU_DEP_4)
	v_dual_fmac_f32 v25, v29, v11 :: v_dual_and_b32 v30, 0xffff0000, v30
	v_dual_fmac_f32 v26, v66, v11 :: v_dual_lshlrev_b32 v69, 16, v32
	v_lshlrev_b32_e32 v71, 16, v34
	v_lshlrev_b32_e32 v11, 16, v55
	v_fmac_f32_e32 v12, v67, v15
	v_dual_fmac_f32 v25, v31, v15 :: v_dual_and_b32 v32, 0xffff0000, v32
	v_dual_fmac_f32 v27, v30, v15 :: v_dual_lshlrev_b32 v70, 16, v33
	v_dual_fmac_f32 v26, v68, v15 :: v_dual_and_b32 v33, 0xffff0000, v33
	v_and_b32_e32 v34, 0xffff0000, v34
	v_dual_fmac_f32 v12, v69, v11 :: v_dual_lshlrev_b32 v73, 16, v36
	v_and_b32_e32 v15, 0xffff0000, v55
	v_fmac_f32_e32 v27, v32, v11
	v_fmac_f32_e32 v26, v70, v11
	v_dual_fmac_f32 v25, v33, v11 :: v_dual_lshlrev_b32 v74, 16, v37
	v_and_b32_e32 v37, 0xffff0000, v37
	s_delay_alu instid0(VALU_DEP_4)
	v_dual_fmac_f32 v27, v34, v15 :: v_dual_and_b32 v36, 0xffff0000, v36
	v_dual_fmac_f32 v12, v71, v15 :: v_dual_lshlrev_b32 v75, 16, v38
	v_dual_fmac_f32 v26, v72, v15 :: v_dual_lshlrev_b32 v77, 16, v40
	v_lshlrev_b32_e32 v11, 16, v56
	v_dual_fmac_f32 v25, v35, v15 :: v_dual_and_b32 v38, 0xffff0000, v38
	v_and_b32_e32 v40, 0xffff0000, v40
	s_delay_alu instid0(VALU_DEP_3) | instskip(SKIP_4) | instid1(VALU_DEP_4)
	v_dual_fmac_f32 v26, v74, v11 :: v_dual_lshlrev_b32 v79, 16, v42
	v_dual_fmac_f32 v12, v73, v11 :: v_dual_and_b32 v15, 0xffff0000, v56
	v_dual_fmac_f32 v27, v36, v11 :: v_dual_lshlrev_b32 v78, 16, v41
	v_and_b32_e32 v41, 0xffff0000, v41
	v_dual_fmac_f32 v25, v37, v11 :: v_dual_and_b32 v42, 0xffff0000, v42
	v_dual_fmac_f32 v12, v75, v15 :: v_dual_lshlrev_b32 v81, 16, v44
	v_lshlrev_b32_e32 v11, 16, v57
	v_fmac_f32_e32 v27, v38, v15
	v_fmac_f32_e32 v26, v76, v15
	v_dual_fmac_f32 v25, v39, v15 :: v_dual_lshlrev_b32 v82, 16, v45
	v_and_b32_e32 v45, 0xffff0000, v45
	s_delay_alu instid0(VALU_DEP_4)
	v_dual_fmac_f32 v27, v40, v11 :: v_dual_and_b32 v44, 0xffff0000, v44
	v_dual_fmac_f32 v12, v77, v11 :: v_dual_lshlrev_b32 v83, 16, v46
	v_dual_fmac_f32 v26, v78, v11 :: v_dual_lshlrev_b32 v85, 16, v48
	v_and_b32_e32 v15, 0xffff0000, v57
	v_dual_fmac_f32 v25, v41, v11 :: v_dual_and_b32 v46, 0xffff0000, v46
	v_and_b32_e32 v48, 0xffff0000, v48
	s_delay_alu instid0(VALU_DEP_3) | instskip(SKIP_4) | instid1(VALU_DEP_4)
	v_dual_fmac_f32 v26, v80, v15 :: v_dual_lshlrev_b32 v87, 16, v50
	v_dual_fmac_f32 v12, v79, v15 :: v_dual_lshlrev_b32 v11, 16, v52
	;; [unrolled: 1-line block ×3, first 2 shown]
	v_and_b32_e32 v49, 0xffff0000, v49
	v_dual_fmac_f32 v25, v43, v15 :: v_dual_and_b32 v50, 0xffff0000, v50
	v_dual_fmac_f32 v12, v81, v11 :: v_dual_and_b32 v15, 0xffff0000, v52
	s_delay_alu instid0(VALU_DEP_4) | instskip(SKIP_1) | instid1(VALU_DEP_4)
	v_fmac_f32_e32 v27, v44, v11
	v_fmac_f32_e32 v26, v82, v11
	;; [unrolled: 1-line block ×3, first 2 shown]
	s_delay_alu instid0(VALU_DEP_4) | instskip(NEXT) | instid1(VALU_DEP_4)
	v_dual_fmac_f32 v12, v83, v15 :: v_dual_lshlrev_b32 v11, 16, v53
	v_fmac_f32_e32 v27, v46, v15
	s_delay_alu instid0(VALU_DEP_4) | instskip(NEXT) | instid1(VALU_DEP_4)
	v_fmac_f32_e32 v26, v84, v15
	v_fmac_f32_e32 v25, v47, v15
	s_delay_alu instid0(VALU_DEP_4) | instskip(NEXT) | instid1(VALU_DEP_4)
	v_dual_fmac_f32 v12, v85, v11 :: v_dual_and_b32 v15, 0xffff0000, v53
	v_fmac_f32_e32 v27, v48, v11
	s_delay_alu instid0(VALU_DEP_4) | instskip(NEXT) | instid1(VALU_DEP_4)
	v_fmac_f32_e32 v26, v86, v11
	v_fmac_f32_e32 v25, v49, v11
	s_delay_alu instid0(VALU_DEP_4) | instskip(NEXT) | instid1(VALU_DEP_4)
	v_fmac_f32_e32 v12, v87, v15
	;; [unrolled: 3-line block ×3, first 2 shown]
	v_fmac_f32_e32 v25, v51, v15
	s_wait_alu 0xfffe
	s_and_not1_b32 exec_lo, exec_lo, s6
	s_cbranch_execnz .LBB117_35
; %bb.36:
	s_or_b32 exec_lo, exec_lo, s6
.LBB117_37:
	s_wait_alu 0xfffe
	s_or_b32 exec_lo, exec_lo, s2
.LBB117_38:
	s_wait_alu 0xfffe
	s_or_b32 exec_lo, exec_lo, s3
.LBB117_39:
	v_mbcnt_lo_u32_b32 v1, -1, 0
	s_mov_b32 s2, -1
	s_delay_alu instid0(VALU_DEP_1) | instskip(SKIP_1) | instid1(VALU_DEP_2)
	v_xor_b32_e32 v2, 8, v1
	v_xor_b32_e32 v8, 4, v1
	v_cmp_gt_i32_e32 vcc_lo, 32, v2
	s_wait_alu 0xfffd
	v_cndmask_b32_e32 v2, v1, v2, vcc_lo
	s_delay_alu instid0(VALU_DEP_3) | instskip(NEXT) | instid1(VALU_DEP_2)
	v_cmp_gt_i32_e32 vcc_lo, 32, v8
	v_lshlrev_b32_e32 v2, 2, v2
	ds_bpermute_b32 v7, v2, v26
	s_wait_dscnt 0x0
	v_add_f32_e32 v7, v26, v7
	ds_bpermute_b32 v5, v2, v12
	s_wait_alu 0xfffd
	v_cndmask_b32_e32 v8, v1, v8, vcc_lo
	ds_bpermute_b32 v6, v2, v27
	ds_bpermute_b32 v2, v2, v25
	s_wait_dscnt 0x2
	v_dual_add_f32 v5, v12, v5 :: v_dual_lshlrev_b32 v8, 2, v8
	s_wait_dscnt 0x1
	v_add_f32_e32 v6, v27, v6
	s_wait_dscnt 0x0
	v_add_f32_e32 v2, v25, v2
	v_xor_b32_e32 v12, 2, v1
	ds_bpermute_b32 v9, v8, v5
	v_cmp_gt_i32_e32 vcc_lo, 32, v12
	s_wait_dscnt 0x0
	v_add_f32_e32 v5, v5, v9
	ds_bpermute_b32 v11, v8, v7
	ds_bpermute_b32 v10, v8, v6
	;; [unrolled: 1-line block ×3, first 2 shown]
	s_wait_dscnt 0x2
	s_wait_alu 0xfffd
	v_dual_add_f32 v7, v7, v11 :: v_dual_cndmask_b32 v12, v1, v12
	s_wait_dscnt 0x1
	v_add_f32_e32 v6, v6, v10
	s_wait_dscnt 0x0
	v_add_f32_e32 v8, v2, v8
	v_lshlrev_b32_e32 v12, 2, v12
	ds_bpermute_b32 v2, v12, v5
	ds_bpermute_b32 v9, v12, v6
	;; [unrolled: 1-line block ×4, first 2 shown]
	v_xor_b32_e32 v12, 1, v1
	s_delay_alu instid0(VALU_DEP_1) | instskip(SKIP_4) | instid1(VALU_DEP_2)
	v_cmp_gt_i32_e32 vcc_lo, 32, v12
	s_wait_alu 0xfffd
	v_cndmask_b32_e32 v1, v1, v12, vcc_lo
	v_cmp_eq_u32_e32 vcc_lo, 15, v0
	s_wait_dscnt 0x3
	v_dual_add_f32 v1, v5, v2 :: v_dual_lshlrev_b32 v12, 2, v1
	s_wait_dscnt 0x1
	v_dual_add_f32 v2, v6, v9 :: v_dual_add_f32 v5, v7, v10
	s_wait_dscnt 0x0
	v_add_f32_e32 v6, v8, v11
	ds_bpermute_b32 v7, v12, v1
	ds_bpermute_b32 v8, v12, v2
	;; [unrolled: 1-line block ×4, first 2 shown]
	s_and_b32 exec_lo, exec_lo, vcc_lo
	s_cbranch_execz .LBB117_10
; %bb.40:
	s_load_b64 s[0:1], s[0:1], 0x58
	s_wait_dscnt 0x2
	v_dual_add_f32 v0, v1, v7 :: v_dual_add_f32 v1, v2, v8
	s_wait_dscnt 0x0
	v_add_f32_e32 v6, v6, v10
	s_cmp_eq_f32 s16, 0
	s_delay_alu instid0(VALU_DEP_2) | instskip(SKIP_3) | instid1(VALU_DEP_3)
	v_dual_mul_f32 v0, s12, v0 :: v_dual_mul_f32 v1, s12, v1
	v_add_f32_e32 v2, v5, v9
	v_lshlrev_b64_e32 v[4:5], 4, v[3:4]
	v_mul_f32_e32 v3, s12, v6
	v_mul_f32_e32 v2, s12, v2
	s_cbranch_scc0 .LBB117_42
; %bb.41:
	s_wait_kmcnt 0x0
	s_delay_alu instid0(VALU_DEP_3)
	v_add_co_u32 v6, vcc_lo, s0, v4
	s_wait_alu 0xfffd
	v_add_co_ci_u32_e64 v7, null, s1, v5, vcc_lo
	s_mov_b32 s2, 0
	global_store_b128 v[6:7], v[0:3], off
.LBB117_42:
	s_wait_alu 0xfffe
	s_and_not1_b32 vcc_lo, exec_lo, s2
	s_wait_alu 0xfffe
	s_cbranch_vccnz .LBB117_10
; %bb.43:
	s_wait_kmcnt 0x0
	v_add_co_u32 v8, vcc_lo, s0, v4
	s_wait_alu 0xfffd
	v_add_co_ci_u32_e64 v9, null, s1, v5, vcc_lo
	global_load_b128 v[4:7], v[8:9], off
	s_wait_loadcnt 0x0
	v_dual_fmac_f32 v0, s16, v4 :: v_dual_fmac_f32 v1, s16, v5
	v_dual_fmac_f32 v2, s16, v6 :: v_dual_fmac_f32 v3, s16, v7
	global_store_b128 v[8:9], v[0:3], off
	s_endpgm
	.section	.rodata,"a",@progbits
	.p2align	6, 0x0
	.amdhsa_kernel _ZN9rocsparseL18bsrxmvn_4x4_kernelILj128ELj16Efll18rocsparse_bfloat16S1_fEEvT3_20rocsparse_direction_NS_24const_host_device_scalarIT1_EES2_PKS2_PKT2_SB_S8_PKT4_PKT5_S6_PT6_21rocsparse_index_base_b
		.amdhsa_group_segment_fixed_size 0
		.amdhsa_private_segment_fixed_size 0
		.amdhsa_kernarg_size 104
		.amdhsa_user_sgpr_count 2
		.amdhsa_user_sgpr_dispatch_ptr 0
		.amdhsa_user_sgpr_queue_ptr 0
		.amdhsa_user_sgpr_kernarg_segment_ptr 1
		.amdhsa_user_sgpr_dispatch_id 0
		.amdhsa_user_sgpr_private_segment_size 0
		.amdhsa_wavefront_size32 1
		.amdhsa_uses_dynamic_stack 0
		.amdhsa_enable_private_segment 0
		.amdhsa_system_sgpr_workgroup_id_x 1
		.amdhsa_system_sgpr_workgroup_id_y 0
		.amdhsa_system_sgpr_workgroup_id_z 0
		.amdhsa_system_sgpr_workgroup_info 0
		.amdhsa_system_vgpr_workitem_id 0
		.amdhsa_next_free_vgpr 96
		.amdhsa_next_free_sgpr 18
		.amdhsa_reserve_vcc 1
		.amdhsa_float_round_mode_32 0
		.amdhsa_float_round_mode_16_64 0
		.amdhsa_float_denorm_mode_32 3
		.amdhsa_float_denorm_mode_16_64 3
		.amdhsa_fp16_overflow 0
		.amdhsa_workgroup_processor_mode 1
		.amdhsa_memory_ordered 1
		.amdhsa_forward_progress 1
		.amdhsa_inst_pref_size 44
		.amdhsa_round_robin_scheduling 0
		.amdhsa_exception_fp_ieee_invalid_op 0
		.amdhsa_exception_fp_denorm_src 0
		.amdhsa_exception_fp_ieee_div_zero 0
		.amdhsa_exception_fp_ieee_overflow 0
		.amdhsa_exception_fp_ieee_underflow 0
		.amdhsa_exception_fp_ieee_inexact 0
		.amdhsa_exception_int_div_zero 0
	.end_amdhsa_kernel
	.section	.text._ZN9rocsparseL18bsrxmvn_4x4_kernelILj128ELj16Efll18rocsparse_bfloat16S1_fEEvT3_20rocsparse_direction_NS_24const_host_device_scalarIT1_EES2_PKS2_PKT2_SB_S8_PKT4_PKT5_S6_PT6_21rocsparse_index_base_b,"axG",@progbits,_ZN9rocsparseL18bsrxmvn_4x4_kernelILj128ELj16Efll18rocsparse_bfloat16S1_fEEvT3_20rocsparse_direction_NS_24const_host_device_scalarIT1_EES2_PKS2_PKT2_SB_S8_PKT4_PKT5_S6_PT6_21rocsparse_index_base_b,comdat
.Lfunc_end117:
	.size	_ZN9rocsparseL18bsrxmvn_4x4_kernelILj128ELj16Efll18rocsparse_bfloat16S1_fEEvT3_20rocsparse_direction_NS_24const_host_device_scalarIT1_EES2_PKS2_PKT2_SB_S8_PKT4_PKT5_S6_PT6_21rocsparse_index_base_b, .Lfunc_end117-_ZN9rocsparseL18bsrxmvn_4x4_kernelILj128ELj16Efll18rocsparse_bfloat16S1_fEEvT3_20rocsparse_direction_NS_24const_host_device_scalarIT1_EES2_PKS2_PKT2_SB_S8_PKT4_PKT5_S6_PT6_21rocsparse_index_base_b
                                        ; -- End function
	.set _ZN9rocsparseL18bsrxmvn_4x4_kernelILj128ELj16Efll18rocsparse_bfloat16S1_fEEvT3_20rocsparse_direction_NS_24const_host_device_scalarIT1_EES2_PKS2_PKT2_SB_S8_PKT4_PKT5_S6_PT6_21rocsparse_index_base_b.num_vgpr, 96
	.set _ZN9rocsparseL18bsrxmvn_4x4_kernelILj128ELj16Efll18rocsparse_bfloat16S1_fEEvT3_20rocsparse_direction_NS_24const_host_device_scalarIT1_EES2_PKS2_PKT2_SB_S8_PKT4_PKT5_S6_PT6_21rocsparse_index_base_b.num_agpr, 0
	.set _ZN9rocsparseL18bsrxmvn_4x4_kernelILj128ELj16Efll18rocsparse_bfloat16S1_fEEvT3_20rocsparse_direction_NS_24const_host_device_scalarIT1_EES2_PKS2_PKT2_SB_S8_PKT4_PKT5_S6_PT6_21rocsparse_index_base_b.numbered_sgpr, 18
	.set _ZN9rocsparseL18bsrxmvn_4x4_kernelILj128ELj16Efll18rocsparse_bfloat16S1_fEEvT3_20rocsparse_direction_NS_24const_host_device_scalarIT1_EES2_PKS2_PKT2_SB_S8_PKT4_PKT5_S6_PT6_21rocsparse_index_base_b.num_named_barrier, 0
	.set _ZN9rocsparseL18bsrxmvn_4x4_kernelILj128ELj16Efll18rocsparse_bfloat16S1_fEEvT3_20rocsparse_direction_NS_24const_host_device_scalarIT1_EES2_PKS2_PKT2_SB_S8_PKT4_PKT5_S6_PT6_21rocsparse_index_base_b.private_seg_size, 0
	.set _ZN9rocsparseL18bsrxmvn_4x4_kernelILj128ELj16Efll18rocsparse_bfloat16S1_fEEvT3_20rocsparse_direction_NS_24const_host_device_scalarIT1_EES2_PKS2_PKT2_SB_S8_PKT4_PKT5_S6_PT6_21rocsparse_index_base_b.uses_vcc, 1
	.set _ZN9rocsparseL18bsrxmvn_4x4_kernelILj128ELj16Efll18rocsparse_bfloat16S1_fEEvT3_20rocsparse_direction_NS_24const_host_device_scalarIT1_EES2_PKS2_PKT2_SB_S8_PKT4_PKT5_S6_PT6_21rocsparse_index_base_b.uses_flat_scratch, 0
	.set _ZN9rocsparseL18bsrxmvn_4x4_kernelILj128ELj16Efll18rocsparse_bfloat16S1_fEEvT3_20rocsparse_direction_NS_24const_host_device_scalarIT1_EES2_PKS2_PKT2_SB_S8_PKT4_PKT5_S6_PT6_21rocsparse_index_base_b.has_dyn_sized_stack, 0
	.set _ZN9rocsparseL18bsrxmvn_4x4_kernelILj128ELj16Efll18rocsparse_bfloat16S1_fEEvT3_20rocsparse_direction_NS_24const_host_device_scalarIT1_EES2_PKS2_PKT2_SB_S8_PKT4_PKT5_S6_PT6_21rocsparse_index_base_b.has_recursion, 0
	.set _ZN9rocsparseL18bsrxmvn_4x4_kernelILj128ELj16Efll18rocsparse_bfloat16S1_fEEvT3_20rocsparse_direction_NS_24const_host_device_scalarIT1_EES2_PKS2_PKT2_SB_S8_PKT4_PKT5_S6_PT6_21rocsparse_index_base_b.has_indirect_call, 0
	.section	.AMDGPU.csdata,"",@progbits
; Kernel info:
; codeLenInByte = 5540
; TotalNumSgprs: 20
; NumVgprs: 96
; ScratchSize: 0
; MemoryBound: 0
; FloatMode: 240
; IeeeMode: 1
; LDSByteSize: 0 bytes/workgroup (compile time only)
; SGPRBlocks: 0
; VGPRBlocks: 11
; NumSGPRsForWavesPerEU: 20
; NumVGPRsForWavesPerEU: 96
; Occupancy: 16
; WaveLimiterHint : 1
; COMPUTE_PGM_RSRC2:SCRATCH_EN: 0
; COMPUTE_PGM_RSRC2:USER_SGPR: 2
; COMPUTE_PGM_RSRC2:TRAP_HANDLER: 0
; COMPUTE_PGM_RSRC2:TGID_X_EN: 1
; COMPUTE_PGM_RSRC2:TGID_Y_EN: 0
; COMPUTE_PGM_RSRC2:TGID_Z_EN: 0
; COMPUTE_PGM_RSRC2:TIDIG_COMP_CNT: 0
	.section	.text._ZN9rocsparseL18bsrxmvn_4x4_kernelILj128ELj32Efll18rocsparse_bfloat16S1_fEEvT3_20rocsparse_direction_NS_24const_host_device_scalarIT1_EES2_PKS2_PKT2_SB_S8_PKT4_PKT5_S6_PT6_21rocsparse_index_base_b,"axG",@progbits,_ZN9rocsparseL18bsrxmvn_4x4_kernelILj128ELj32Efll18rocsparse_bfloat16S1_fEEvT3_20rocsparse_direction_NS_24const_host_device_scalarIT1_EES2_PKS2_PKT2_SB_S8_PKT4_PKT5_S6_PT6_21rocsparse_index_base_b,comdat
	.globl	_ZN9rocsparseL18bsrxmvn_4x4_kernelILj128ELj32Efll18rocsparse_bfloat16S1_fEEvT3_20rocsparse_direction_NS_24const_host_device_scalarIT1_EES2_PKS2_PKT2_SB_S8_PKT4_PKT5_S6_PT6_21rocsparse_index_base_b ; -- Begin function _ZN9rocsparseL18bsrxmvn_4x4_kernelILj128ELj32Efll18rocsparse_bfloat16S1_fEEvT3_20rocsparse_direction_NS_24const_host_device_scalarIT1_EES2_PKS2_PKT2_SB_S8_PKT4_PKT5_S6_PT6_21rocsparse_index_base_b
	.p2align	8
	.type	_ZN9rocsparseL18bsrxmvn_4x4_kernelILj128ELj32Efll18rocsparse_bfloat16S1_fEEvT3_20rocsparse_direction_NS_24const_host_device_scalarIT1_EES2_PKS2_PKT2_SB_S8_PKT4_PKT5_S6_PT6_21rocsparse_index_base_b,@function
_ZN9rocsparseL18bsrxmvn_4x4_kernelILj128ELj32Efll18rocsparse_bfloat16S1_fEEvT3_20rocsparse_direction_NS_24const_host_device_scalarIT1_EES2_PKS2_PKT2_SB_S8_PKT4_PKT5_S6_PT6_21rocsparse_index_base_b: ; @_ZN9rocsparseL18bsrxmvn_4x4_kernelILj128ELj32Efll18rocsparse_bfloat16S1_fEEvT3_20rocsparse_direction_NS_24const_host_device_scalarIT1_EES2_PKS2_PKT2_SB_S8_PKT4_PKT5_S6_PT6_21rocsparse_index_base_b
; %bb.0:
	s_clause 0x2
	s_load_b64 s[2:3], s[0:1], 0x60
	s_load_b128 s[12:15], s[0:1], 0x10
	s_load_b64 s[16:17], s[0:1], 0x50
	s_wait_kmcnt 0x0
	s_bitcmp1_b32 s3, 0
	s_cselect_b32 s3, -1, 0
	s_delay_alu instid0(SALU_CYCLE_1)
	s_and_b32 vcc_lo, exec_lo, s3
	s_xor_b32 s3, s3, -1
	s_cbranch_vccnz .LBB118_2
; %bb.1:
	s_load_b32 s12, s[12:13], 0x0
.LBB118_2:
	s_and_not1_b32 vcc_lo, exec_lo, s3
	s_cbranch_vccnz .LBB118_4
; %bb.3:
	s_load_b32 s16, s[16:17], 0x0
.LBB118_4:
	s_wait_kmcnt 0x0
	s_cmp_neq_f32 s12, 0
	s_mov_b32 s6, 0
	s_cselect_b32 s3, -1, 0
	s_cmp_neq_f32 s16, 1.0
	s_cselect_b32 s4, -1, 0
	s_delay_alu instid0(SALU_CYCLE_1) | instskip(NEXT) | instid1(SALU_CYCLE_1)
	s_or_b32 s3, s3, s4
	s_and_not1_b32 vcc_lo, exec_lo, s3
	s_cbranch_vccnz .LBB118_10
; %bb.5:
	s_load_b64 s[4:5], s[0:1], 0x20
	v_lshrrev_b32_e32 v1, 5, v0
	v_mov_b32_e32 v6, 0
	s_delay_alu instid0(VALU_DEP_2)
	v_lshl_or_b32 v5, ttmp9, 2, v1
	s_wait_kmcnt 0x0
	s_cmp_lg_u64 s[4:5], 0
	s_cbranch_scc0 .LBB118_11
; %bb.6:
	s_mov_b32 s7, 0
                                        ; implicit-def: $vgpr3_vgpr4
                                        ; implicit-def: $vgpr1_vgpr2
	s_mov_b32 s3, exec_lo
	v_cmpx_gt_i64_e64 s[14:15], v[5:6]
	s_xor_b32 s8, exec_lo, s3
	s_cbranch_execz .LBB118_8
; %bb.7:
	v_lshlrev_b64_e32 v[1:2], 3, v[5:6]
	s_mov_b32 s3, 0
	s_mov_b32 s6, exec_lo
	s_delay_alu instid0(VALU_DEP_1) | instskip(NEXT) | instid1(VALU_DEP_1)
	v_add_co_u32 v1, vcc_lo, s4, v1
	v_add_co_ci_u32_e64 v2, null, s5, v2, vcc_lo
	global_load_b64 v[1:2], v[1:2], off
	s_wait_loadcnt 0x0
	v_sub_co_u32 v3, vcc_lo, v1, s2
	s_wait_alu 0xfffd
	v_subrev_co_ci_u32_e64 v4, null, 0, v2, vcc_lo
	v_dual_mov_b32 v1, s2 :: v_dual_mov_b32 v2, s3
.LBB118_8:
	s_or_b32 exec_lo, exec_lo, s8
	s_delay_alu instid0(SALU_CYCLE_1)
	s_and_b32 vcc_lo, exec_lo, s7
	s_wait_alu 0xfffe
	s_cbranch_vccnz .LBB118_12
.LBB118_9:
	s_and_saveexec_b32 s2, s6
	s_cbranch_execnz .LBB118_15
.LBB118_10:
	s_endpgm
.LBB118_11:
                                        ; implicit-def: $vgpr3_vgpr4
                                        ; implicit-def: $vgpr1_vgpr2
	s_cbranch_execz .LBB118_9
.LBB118_12:
	s_load_b64 s[4:5], s[0:1], 0x0
	s_wait_kmcnt 0x0
	v_cmp_gt_i64_e32 vcc_lo, s[4:5], v[5:6]
	s_and_saveexec_b32 s4, vcc_lo
; %bb.13:
	s_mov_b32 s3, 0
	s_or_b32 s6, s6, exec_lo
; %bb.14:
	s_wait_alu 0xfffe
	s_or_b32 exec_lo, exec_lo, s4
	v_dual_mov_b32 v1, s2 :: v_dual_mov_b32 v2, s3
	v_dual_mov_b32 v3, v5 :: v_dual_mov_b32 v4, v6
	s_and_saveexec_b32 s2, s6
	s_cbranch_execz .LBB118_10
.LBB118_15:
	s_load_b256 s[4:11], s[0:1], 0x28
	s_delay_alu instid0(VALU_DEP_1) | instskip(SKIP_3) | instid1(VALU_DEP_2)
	v_lshlrev_b64_e32 v[5:6], 3, v[3:4]
	v_dual_mov_b32 v25, 0 :: v_dual_and_b32 v0, 31, v0
	s_load_b32 s3, s[0:1], 0x8
	s_wait_kmcnt 0x0
	v_add_co_u32 v7, vcc_lo, s4, v5
	s_wait_alu 0xfffd
	v_add_co_ci_u32_e64 v8, null, s5, v6, vcc_lo
	v_add_co_u32 v5, vcc_lo, s6, v5
	s_wait_alu 0xfffd
	v_add_co_ci_u32_e64 v6, null, s7, v6, vcc_lo
	v_add_co_u32 v9, vcc_lo, v7, 8
	global_load_b64 v[13:14], v[7:8], off
	s_wait_alu 0xfffd
	v_add_co_ci_u32_e64 v10, null, 0, v8, vcc_lo
	s_cmp_eq_u64 s[6:7], 0
	s_load_b64 s[4:5], s[0:1], 0x48
	s_cselect_b32 vcc_lo, -1, 0
	s_cmp_eq_u32 s3, 1
	s_wait_alu 0xfffe
	v_dual_cndmask_b32 v6, v6, v10 :: v_dual_cndmask_b32 v5, v5, v9
	global_load_b64 v[7:8], v[5:6], off
	s_wait_loadcnt 0x1
	v_sub_co_u32 v5, vcc_lo, v13, v1
	s_wait_alu 0xfffd
	v_sub_co_ci_u32_e64 v6, null, v14, v2, vcc_lo
	s_delay_alu instid0(VALU_DEP_2) | instskip(SKIP_1) | instid1(VALU_DEP_2)
	v_add_co_u32 v5, vcc_lo, v5, v0
	s_wait_alu 0xfffd
	v_add_co_ci_u32_e64 v6, null, 0, v6, vcc_lo
	s_delay_alu instid0(VALU_DEP_1) | instskip(SKIP_4) | instid1(VALU_DEP_3)
	v_lshlrev_b64_e32 v[9:10], 5, v[5:6]
	s_wait_loadcnt 0x0
	v_sub_co_u32 v7, vcc_lo, v7, v1
	s_wait_alu 0xfffd
	v_sub_co_ci_u32_e64 v8, null, v8, v2, vcc_lo
	v_add_co_u32 v9, vcc_lo, s10, v9
	s_delay_alu instid0(VALU_DEP_2)
	v_cmp_lt_i64_e64 s2, v[5:6], v[7:8]
	s_wait_alu 0xfffd
	v_add_co_ci_u32_e64 v10, null, s11, v10, vcc_lo
	s_cbranch_scc1 .LBB118_27
; %bb.16:
	v_dual_mov_b32 v26, 0 :: v_dual_mov_b32 v27, 0
	v_mov_b32_e32 v12, 0
	s_and_saveexec_b32 s6, s2
	s_cbranch_execz .LBB118_26
; %bb.17:
	v_or_b32_e32 v11, 32, v0
	v_not_b32_e32 v16, v13
	v_sub_co_u32 v17, s3, v1, v0
	v_not_b32_e32 v15, v14
	s_delay_alu instid0(VALU_DEP_4)
	v_sub_co_u32 v11, vcc_lo, v11, v1
	s_wait_alu 0xfffd
	v_sub_co_ci_u32_e64 v12, null, 0, v2, vcc_lo
	s_wait_alu 0xf1ff
	v_subrev_co_ci_u32_e64 v18, null, 0, v2, s3
	v_add_co_u32 v11, vcc_lo, v11, v13
	s_wait_alu 0xfffd
	v_add_co_ci_u32_e64 v12, null, v12, v14, vcc_lo
	s_mov_b32 s3, exec_lo
	v_cmp_gt_i64_e32 vcc_lo, v[11:12], v[7:8]
	s_wait_alu 0xfffd
	v_dual_cndmask_b32 v20, v8, v12 :: v_dual_cndmask_b32 v11, v7, v11
	v_add_co_u32 v12, vcc_lo, v17, v16
	s_wait_alu 0xfffd
	v_add_co_ci_u32_e64 v15, null, v18, v15, vcc_lo
	v_mov_b32_e32 v18, v10
	s_delay_alu instid0(VALU_DEP_3) | instskip(SKIP_3) | instid1(VALU_DEP_3)
	v_add_co_u32 v19, vcc_lo, v12, v11
	v_mov_b32_e32 v12, 0
	s_wait_alu 0xfffd
	v_add_co_ci_u32_e64 v20, null, v15, v20, vcc_lo
	v_dual_mov_b32 v16, v6 :: v_dual_and_b32 v11, 0x60, v19
	s_delay_alu instid0(VALU_DEP_3)
	v_mov_b32_e32 v25, v12
	v_mov_b32_e32 v15, v5
	v_dual_mov_b32 v27, v12 :: v_dual_mov_b32 v26, v12
	v_mov_b32_e32 v17, v9
	v_cmpx_ne_u64_e32 0x60, v[11:12]
	s_cbranch_execz .LBB118_21
; %bb.18:
	v_lshrrev_b32_e32 v11, 5, v19
	v_dual_mov_b32 v25, 0 :: v_dual_mov_b32 v18, v10
	v_dual_mov_b32 v17, v9 :: v_dual_mov_b32 v26, 0
	s_delay_alu instid0(VALU_DEP_3) | instskip(SKIP_3) | instid1(VALU_DEP_4)
	v_dual_mov_b32 v16, v6 :: v_dual_add_nc_u32 v21, 1, v11
	v_lshlrev_b64_e32 v[11:12], 3, v[5:6]
	v_mov_b32_e32 v15, v5
	v_mov_b32_e32 v27, 0
	v_and_b32_e32 v23, 3, v21
	s_delay_alu instid0(VALU_DEP_4) | instskip(NEXT) | instid1(VALU_DEP_2)
	v_add_co_u32 v21, vcc_lo, s8, v11
	v_sub_co_u32 v23, s7, 0, v23
	s_wait_alu 0xfffd
	v_add_co_ci_u32_e64 v22, null, s9, v12, vcc_lo
	s_wait_alu 0xf1ff
	v_sub_co_ci_u32_e64 v24, null, 0, 0, s7
	v_mov_b32_e32 v12, 0
	s_mov_b32 s7, 0
.LBB118_19:                             ; =>This Inner Loop Header: Depth=1
	global_load_b64 v[32:33], v[21:22], off
	global_load_b128 v[28:31], v[17:18], off
	s_wait_loadcnt 0x1
	v_sub_co_u32 v32, vcc_lo, v32, v1
	s_wait_alu 0xfffd
	v_sub_co_ci_u32_e64 v33, null, v33, v2, vcc_lo
	s_delay_alu instid0(VALU_DEP_1) | instskip(SKIP_1) | instid1(VALU_DEP_1)
	v_lshlrev_b64_e32 v[32:33], 3, v[32:33]
	s_wait_kmcnt 0x0
	v_add_co_u32 v36, vcc_lo, s4, v32
	s_wait_alu 0xfffd
	s_delay_alu instid0(VALU_DEP_2)
	v_add_co_ci_u32_e64 v37, null, s5, v33, vcc_lo
	global_load_b128 v[32:35], v[17:18], off offset:16
	global_load_b64 v[36:37], v[36:37], off
	v_add_co_u32 v17, vcc_lo, 0x400, v17
	s_wait_alu 0xfffd
	v_add_co_ci_u32_e64 v18, null, 0, v18, vcc_lo
	v_add_co_u32 v15, vcc_lo, v15, 32
	s_wait_alu 0xfffd
	v_add_co_ci_u32_e64 v16, null, 0, v16, vcc_lo
	;; [unrolled: 3-line block ×4, first 2 shown]
	s_delay_alu instid0(VALU_DEP_1)
	v_cmp_eq_u64_e32 vcc_lo, 0, v[23:24]
	s_wait_alu 0xfffe
	s_or_b32 s7, vcc_lo, s7
	s_wait_loadcnt 0x1
	v_lshlrev_b32_e32 v41, 16, v32
	s_wait_loadcnt 0x0
	v_lshlrev_b32_e32 v45, 16, v36
	v_lshlrev_b32_e32 v11, 16, v28
	;; [unrolled: 1-line block ×3, first 2 shown]
	v_and_b32_e32 v36, 0xffff0000, v36
	s_delay_alu instid0(VALU_DEP_4) | instskip(NEXT) | instid1(VALU_DEP_4)
	v_dual_fmac_f32 v26, v41, v45 :: v_dual_lshlrev_b32 v39, 16, v30
	v_fmac_f32_e32 v12, v11, v45
	v_and_b32_e32 v28, 0xffff0000, v28
	v_dual_fmac_f32 v25, v43, v45 :: v_dual_and_b32 v30, 0xffff0000, v30
	s_delay_alu instid0(VALU_DEP_4) | instskip(SKIP_1) | instid1(VALU_DEP_4)
	v_fmac_f32_e32 v27, v39, v45
	v_lshlrev_b32_e32 v38, 16, v29
	v_dual_fmac_f32 v12, v28, v36 :: v_dual_and_b32 v29, 0xffff0000, v29
	v_and_b32_e32 v28, 0xffff0000, v37
	v_and_b32_e32 v34, 0xffff0000, v34
	v_lshlrev_b32_e32 v40, 16, v31
	v_lshlrev_b32_e32 v11, 16, v37
	v_dual_fmac_f32 v27, v30, v36 :: v_dual_lshlrev_b32 v44, 16, v35
	s_delay_alu instid0(VALU_DEP_4) | instskip(SKIP_1) | instid1(VALU_DEP_3)
	v_fmac_f32_e32 v25, v34, v36
	v_and_b32_e32 v32, 0xffff0000, v32
	v_dual_fmac_f32 v27, v40, v11 :: v_dual_lshlrev_b32 v42, 16, v33
	v_and_b32_e32 v31, 0xffff0000, v31
	v_fmac_f32_e32 v12, v38, v11
	s_delay_alu instid0(VALU_DEP_4)
	v_fmac_f32_e32 v26, v32, v36
	v_fmac_f32_e32 v25, v44, v11
	v_and_b32_e32 v33, 0xffff0000, v33
	v_fmac_f32_e32 v27, v31, v28
	v_fmac_f32_e32 v12, v29, v28
	;; [unrolled: 1-line block ×3, first 2 shown]
	s_delay_alu instid0(VALU_DEP_1) | instskip(NEXT) | instid1(VALU_DEP_1)
	v_dual_fmac_f32 v26, v33, v28 :: v_dual_and_b32 v35, 0xffff0000, v35
	v_fmac_f32_e32 v25, v35, v28
	s_wait_alu 0xfffe
	s_and_not1_b32 exec_lo, exec_lo, s7
	s_cbranch_execnz .LBB118_19
; %bb.20:
	s_or_b32 exec_lo, exec_lo, s7
.LBB118_21:
	s_wait_alu 0xfffe
	s_or_b32 exec_lo, exec_lo, s3
	s_delay_alu instid0(SALU_CYCLE_1)
	s_mov_b32 s7, exec_lo
	v_cmpx_lt_u64_e32 0x5f, v[19:20]
	s_cbranch_execz .LBB118_25
; %bb.22:
	v_lshlrev_b64_e32 v[19:20], 3, v[15:16]
	s_mov_b32 s10, 0
	s_delay_alu instid0(VALU_DEP_1) | instskip(SKIP_1) | instid1(VALU_DEP_2)
	v_add_co_u32 v11, vcc_lo, s8, v19
	s_wait_alu 0xfffd
	v_add_co_ci_u32_e64 v20, null, s9, v20, vcc_lo
	s_delay_alu instid0(VALU_DEP_2) | instskip(SKIP_1) | instid1(VALU_DEP_2)
	v_add_co_u32 v19, vcc_lo, 0x200, v11
	s_wait_alu 0xfffd
	v_add_co_ci_u32_e64 v20, null, 0, v20, vcc_lo
.LBB118_23:                             ; =>This Inner Loop Header: Depth=1
	s_clause 0x3
	global_load_b64 v[56:57], v[19:20], off offset:-512
	global_load_b64 v[58:59], v[19:20], off offset:-256
	global_load_b64 v[60:61], v[19:20], off
	global_load_b64 v[62:63], v[19:20], off offset:256
	s_clause 0x7
	global_load_b128 v[21:24], v[17:18], off
	global_load_b128 v[28:31], v[17:18], off offset:16
	global_load_b128 v[32:35], v[17:18], off offset:1024
	;; [unrolled: 1-line block ×7, first 2 shown]
	s_wait_loadcnt 0xb
	v_sub_co_u32 v56, vcc_lo, v56, v1
	s_wait_alu 0xfffd
	v_sub_co_ci_u32_e64 v57, null, v57, v2, vcc_lo
	s_wait_loadcnt 0xa
	v_sub_co_u32 v58, vcc_lo, v58, v1
	s_wait_alu 0xfffd
	v_sub_co_ci_u32_e64 v59, null, v59, v2, vcc_lo
	v_lshlrev_b64_e32 v[56:57], 3, v[56:57]
	s_wait_loadcnt 0x6
	v_lshlrev_b32_e32 v67, 16, v28
	s_wait_loadcnt 0x4
	v_lshlrev_b32_e32 v77, 16, v38
	v_lshlrev_b64_e32 v[58:59], 3, v[58:59]
	v_and_b32_e32 v38, 0xffff0000, v38
	s_wait_loadcnt 0x2
	v_lshlrev_b32_e32 v85, 16, v46
	s_wait_kmcnt 0x0
	v_add_co_u32 v56, vcc_lo, s4, v56
	s_wait_alu 0xfffd
	v_add_co_ci_u32_e64 v57, null, s5, v57, vcc_lo
	v_sub_co_u32 v60, vcc_lo, v60, v1
	s_wait_alu 0xfffd
	v_sub_co_ci_u32_e64 v61, null, v61, v2, vcc_lo
	global_load_b64 v[56:57], v[56:57], off
	v_add_co_u32 v58, vcc_lo, s4, v58
	s_wait_alu 0xfffd
	v_add_co_ci_u32_e64 v59, null, s5, v59, vcc_lo
	v_lshlrev_b64_e32 v[60:61], 3, v[60:61]
	v_sub_co_u32 v62, vcc_lo, v62, v1
	global_load_b64 v[58:59], v[58:59], off
	s_wait_alu 0xfffd
	v_sub_co_ci_u32_e64 v63, null, v63, v2, vcc_lo
	v_add_co_u32 v60, s3, s4, v60
	s_wait_alu 0xf1ff
	v_add_co_ci_u32_e64 v61, null, s5, v61, s3
	s_delay_alu instid0(VALU_DEP_3)
	v_lshlrev_b64_e32 v[62:63], 3, v[62:63]
	v_and_b32_e32 v46, 0xffff0000, v46
	s_wait_loadcnt 0x2
	v_lshlrev_b32_e32 v93, 16, v54
	global_load_b64 v[60:61], v[60:61], off
	v_and_b32_e32 v54, 0xffff0000, v54
	v_add_co_u32 v62, vcc_lo, s4, v62
	s_wait_alu 0xfffd
	v_add_co_ci_u32_e64 v63, null, s5, v63, vcc_lo
	v_add_co_u32 v17, vcc_lo, 0x1000, v17
	s_wait_alu 0xfffd
	v_add_co_ci_u32_e64 v18, null, 0, v18, vcc_lo
	global_load_b64 v[62:63], v[62:63], off
	v_add_co_u32 v15, vcc_lo, 0x80, v15
	s_wait_alu 0xfffd
	v_add_co_ci_u32_e64 v16, null, 0, v16, vcc_lo
	v_add_co_u32 v19, vcc_lo, 0x400, v19
	s_wait_alu 0xfffd
	v_add_co_ci_u32_e64 v20, null, 0, v20, vcc_lo
	s_delay_alu instid0(VALU_DEP_3)
	v_cmp_ge_i64_e32 vcc_lo, v[15:16], v[7:8]
	s_wait_alu 0xfffe
	s_or_b32 s10, vcc_lo, s10
	s_wait_loadcnt 0x3
	v_lshlrev_b32_e32 v95, 16, v56
	v_lshlrev_b32_e32 v11, 16, v21
	v_and_b32_e32 v56, 0xffff0000, v56
	s_delay_alu instid0(VALU_DEP_3) | instskip(NEXT) | instid1(VALU_DEP_3)
	v_dual_fmac_f32 v26, v67, v95 :: v_dual_and_b32 v21, 0xffff0000, v21
	v_fmac_f32_e32 v12, v11, v95
	v_lshlrev_b32_e32 v65, 16, v23
	s_delay_alu instid0(VALU_DEP_2) | instskip(SKIP_2) | instid1(VALU_DEP_4)
	v_dual_fmac_f32 v12, v21, v56 :: v_dual_lshlrev_b32 v11, 16, v57
	v_and_b32_e32 v21, 0xffff0000, v57
	v_and_b32_e32 v28, 0xffff0000, v28
	v_dual_fmac_f32 v27, v65, v95 :: v_dual_lshlrev_b32 v64, 16, v22
	s_delay_alu instid0(VALU_DEP_2) | instskip(SKIP_1) | instid1(VALU_DEP_3)
	v_dual_fmac_f32 v26, v28, v56 :: v_dual_and_b32 v23, 0xffff0000, v23
	v_lshlrev_b32_e32 v68, 16, v29
	v_dual_fmac_f32 v12, v64, v11 :: v_dual_lshlrev_b32 v69, 16, v30
	s_delay_alu instid0(VALU_DEP_3) | instskip(NEXT) | instid1(VALU_DEP_3)
	v_fmac_f32_e32 v27, v23, v56
	v_dual_fmac_f32 v26, v68, v11 :: v_dual_and_b32 v29, 0xffff0000, v29
	s_delay_alu instid0(VALU_DEP_3) | instskip(SKIP_1) | instid1(VALU_DEP_3)
	v_dual_fmac_f32 v25, v69, v95 :: v_dual_and_b32 v22, 0xffff0000, v22
	v_lshlrev_b32_e32 v70, 16, v31
	v_dual_fmac_f32 v26, v29, v21 :: v_dual_and_b32 v31, 0xffff0000, v31
	v_and_b32_e32 v30, 0xffff0000, v30
	s_delay_alu instid0(VALU_DEP_4) | instskip(NEXT) | instid1(VALU_DEP_2)
	v_fmac_f32_e32 v12, v22, v21
	v_fmac_f32_e32 v25, v30, v56
	s_delay_alu instid0(VALU_DEP_1) | instskip(NEXT) | instid1(VALU_DEP_1)
	v_dual_fmac_f32 v25, v70, v11 :: v_dual_lshlrev_b32 v66, 16, v24
	v_dual_fmac_f32 v27, v66, v11 :: v_dual_and_b32 v24, 0xffff0000, v24
	s_wait_loadcnt 0x2
	v_lshlrev_b32_e32 v11, 16, v58
	s_delay_alu instid0(VALU_DEP_3) | instskip(SKIP_3) | instid1(VALU_DEP_4)
	v_fmac_f32_e32 v25, v31, v21
	v_lshlrev_b32_e32 v72, 16, v33
	v_fmac_f32_e32 v27, v24, v21
	v_and_b32_e32 v21, 0xffff0000, v58
	v_fmac_f32_e32 v25, v77, v11
	v_lshlrev_b32_e32 v75, 16, v36
	v_lshlrev_b32_e32 v71, 16, v32
	s_delay_alu instid0(VALU_DEP_2) | instskip(NEXT) | instid1(VALU_DEP_2)
	v_dual_fmac_f32 v25, v38, v21 :: v_dual_fmac_f32 v26, v75, v11
	v_dual_fmac_f32 v12, v71, v11 :: v_dual_and_b32 v33, 0xffff0000, v33
	v_lshlrev_b32_e32 v73, 16, v34
	v_and_b32_e32 v32, 0xffff0000, v32
	s_delay_alu instid0(VALU_DEP_2) | instskip(SKIP_1) | instid1(VALU_DEP_3)
	v_dual_fmac_f32 v27, v73, v11 :: v_dual_and_b32 v34, 0xffff0000, v34
	v_lshlrev_b32_e32 v74, 16, v35
	v_dual_fmac_f32 v12, v32, v21 :: v_dual_lshlrev_b32 v11, 16, v59
	s_delay_alu instid0(VALU_DEP_3) | instskip(NEXT) | instid1(VALU_DEP_2)
	v_dual_fmac_f32 v27, v34, v21 :: v_dual_and_b32 v36, 0xffff0000, v36
	v_fmac_f32_e32 v12, v72, v11
	s_delay_alu instid0(VALU_DEP_2) | instskip(NEXT) | instid1(VALU_DEP_3)
	v_fmac_f32_e32 v27, v74, v11
	v_dual_fmac_f32 v26, v36, v21 :: v_dual_and_b32 v35, 0xffff0000, v35
	v_and_b32_e32 v21, 0xffff0000, v59
	v_lshlrev_b32_e32 v78, 16, v39
	v_lshlrev_b32_e32 v76, 16, v37
	s_delay_alu instid0(VALU_DEP_2) | instskip(NEXT) | instid1(VALU_DEP_2)
	v_dual_fmac_f32 v12, v33, v21 :: v_dual_fmac_f32 v25, v78, v11
	v_dual_fmac_f32 v26, v76, v11 :: v_dual_and_b32 v37, 0xffff0000, v37
	v_and_b32_e32 v39, 0xffff0000, v39
	s_wait_loadcnt 0x1
	v_lshlrev_b32_e32 v11, 16, v60
	v_fmac_f32_e32 v27, v35, v21
	v_fmac_f32_e32 v26, v37, v21
	;; [unrolled: 1-line block ×3, first 2 shown]
	v_lshlrev_b32_e32 v80, 16, v41
	v_and_b32_e32 v21, 0xffff0000, v60
	s_delay_alu instid0(VALU_DEP_3) | instskip(SKIP_2) | instid1(VALU_DEP_2)
	v_fmac_f32_e32 v25, v85, v11
	v_lshlrev_b32_e32 v83, 16, v44
	v_lshlrev_b32_e32 v79, 16, v40
	v_dual_fmac_f32 v25, v46, v21 :: v_dual_fmac_f32 v26, v83, v11
	s_delay_alu instid0(VALU_DEP_2) | instskip(SKIP_2) | instid1(VALU_DEP_2)
	v_dual_fmac_f32 v12, v79, v11 :: v_dual_and_b32 v41, 0xffff0000, v41
	v_lshlrev_b32_e32 v81, 16, v42
	v_and_b32_e32 v40, 0xffff0000, v40
	v_dual_fmac_f32 v27, v81, v11 :: v_dual_and_b32 v42, 0xffff0000, v42
	v_lshlrev_b32_e32 v82, 16, v43
	v_lshlrev_b32_e32 v11, 16, v61
	s_delay_alu instid0(VALU_DEP_4) | instskip(NEXT) | instid1(VALU_DEP_4)
	v_fmac_f32_e32 v12, v40, v21
	v_dual_fmac_f32 v27, v42, v21 :: v_dual_and_b32 v44, 0xffff0000, v44
	s_delay_alu instid0(VALU_DEP_2) | instskip(NEXT) | instid1(VALU_DEP_2)
	v_fmac_f32_e32 v12, v80, v11
	v_fmac_f32_e32 v27, v82, v11
	s_delay_alu instid0(VALU_DEP_3) | instskip(SKIP_3) | instid1(VALU_DEP_2)
	v_dual_fmac_f32 v26, v44, v21 :: v_dual_and_b32 v43, 0xffff0000, v43
	v_and_b32_e32 v21, 0xffff0000, v61
	v_lshlrev_b32_e32 v86, 16, v47
	v_lshlrev_b32_e32 v84, 16, v45
	v_dual_fmac_f32 v12, v41, v21 :: v_dual_fmac_f32 v25, v86, v11
	s_delay_alu instid0(VALU_DEP_2)
	v_dual_fmac_f32 v26, v84, v11 :: v_dual_and_b32 v45, 0xffff0000, v45
	v_and_b32_e32 v47, 0xffff0000, v47
	s_wait_loadcnt 0x0
	v_lshlrev_b32_e32 v11, 16, v62
	v_fmac_f32_e32 v27, v43, v21
	v_fmac_f32_e32 v26, v45, v21
	;; [unrolled: 1-line block ×3, first 2 shown]
	v_lshlrev_b32_e32 v88, 16, v49
	v_and_b32_e32 v21, 0xffff0000, v62
	s_delay_alu instid0(VALU_DEP_3) | instskip(SKIP_2) | instid1(VALU_DEP_2)
	v_fmac_f32_e32 v25, v93, v11
	v_lshlrev_b32_e32 v91, 16, v52
	v_lshlrev_b32_e32 v87, 16, v48
	v_dual_fmac_f32 v25, v54, v21 :: v_dual_fmac_f32 v26, v91, v11
	s_delay_alu instid0(VALU_DEP_2) | instskip(SKIP_2) | instid1(VALU_DEP_2)
	v_dual_fmac_f32 v12, v87, v11 :: v_dual_and_b32 v49, 0xffff0000, v49
	v_lshlrev_b32_e32 v89, 16, v50
	v_and_b32_e32 v48, 0xffff0000, v48
	v_dual_fmac_f32 v27, v89, v11 :: v_dual_and_b32 v50, 0xffff0000, v50
	v_lshlrev_b32_e32 v90, 16, v51
	s_delay_alu instid0(VALU_DEP_3) | instskip(NEXT) | instid1(VALU_DEP_3)
	v_dual_fmac_f32 v12, v48, v21 :: v_dual_lshlrev_b32 v11, 16, v63
	v_dual_fmac_f32 v27, v50, v21 :: v_dual_and_b32 v52, 0xffff0000, v52
	s_delay_alu instid0(VALU_DEP_2) | instskip(NEXT) | instid1(VALU_DEP_2)
	v_fmac_f32_e32 v12, v88, v11
	v_fmac_f32_e32 v27, v90, v11
	s_delay_alu instid0(VALU_DEP_3) | instskip(SKIP_3) | instid1(VALU_DEP_2)
	v_dual_fmac_f32 v26, v52, v21 :: v_dual_and_b32 v51, 0xffff0000, v51
	v_and_b32_e32 v21, 0xffff0000, v63
	v_lshlrev_b32_e32 v94, 16, v55
	v_lshlrev_b32_e32 v92, 16, v53
	v_dual_fmac_f32 v12, v49, v21 :: v_dual_fmac_f32 v25, v94, v11
	s_delay_alu instid0(VALU_DEP_2) | instskip(SKIP_2) | instid1(VALU_DEP_3)
	v_dual_fmac_f32 v26, v92, v11 :: v_dual_and_b32 v53, 0xffff0000, v53
	v_and_b32_e32 v55, 0xffff0000, v55
	v_fmac_f32_e32 v27, v51, v21
	v_fmac_f32_e32 v26, v53, v21
	s_delay_alu instid0(VALU_DEP_3)
	v_fmac_f32_e32 v25, v55, v21
	s_wait_alu 0xfffe
	s_and_not1_b32 exec_lo, exec_lo, s10
	s_cbranch_execnz .LBB118_23
; %bb.24:
	s_or_b32 exec_lo, exec_lo, s10
.LBB118_25:
	s_wait_alu 0xfffe
	s_or_b32 exec_lo, exec_lo, s7
.LBB118_26:
	s_wait_alu 0xfffe
	s_or_b32 exec_lo, exec_lo, s6
	s_cbranch_execz .LBB118_28
	s_branch .LBB118_39
.LBB118_27:
                                        ; implicit-def: $vgpr25
                                        ; implicit-def: $vgpr26
                                        ; implicit-def: $vgpr27
                                        ; implicit-def: $vgpr12
.LBB118_28:
	v_dual_mov_b32 v25, 0 :: v_dual_mov_b32 v26, 0
	v_dual_mov_b32 v27, 0 :: v_dual_mov_b32 v12, 0
	s_and_saveexec_b32 s3, s2
	s_cbranch_execz .LBB118_38
; %bb.29:
	v_or_b32_e32 v11, 32, v0
	v_sub_co_u32 v15, s2, v1, v0
	s_wait_alu 0xf1ff
	v_subrev_co_ci_u32_e64 v16, null, 0, v2, s2
	s_delay_alu instid0(VALU_DEP_3)
	v_sub_co_u32 v11, vcc_lo, v11, v1
	s_wait_alu 0xfffd
	v_sub_co_ci_u32_e64 v12, null, 0, v2, vcc_lo
	s_mov_b32 s2, exec_lo
	v_add_co_u32 v11, vcc_lo, v11, v13
	s_wait_alu 0xfffd
	v_add_co_ci_u32_e64 v12, null, v12, v14, vcc_lo
	v_not_b32_e32 v13, v13
	v_not_b32_e32 v14, v14
	s_delay_alu instid0(VALU_DEP_3)
	v_cmp_gt_i64_e32 vcc_lo, v[11:12], v[7:8]
	s_wait_alu 0xfffd
	v_cndmask_b32_e32 v17, v8, v12, vcc_lo
	v_cndmask_b32_e32 v11, v7, v11, vcc_lo
	v_add_co_u32 v12, vcc_lo, v15, v13
	s_wait_alu 0xfffd
	v_add_co_ci_u32_e64 v14, null, v16, v14, vcc_lo
	s_delay_alu instid0(VALU_DEP_2) | instskip(SKIP_2) | instid1(VALU_DEP_3)
	v_add_co_u32 v13, vcc_lo, v12, v11
	v_mov_b32_e32 v12, 0
	s_wait_alu 0xfffd
	v_add_co_ci_u32_e64 v14, null, v14, v17, vcc_lo
	s_delay_alu instid0(VALU_DEP_3) | instskip(NEXT) | instid1(VALU_DEP_3)
	v_and_b32_e32 v11, 0x60, v13
	v_dual_mov_b32 v27, v12 :: v_dual_mov_b32 v26, v12
	v_mov_b32_e32 v25, v12
	s_delay_alu instid0(VALU_DEP_3)
	v_cmpx_ne_u64_e32 0x60, v[11:12]
	s_cbranch_execz .LBB118_33
; %bb.30:
	v_lshrrev_b32_e32 v11, 5, v13
	v_mov_b32_e32 v25, 0
	v_dual_mov_b32 v27, 0 :: v_dual_mov_b32 v26, 0
	s_delay_alu instid0(VALU_DEP_3) | instskip(SKIP_1) | instid1(VALU_DEP_2)
	v_add_nc_u32_e32 v15, 1, v11
	v_lshlrev_b64_e32 v[11:12], 3, v[5:6]
	v_and_b32_e32 v17, 3, v15
	s_delay_alu instid0(VALU_DEP_2) | instskip(SKIP_1) | instid1(VALU_DEP_3)
	v_add_co_u32 v15, vcc_lo, s8, v11
	s_wait_alu 0xfffd
	v_add_co_ci_u32_e64 v16, null, s9, v12, vcc_lo
	s_delay_alu instid0(VALU_DEP_3)
	v_sub_co_u32 v17, s6, 0, v17
	s_wait_alu 0xf1ff
	v_sub_co_ci_u32_e64 v18, null, 0, 0, s6
	v_mov_b32_e32 v12, 0
	s_mov_b32 s6, 0
.LBB118_31:                             ; =>This Inner Loop Header: Depth=1
	global_load_b64 v[23:24], v[15:16], off
	global_load_b128 v[19:22], v[9:10], off
	s_wait_loadcnt 0x1
	v_sub_co_u32 v23, vcc_lo, v23, v1
	s_wait_alu 0xfffd
	v_sub_co_ci_u32_e64 v24, null, v24, v2, vcc_lo
	s_wait_loadcnt 0x0
	v_lshlrev_b32_e32 v11, 16, v19
	v_and_b32_e32 v19, 0xffff0000, v19
	s_delay_alu instid0(VALU_DEP_3) | instskip(SKIP_1) | instid1(VALU_DEP_1)
	v_lshlrev_b64_e32 v[23:24], 3, v[23:24]
	s_wait_kmcnt 0x0
	v_add_co_u32 v23, vcc_lo, s4, v23
	s_wait_alu 0xfffd
	s_delay_alu instid0(VALU_DEP_2)
	v_add_co_ci_u32_e64 v24, null, s5, v24, vcc_lo
	global_load_b64 v[23:24], v[23:24], off
	global_load_b128 v[28:31], v[9:10], off offset:16
	v_add_co_u32 v9, vcc_lo, 0x400, v9
	s_wait_alu 0xfffd
	v_add_co_ci_u32_e64 v10, null, 0, v10, vcc_lo
	v_add_co_u32 v5, vcc_lo, v5, 32
	s_wait_alu 0xfffd
	v_add_co_ci_u32_e64 v6, null, 0, v6, vcc_lo
	;; [unrolled: 3-line block ×4, first 2 shown]
	s_delay_alu instid0(VALU_DEP_1)
	v_cmp_eq_u64_e32 vcc_lo, 0, v[17:18]
	s_wait_alu 0xfffe
	s_or_b32 s6, vcc_lo, s6
	s_wait_loadcnt 0x1
	v_lshlrev_b32_e32 v39, 16, v23
	v_lshlrev_b32_e32 v33, 16, v21
	v_and_b32_e32 v23, 0xffff0000, v23
	v_lshlrev_b32_e32 v32, 16, v20
	s_wait_loadcnt 0x0
	v_lshlrev_b32_e32 v38, 16, v31
	v_dual_fmac_f32 v12, v11, v39 :: v_dual_lshlrev_b32 v35, 16, v28
	v_fmac_f32_e32 v27, v19, v39
	v_and_b32_e32 v19, 0xffff0000, v24
	s_delay_alu instid0(VALU_DEP_3) | instskip(SKIP_2) | instid1(VALU_DEP_3)
	v_dual_fmac_f32 v12, v33, v23 :: v_dual_lshlrev_b32 v11, 16, v24
	v_dual_fmac_f32 v26, v32, v39 :: v_dual_and_b32 v21, 0xffff0000, v21
	v_and_b32_e32 v20, 0xffff0000, v20
	v_dual_fmac_f32 v12, v35, v11 :: v_dual_lshlrev_b32 v37, 16, v30
	s_delay_alu instid0(VALU_DEP_3) | instskip(NEXT) | instid1(VALU_DEP_3)
	v_dual_fmac_f32 v27, v21, v23 :: v_dual_lshlrev_b32 v34, 16, v22
	v_dual_fmac_f32 v25, v20, v39 :: v_dual_and_b32 v28, 0xffff0000, v28
	s_delay_alu instid0(VALU_DEP_3) | instskip(SKIP_4) | instid1(VALU_DEP_4)
	v_fmac_f32_e32 v12, v37, v19
	v_and_b32_e32 v22, 0xffff0000, v22
	v_and_b32_e32 v31, 0xffff0000, v31
	v_fmac_f32_e32 v26, v34, v23
	v_fmac_f32_e32 v27, v28, v11
	v_dual_fmac_f32 v25, v22, v23 :: v_dual_lshlrev_b32 v36, 16, v29
	v_and_b32_e32 v29, 0xffff0000, v29
	s_delay_alu instid0(VALU_DEP_1) | instskip(NEXT) | instid1(VALU_DEP_3)
	v_fmac_f32_e32 v25, v29, v11
	v_fmac_f32_e32 v26, v36, v11
	s_delay_alu instid0(VALU_DEP_2) | instskip(NEXT) | instid1(VALU_DEP_2)
	v_dual_fmac_f32 v25, v31, v19 :: v_dual_and_b32 v30, 0xffff0000, v30
	v_fmac_f32_e32 v26, v38, v19
	s_delay_alu instid0(VALU_DEP_2)
	v_fmac_f32_e32 v27, v30, v19
	s_wait_alu 0xfffe
	s_and_not1_b32 exec_lo, exec_lo, s6
	s_cbranch_execnz .LBB118_31
; %bb.32:
	s_or_b32 exec_lo, exec_lo, s6
.LBB118_33:
	s_wait_alu 0xfffe
	s_or_b32 exec_lo, exec_lo, s2
	s_delay_alu instid0(SALU_CYCLE_1)
	s_mov_b32 s2, exec_lo
	v_cmpx_lt_u64_e32 0x5f, v[13:14]
	s_cbranch_execz .LBB118_37
; %bb.34:
	v_lshlrev_b64_e32 v[13:14], 3, v[5:6]
	s_mov_b32 s6, 0
	s_delay_alu instid0(VALU_DEP_1) | instskip(SKIP_1) | instid1(VALU_DEP_2)
	v_add_co_u32 v11, vcc_lo, s8, v13
	s_wait_alu 0xfffd
	v_add_co_ci_u32_e64 v14, null, s9, v14, vcc_lo
	s_delay_alu instid0(VALU_DEP_2) | instskip(SKIP_1) | instid1(VALU_DEP_2)
	v_add_co_u32 v13, vcc_lo, 0x200, v11
	s_wait_alu 0xfffd
	v_add_co_ci_u32_e64 v14, null, 0, v14, vcc_lo
.LBB118_35:                             ; =>This Inner Loop Header: Depth=1
	s_clause 0x3
	global_load_b64 v[23:24], v[13:14], off offset:-512
	global_load_b64 v[48:49], v[13:14], off offset:-256
	global_load_b64 v[50:51], v[13:14], off
	global_load_b64 v[52:53], v[13:14], off offset:256
	s_clause 0x6
	global_load_b128 v[15:18], v[9:10], off
	global_load_b128 v[19:22], v[9:10], off offset:16
	global_load_b128 v[28:31], v[9:10], off offset:1024
	;; [unrolled: 1-line block ×6, first 2 shown]
	s_wait_loadcnt 0xa
	v_sub_co_u32 v23, vcc_lo, v23, v1
	s_wait_alu 0xfffd
	v_sub_co_ci_u32_e64 v24, null, v24, v2, vcc_lo
	s_wait_loadcnt 0x9
	v_sub_co_u32 v48, vcc_lo, v48, v1
	s_wait_alu 0xfffd
	v_sub_co_ci_u32_e64 v49, null, v49, v2, vcc_lo
	s_wait_loadcnt 0x8
	v_sub_co_u32 v50, vcc_lo, v50, v1
	s_wait_alu 0xfffd
	v_sub_co_ci_u32_e64 v51, null, v51, v2, vcc_lo
	s_wait_loadcnt 0x7
	v_sub_co_u32 v52, vcc_lo, v52, v1
	v_lshlrev_b64_e32 v[23:24], 3, v[23:24]
	s_wait_alu 0xfffd
	v_sub_co_ci_u32_e64 v53, null, v53, v2, vcc_lo
	v_lshlrev_b64_e32 v[48:49], 3, v[48:49]
	v_lshlrev_b64_e32 v[50:51], 3, v[50:51]
	s_wait_loadcnt 0x5
	v_lshlrev_b32_e32 v61, 16, v19
	v_lshlrev_b64_e32 v[52:53], 3, v[52:53]
	s_wait_kmcnt 0x0
	v_add_co_u32 v23, vcc_lo, s4, v23
	s_wait_alu 0xfffd
	v_add_co_ci_u32_e64 v24, null, s5, v24, vcc_lo
	v_add_co_u32 v48, vcc_lo, s4, v48
	s_wait_alu 0xfffd
	v_add_co_ci_u32_e64 v49, null, s5, v49, vcc_lo
	;; [unrolled: 3-line block ×4, first 2 shown]
	s_clause 0x3
	global_load_b64 v[23:24], v[23:24], off
	global_load_b64 v[54:55], v[48:49], off
	global_load_b64 v[56:57], v[50:51], off
	global_load_b64 v[52:53], v[52:53], off
	global_load_b128 v[48:51], v[9:10], off offset:3088
	v_and_b32_e32 v19, 0xffff0000, v19
	s_wait_loadcnt 0x5
	v_lshlrev_b32_e32 v84, 16, v47
	v_lshlrev_b32_e32 v68, 16, v31
	v_and_b32_e32 v31, 0xffff0000, v31
	v_lshlrev_b32_e32 v72, 16, v35
	v_and_b32_e32 v35, 0xffff0000, v35
	;; [unrolled: 2-line block ×4, first 2 shown]
	v_and_b32_e32 v47, 0xffff0000, v47
	v_add_co_u32 v9, vcc_lo, 0x1000, v9
	s_wait_alu 0xfffd
	v_add_co_ci_u32_e64 v10, null, 0, v10, vcc_lo
	v_add_co_u32 v5, vcc_lo, 0x80, v5
	s_wait_alu 0xfffd
	v_add_co_ci_u32_e64 v6, null, 0, v6, vcc_lo
	;; [unrolled: 3-line block ×3, first 2 shown]
	s_delay_alu instid0(VALU_DEP_3)
	v_cmp_ge_i64_e32 vcc_lo, v[5:6], v[7:8]
	s_wait_alu 0xfffe
	s_or_b32 s6, vcc_lo, s6
	s_wait_loadcnt 0x4
	v_lshlrev_b32_e32 v89, 16, v23
	v_lshlrev_b32_e32 v58, 16, v16
	;; [unrolled: 1-line block ×4, first 2 shown]
	v_and_b32_e32 v23, 0xffff0000, v23
	s_wait_loadcnt 0x0
	v_lshlrev_b32_e32 v88, 16, v51
	v_dual_fmac_f32 v26, v58, v89 :: v_dual_and_b32 v15, 0xffff0000, v15
	v_fmac_f32_e32 v12, v11, v89
	v_lshlrev_b32_e32 v59, 16, v17
	s_delay_alu instid0(VALU_DEP_3) | instskip(SKIP_2) | instid1(VALU_DEP_4)
	v_dual_fmac_f32 v26, v60, v23 :: v_dual_lshlrev_b32 v11, 16, v24
	v_and_b32_e32 v17, 0xffff0000, v17
	v_fmac_f32_e32 v27, v15, v89
	v_fmac_f32_e32 v12, v59, v23
	v_and_b32_e32 v16, 0xffff0000, v16
	v_lshlrev_b32_e32 v63, 16, v21
	v_and_b32_e32 v15, 0xffff0000, v24
	v_dual_fmac_f32 v27, v17, v23 :: v_dual_and_b32 v18, 0xffff0000, v18
	s_delay_alu instid0(VALU_DEP_4) | instskip(SKIP_1) | instid1(VALU_DEP_3)
	v_dual_fmac_f32 v25, v16, v89 :: v_dual_fmac_f32 v12, v61, v11
	v_lshlrev_b32_e32 v65, 16, v28
	v_dual_fmac_f32 v27, v19, v11 :: v_dual_lshlrev_b32 v62, 16, v20
	s_delay_alu instid0(VALU_DEP_3) | instskip(NEXT) | instid1(VALU_DEP_4)
	v_fmac_f32_e32 v25, v18, v23
	v_dual_fmac_f32 v12, v63, v15 :: v_dual_and_b32 v21, 0xffff0000, v21
	v_and_b32_e32 v51, 0xffff0000, v51
	s_delay_alu instid0(VALU_DEP_4) | instskip(NEXT) | instid1(VALU_DEP_3)
	v_fmac_f32_e32 v26, v62, v11
	v_dual_fmac_f32 v27, v21, v15 :: v_dual_and_b32 v20, 0xffff0000, v20
	s_delay_alu instid0(VALU_DEP_1) | instskip(SKIP_3) | instid1(VALU_DEP_4)
	v_dual_fmac_f32 v25, v20, v11 :: v_dual_lshlrev_b32 v64, 16, v22
	v_and_b32_e32 v28, 0xffff0000, v28
	v_lshlrev_b32_e32 v11, 16, v54
	v_and_b32_e32 v22, 0xffff0000, v22
	v_dual_fmac_f32 v26, v64, v15 :: v_dual_lshlrev_b32 v67, 16, v30
	s_delay_alu instid0(VALU_DEP_3) | instskip(SKIP_1) | instid1(VALU_DEP_4)
	v_fmac_f32_e32 v12, v65, v11
	v_fmac_f32_e32 v27, v28, v11
	v_dual_fmac_f32 v25, v22, v15 :: v_dual_lshlrev_b32 v66, 16, v29
	v_and_b32_e32 v29, 0xffff0000, v29
	v_and_b32_e32 v15, 0xffff0000, v54
	s_delay_alu instid0(VALU_DEP_2) | instskip(NEXT) | instid1(VALU_DEP_4)
	v_dual_fmac_f32 v25, v29, v11 :: v_dual_and_b32 v30, 0xffff0000, v30
	v_dual_fmac_f32 v26, v66, v11 :: v_dual_lshlrev_b32 v69, 16, v32
	v_lshlrev_b32_e32 v71, 16, v34
	v_lshlrev_b32_e32 v11, 16, v55
	v_fmac_f32_e32 v12, v67, v15
	v_dual_fmac_f32 v25, v31, v15 :: v_dual_and_b32 v32, 0xffff0000, v32
	v_dual_fmac_f32 v27, v30, v15 :: v_dual_lshlrev_b32 v70, 16, v33
	v_dual_fmac_f32 v26, v68, v15 :: v_dual_and_b32 v33, 0xffff0000, v33
	v_and_b32_e32 v34, 0xffff0000, v34
	v_dual_fmac_f32 v12, v69, v11 :: v_dual_lshlrev_b32 v73, 16, v36
	v_and_b32_e32 v15, 0xffff0000, v55
	v_fmac_f32_e32 v27, v32, v11
	v_fmac_f32_e32 v26, v70, v11
	v_dual_fmac_f32 v25, v33, v11 :: v_dual_lshlrev_b32 v74, 16, v37
	v_and_b32_e32 v37, 0xffff0000, v37
	s_delay_alu instid0(VALU_DEP_4)
	v_dual_fmac_f32 v27, v34, v15 :: v_dual_and_b32 v36, 0xffff0000, v36
	v_dual_fmac_f32 v12, v71, v15 :: v_dual_lshlrev_b32 v75, 16, v38
	v_dual_fmac_f32 v26, v72, v15 :: v_dual_lshlrev_b32 v77, 16, v40
	v_lshlrev_b32_e32 v11, 16, v56
	v_dual_fmac_f32 v25, v35, v15 :: v_dual_and_b32 v38, 0xffff0000, v38
	v_and_b32_e32 v40, 0xffff0000, v40
	s_delay_alu instid0(VALU_DEP_3) | instskip(SKIP_4) | instid1(VALU_DEP_4)
	v_dual_fmac_f32 v26, v74, v11 :: v_dual_lshlrev_b32 v79, 16, v42
	v_dual_fmac_f32 v12, v73, v11 :: v_dual_and_b32 v15, 0xffff0000, v56
	v_dual_fmac_f32 v27, v36, v11 :: v_dual_lshlrev_b32 v78, 16, v41
	v_and_b32_e32 v41, 0xffff0000, v41
	v_dual_fmac_f32 v25, v37, v11 :: v_dual_and_b32 v42, 0xffff0000, v42
	v_dual_fmac_f32 v12, v75, v15 :: v_dual_lshlrev_b32 v81, 16, v44
	v_lshlrev_b32_e32 v11, 16, v57
	v_fmac_f32_e32 v27, v38, v15
	v_fmac_f32_e32 v26, v76, v15
	v_dual_fmac_f32 v25, v39, v15 :: v_dual_lshlrev_b32 v82, 16, v45
	v_and_b32_e32 v45, 0xffff0000, v45
	s_delay_alu instid0(VALU_DEP_4)
	v_dual_fmac_f32 v27, v40, v11 :: v_dual_and_b32 v44, 0xffff0000, v44
	v_dual_fmac_f32 v12, v77, v11 :: v_dual_lshlrev_b32 v83, 16, v46
	v_dual_fmac_f32 v26, v78, v11 :: v_dual_lshlrev_b32 v85, 16, v48
	v_and_b32_e32 v15, 0xffff0000, v57
	v_dual_fmac_f32 v25, v41, v11 :: v_dual_and_b32 v46, 0xffff0000, v46
	v_and_b32_e32 v48, 0xffff0000, v48
	s_delay_alu instid0(VALU_DEP_3) | instskip(SKIP_4) | instid1(VALU_DEP_4)
	v_dual_fmac_f32 v26, v80, v15 :: v_dual_lshlrev_b32 v87, 16, v50
	v_dual_fmac_f32 v12, v79, v15 :: v_dual_lshlrev_b32 v11, 16, v52
	;; [unrolled: 1-line block ×3, first 2 shown]
	v_and_b32_e32 v49, 0xffff0000, v49
	v_dual_fmac_f32 v25, v43, v15 :: v_dual_and_b32 v50, 0xffff0000, v50
	v_dual_fmac_f32 v12, v81, v11 :: v_dual_and_b32 v15, 0xffff0000, v52
	s_delay_alu instid0(VALU_DEP_4) | instskip(SKIP_1) | instid1(VALU_DEP_4)
	v_fmac_f32_e32 v27, v44, v11
	v_fmac_f32_e32 v26, v82, v11
	;; [unrolled: 1-line block ×3, first 2 shown]
	s_delay_alu instid0(VALU_DEP_4) | instskip(NEXT) | instid1(VALU_DEP_4)
	v_dual_fmac_f32 v12, v83, v15 :: v_dual_lshlrev_b32 v11, 16, v53
	v_fmac_f32_e32 v27, v46, v15
	s_delay_alu instid0(VALU_DEP_4) | instskip(NEXT) | instid1(VALU_DEP_4)
	v_fmac_f32_e32 v26, v84, v15
	v_fmac_f32_e32 v25, v47, v15
	s_delay_alu instid0(VALU_DEP_4) | instskip(NEXT) | instid1(VALU_DEP_4)
	v_dual_fmac_f32 v12, v85, v11 :: v_dual_and_b32 v15, 0xffff0000, v53
	v_fmac_f32_e32 v27, v48, v11
	s_delay_alu instid0(VALU_DEP_4) | instskip(NEXT) | instid1(VALU_DEP_4)
	v_fmac_f32_e32 v26, v86, v11
	v_fmac_f32_e32 v25, v49, v11
	s_delay_alu instid0(VALU_DEP_4) | instskip(NEXT) | instid1(VALU_DEP_4)
	v_fmac_f32_e32 v12, v87, v15
	;; [unrolled: 3-line block ×3, first 2 shown]
	v_fmac_f32_e32 v25, v51, v15
	s_wait_alu 0xfffe
	s_and_not1_b32 exec_lo, exec_lo, s6
	s_cbranch_execnz .LBB118_35
; %bb.36:
	s_or_b32 exec_lo, exec_lo, s6
.LBB118_37:
	s_wait_alu 0xfffe
	s_or_b32 exec_lo, exec_lo, s2
.LBB118_38:
	s_wait_alu 0xfffe
	s_or_b32 exec_lo, exec_lo, s3
.LBB118_39:
	v_mbcnt_lo_u32_b32 v1, -1, 0
	s_mov_b32 s2, -1
	s_delay_alu instid0(VALU_DEP_1) | instskip(SKIP_1) | instid1(VALU_DEP_2)
	v_xor_b32_e32 v2, 16, v1
	v_xor_b32_e32 v8, 8, v1
	v_cmp_gt_i32_e32 vcc_lo, 32, v2
	s_wait_alu 0xfffd
	v_cndmask_b32_e32 v2, v1, v2, vcc_lo
	s_delay_alu instid0(VALU_DEP_3) | instskip(NEXT) | instid1(VALU_DEP_2)
	v_cmp_gt_i32_e32 vcc_lo, 32, v8
	v_lshlrev_b32_e32 v2, 2, v2
	ds_bpermute_b32 v7, v2, v26
	s_wait_dscnt 0x0
	v_add_f32_e32 v7, v26, v7
	ds_bpermute_b32 v5, v2, v12
	s_wait_alu 0xfffd
	v_cndmask_b32_e32 v8, v1, v8, vcc_lo
	ds_bpermute_b32 v6, v2, v27
	ds_bpermute_b32 v2, v2, v25
	s_wait_dscnt 0x2
	v_dual_add_f32 v5, v12, v5 :: v_dual_lshlrev_b32 v8, 2, v8
	v_xor_b32_e32 v12, 4, v1
	s_wait_dscnt 0x0
	v_add_f32_e32 v2, v25, v2
	ds_bpermute_b32 v9, v8, v5
	v_cmp_gt_i32_e32 vcc_lo, 32, v12
	s_wait_dscnt 0x0
	v_add_f32_e32 v5, v5, v9
	ds_bpermute_b32 v11, v8, v7
	v_add_f32_e32 v6, v27, v6
	ds_bpermute_b32 v10, v8, v6
	ds_bpermute_b32 v8, v8, v2
	s_wait_dscnt 0x2
	s_wait_alu 0xfffd
	v_dual_add_f32 v7, v7, v11 :: v_dual_cndmask_b32 v12, v1, v12
	s_delay_alu instid0(VALU_DEP_1)
	v_lshlrev_b32_e32 v12, 2, v12
	s_wait_dscnt 0x0
	v_add_f32_e32 v2, v2, v8
	ds_bpermute_b32 v8, v12, v5
	ds_bpermute_b32 v11, v12, v2
	s_wait_dscnt 0x1
	v_dual_add_f32 v5, v5, v8 :: v_dual_add_f32 v6, v6, v10
	ds_bpermute_b32 v10, v12, v7
	s_wait_dscnt 0x1
	v_add_f32_e32 v8, v2, v11
	ds_bpermute_b32 v9, v12, v6
	v_xor_b32_e32 v12, 2, v1
	s_delay_alu instid0(VALU_DEP_1) | instskip(SKIP_3) | instid1(VALU_DEP_1)
	v_cmp_gt_i32_e32 vcc_lo, 32, v12
	s_wait_alu 0xfffd
	v_cndmask_b32_e32 v12, v1, v12, vcc_lo
	s_wait_dscnt 0x1
	v_dual_add_f32 v7, v7, v10 :: v_dual_lshlrev_b32 v12, 2, v12
	s_wait_dscnt 0x0
	v_add_f32_e32 v6, v6, v9
	ds_bpermute_b32 v2, v12, v5
	ds_bpermute_b32 v10, v12, v7
	;; [unrolled: 1-line block ×4, first 2 shown]
	v_xor_b32_e32 v12, 1, v1
	s_delay_alu instid0(VALU_DEP_1) | instskip(SKIP_4) | instid1(VALU_DEP_2)
	v_cmp_gt_i32_e32 vcc_lo, 32, v12
	s_wait_alu 0xfffd
	v_cndmask_b32_e32 v1, v1, v12, vcc_lo
	v_cmp_eq_u32_e32 vcc_lo, 31, v0
	s_wait_dscnt 0x3
	v_dual_add_f32 v1, v5, v2 :: v_dual_lshlrev_b32 v12, 2, v1
	s_wait_dscnt 0x0
	v_dual_add_f32 v5, v7, v10 :: v_dual_add_f32 v2, v6, v9
	v_add_f32_e32 v6, v8, v11
	ds_bpermute_b32 v7, v12, v1
	ds_bpermute_b32 v9, v12, v5
	;; [unrolled: 1-line block ×4, first 2 shown]
	s_and_b32 exec_lo, exec_lo, vcc_lo
	s_cbranch_execz .LBB118_10
; %bb.40:
	s_load_b64 s[0:1], s[0:1], 0x58
	s_wait_dscnt 0x1
	v_dual_add_f32 v0, v1, v7 :: v_dual_add_f32 v1, v2, v8
	s_wait_dscnt 0x0
	v_add_f32_e32 v6, v6, v10
	s_cmp_eq_f32 s16, 0
	s_delay_alu instid0(VALU_DEP_2) | instskip(SKIP_3) | instid1(VALU_DEP_3)
	v_dual_mul_f32 v0, s12, v0 :: v_dual_mul_f32 v1, s12, v1
	v_add_f32_e32 v2, v5, v9
	v_lshlrev_b64_e32 v[4:5], 4, v[3:4]
	v_mul_f32_e32 v3, s12, v6
	v_mul_f32_e32 v2, s12, v2
	s_cbranch_scc0 .LBB118_42
; %bb.41:
	s_wait_kmcnt 0x0
	s_delay_alu instid0(VALU_DEP_3)
	v_add_co_u32 v6, vcc_lo, s0, v4
	s_wait_alu 0xfffd
	v_add_co_ci_u32_e64 v7, null, s1, v5, vcc_lo
	s_mov_b32 s2, 0
	global_store_b128 v[6:7], v[0:3], off
.LBB118_42:
	s_wait_alu 0xfffe
	s_and_not1_b32 vcc_lo, exec_lo, s2
	s_wait_alu 0xfffe
	s_cbranch_vccnz .LBB118_10
; %bb.43:
	s_wait_kmcnt 0x0
	v_add_co_u32 v8, vcc_lo, s0, v4
	s_wait_alu 0xfffd
	v_add_co_ci_u32_e64 v9, null, s1, v5, vcc_lo
	global_load_b128 v[4:7], v[8:9], off
	s_wait_loadcnt 0x0
	v_dual_fmac_f32 v0, s16, v4 :: v_dual_fmac_f32 v1, s16, v5
	v_dual_fmac_f32 v2, s16, v6 :: v_dual_fmac_f32 v3, s16, v7
	global_store_b128 v[8:9], v[0:3], off
	s_endpgm
	.section	.rodata,"a",@progbits
	.p2align	6, 0x0
	.amdhsa_kernel _ZN9rocsparseL18bsrxmvn_4x4_kernelILj128ELj32Efll18rocsparse_bfloat16S1_fEEvT3_20rocsparse_direction_NS_24const_host_device_scalarIT1_EES2_PKS2_PKT2_SB_S8_PKT4_PKT5_S6_PT6_21rocsparse_index_base_b
		.amdhsa_group_segment_fixed_size 0
		.amdhsa_private_segment_fixed_size 0
		.amdhsa_kernarg_size 104
		.amdhsa_user_sgpr_count 2
		.amdhsa_user_sgpr_dispatch_ptr 0
		.amdhsa_user_sgpr_queue_ptr 0
		.amdhsa_user_sgpr_kernarg_segment_ptr 1
		.amdhsa_user_sgpr_dispatch_id 0
		.amdhsa_user_sgpr_private_segment_size 0
		.amdhsa_wavefront_size32 1
		.amdhsa_uses_dynamic_stack 0
		.amdhsa_enable_private_segment 0
		.amdhsa_system_sgpr_workgroup_id_x 1
		.amdhsa_system_sgpr_workgroup_id_y 0
		.amdhsa_system_sgpr_workgroup_id_z 0
		.amdhsa_system_sgpr_workgroup_info 0
		.amdhsa_system_vgpr_workitem_id 0
		.amdhsa_next_free_vgpr 96
		.amdhsa_next_free_sgpr 18
		.amdhsa_reserve_vcc 1
		.amdhsa_float_round_mode_32 0
		.amdhsa_float_round_mode_16_64 0
		.amdhsa_float_denorm_mode_32 3
		.amdhsa_float_denorm_mode_16_64 3
		.amdhsa_fp16_overflow 0
		.amdhsa_workgroup_processor_mode 1
		.amdhsa_memory_ordered 1
		.amdhsa_forward_progress 1
		.amdhsa_inst_pref_size 45
		.amdhsa_round_robin_scheduling 0
		.amdhsa_exception_fp_ieee_invalid_op 0
		.amdhsa_exception_fp_denorm_src 0
		.amdhsa_exception_fp_ieee_div_zero 0
		.amdhsa_exception_fp_ieee_overflow 0
		.amdhsa_exception_fp_ieee_underflow 0
		.amdhsa_exception_fp_ieee_inexact 0
		.amdhsa_exception_int_div_zero 0
	.end_amdhsa_kernel
	.section	.text._ZN9rocsparseL18bsrxmvn_4x4_kernelILj128ELj32Efll18rocsparse_bfloat16S1_fEEvT3_20rocsparse_direction_NS_24const_host_device_scalarIT1_EES2_PKS2_PKT2_SB_S8_PKT4_PKT5_S6_PT6_21rocsparse_index_base_b,"axG",@progbits,_ZN9rocsparseL18bsrxmvn_4x4_kernelILj128ELj32Efll18rocsparse_bfloat16S1_fEEvT3_20rocsparse_direction_NS_24const_host_device_scalarIT1_EES2_PKS2_PKT2_SB_S8_PKT4_PKT5_S6_PT6_21rocsparse_index_base_b,comdat
.Lfunc_end118:
	.size	_ZN9rocsparseL18bsrxmvn_4x4_kernelILj128ELj32Efll18rocsparse_bfloat16S1_fEEvT3_20rocsparse_direction_NS_24const_host_device_scalarIT1_EES2_PKS2_PKT2_SB_S8_PKT4_PKT5_S6_PT6_21rocsparse_index_base_b, .Lfunc_end118-_ZN9rocsparseL18bsrxmvn_4x4_kernelILj128ELj32Efll18rocsparse_bfloat16S1_fEEvT3_20rocsparse_direction_NS_24const_host_device_scalarIT1_EES2_PKS2_PKT2_SB_S8_PKT4_PKT5_S6_PT6_21rocsparse_index_base_b
                                        ; -- End function
	.set _ZN9rocsparseL18bsrxmvn_4x4_kernelILj128ELj32Efll18rocsparse_bfloat16S1_fEEvT3_20rocsparse_direction_NS_24const_host_device_scalarIT1_EES2_PKS2_PKT2_SB_S8_PKT4_PKT5_S6_PT6_21rocsparse_index_base_b.num_vgpr, 96
	.set _ZN9rocsparseL18bsrxmvn_4x4_kernelILj128ELj32Efll18rocsparse_bfloat16S1_fEEvT3_20rocsparse_direction_NS_24const_host_device_scalarIT1_EES2_PKS2_PKT2_SB_S8_PKT4_PKT5_S6_PT6_21rocsparse_index_base_b.num_agpr, 0
	.set _ZN9rocsparseL18bsrxmvn_4x4_kernelILj128ELj32Efll18rocsparse_bfloat16S1_fEEvT3_20rocsparse_direction_NS_24const_host_device_scalarIT1_EES2_PKS2_PKT2_SB_S8_PKT4_PKT5_S6_PT6_21rocsparse_index_base_b.numbered_sgpr, 18
	.set _ZN9rocsparseL18bsrxmvn_4x4_kernelILj128ELj32Efll18rocsparse_bfloat16S1_fEEvT3_20rocsparse_direction_NS_24const_host_device_scalarIT1_EES2_PKS2_PKT2_SB_S8_PKT4_PKT5_S6_PT6_21rocsparse_index_base_b.num_named_barrier, 0
	.set _ZN9rocsparseL18bsrxmvn_4x4_kernelILj128ELj32Efll18rocsparse_bfloat16S1_fEEvT3_20rocsparse_direction_NS_24const_host_device_scalarIT1_EES2_PKS2_PKT2_SB_S8_PKT4_PKT5_S6_PT6_21rocsparse_index_base_b.private_seg_size, 0
	.set _ZN9rocsparseL18bsrxmvn_4x4_kernelILj128ELj32Efll18rocsparse_bfloat16S1_fEEvT3_20rocsparse_direction_NS_24const_host_device_scalarIT1_EES2_PKS2_PKT2_SB_S8_PKT4_PKT5_S6_PT6_21rocsparse_index_base_b.uses_vcc, 1
	.set _ZN9rocsparseL18bsrxmvn_4x4_kernelILj128ELj32Efll18rocsparse_bfloat16S1_fEEvT3_20rocsparse_direction_NS_24const_host_device_scalarIT1_EES2_PKS2_PKT2_SB_S8_PKT4_PKT5_S6_PT6_21rocsparse_index_base_b.uses_flat_scratch, 0
	.set _ZN9rocsparseL18bsrxmvn_4x4_kernelILj128ELj32Efll18rocsparse_bfloat16S1_fEEvT3_20rocsparse_direction_NS_24const_host_device_scalarIT1_EES2_PKS2_PKT2_SB_S8_PKT4_PKT5_S6_PT6_21rocsparse_index_base_b.has_dyn_sized_stack, 0
	.set _ZN9rocsparseL18bsrxmvn_4x4_kernelILj128ELj32Efll18rocsparse_bfloat16S1_fEEvT3_20rocsparse_direction_NS_24const_host_device_scalarIT1_EES2_PKS2_PKT2_SB_S8_PKT4_PKT5_S6_PT6_21rocsparse_index_base_b.has_recursion, 0
	.set _ZN9rocsparseL18bsrxmvn_4x4_kernelILj128ELj32Efll18rocsparse_bfloat16S1_fEEvT3_20rocsparse_direction_NS_24const_host_device_scalarIT1_EES2_PKS2_PKT2_SB_S8_PKT4_PKT5_S6_PT6_21rocsparse_index_base_b.has_indirect_call, 0
	.section	.AMDGPU.csdata,"",@progbits
; Kernel info:
; codeLenInByte = 5652
; TotalNumSgprs: 20
; NumVgprs: 96
; ScratchSize: 0
; MemoryBound: 0
; FloatMode: 240
; IeeeMode: 1
; LDSByteSize: 0 bytes/workgroup (compile time only)
; SGPRBlocks: 0
; VGPRBlocks: 11
; NumSGPRsForWavesPerEU: 20
; NumVGPRsForWavesPerEU: 96
; Occupancy: 16
; WaveLimiterHint : 1
; COMPUTE_PGM_RSRC2:SCRATCH_EN: 0
; COMPUTE_PGM_RSRC2:USER_SGPR: 2
; COMPUTE_PGM_RSRC2:TRAP_HANDLER: 0
; COMPUTE_PGM_RSRC2:TGID_X_EN: 1
; COMPUTE_PGM_RSRC2:TGID_Y_EN: 0
; COMPUTE_PGM_RSRC2:TGID_Z_EN: 0
; COMPUTE_PGM_RSRC2:TIDIG_COMP_CNT: 0
	.section	.text._ZN9rocsparseL18bsrxmvn_4x4_kernelILj128ELj64Efll18rocsparse_bfloat16S1_fEEvT3_20rocsparse_direction_NS_24const_host_device_scalarIT1_EES2_PKS2_PKT2_SB_S8_PKT4_PKT5_S6_PT6_21rocsparse_index_base_b,"axG",@progbits,_ZN9rocsparseL18bsrxmvn_4x4_kernelILj128ELj64Efll18rocsparse_bfloat16S1_fEEvT3_20rocsparse_direction_NS_24const_host_device_scalarIT1_EES2_PKS2_PKT2_SB_S8_PKT4_PKT5_S6_PT6_21rocsparse_index_base_b,comdat
	.globl	_ZN9rocsparseL18bsrxmvn_4x4_kernelILj128ELj64Efll18rocsparse_bfloat16S1_fEEvT3_20rocsparse_direction_NS_24const_host_device_scalarIT1_EES2_PKS2_PKT2_SB_S8_PKT4_PKT5_S6_PT6_21rocsparse_index_base_b ; -- Begin function _ZN9rocsparseL18bsrxmvn_4x4_kernelILj128ELj64Efll18rocsparse_bfloat16S1_fEEvT3_20rocsparse_direction_NS_24const_host_device_scalarIT1_EES2_PKS2_PKT2_SB_S8_PKT4_PKT5_S6_PT6_21rocsparse_index_base_b
	.p2align	8
	.type	_ZN9rocsparseL18bsrxmvn_4x4_kernelILj128ELj64Efll18rocsparse_bfloat16S1_fEEvT3_20rocsparse_direction_NS_24const_host_device_scalarIT1_EES2_PKS2_PKT2_SB_S8_PKT4_PKT5_S6_PT6_21rocsparse_index_base_b,@function
_ZN9rocsparseL18bsrxmvn_4x4_kernelILj128ELj64Efll18rocsparse_bfloat16S1_fEEvT3_20rocsparse_direction_NS_24const_host_device_scalarIT1_EES2_PKS2_PKT2_SB_S8_PKT4_PKT5_S6_PT6_21rocsparse_index_base_b: ; @_ZN9rocsparseL18bsrxmvn_4x4_kernelILj128ELj64Efll18rocsparse_bfloat16S1_fEEvT3_20rocsparse_direction_NS_24const_host_device_scalarIT1_EES2_PKS2_PKT2_SB_S8_PKT4_PKT5_S6_PT6_21rocsparse_index_base_b
; %bb.0:
	s_clause 0x2
	s_load_b64 s[2:3], s[0:1], 0x60
	s_load_b128 s[12:15], s[0:1], 0x10
	s_load_b64 s[16:17], s[0:1], 0x50
	s_wait_kmcnt 0x0
	s_bitcmp1_b32 s3, 0
	s_cselect_b32 s3, -1, 0
	s_delay_alu instid0(SALU_CYCLE_1)
	s_and_b32 vcc_lo, exec_lo, s3
	s_xor_b32 s3, s3, -1
	s_cbranch_vccnz .LBB119_2
; %bb.1:
	s_load_b32 s12, s[12:13], 0x0
.LBB119_2:
	s_and_not1_b32 vcc_lo, exec_lo, s3
	s_cbranch_vccnz .LBB119_4
; %bb.3:
	s_load_b32 s16, s[16:17], 0x0
.LBB119_4:
	s_wait_kmcnt 0x0
	s_cmp_neq_f32 s12, 0
	s_mov_b32 s6, 0
	s_cselect_b32 s3, -1, 0
	s_cmp_neq_f32 s16, 1.0
	s_cselect_b32 s4, -1, 0
	s_delay_alu instid0(SALU_CYCLE_1) | instskip(NEXT) | instid1(SALU_CYCLE_1)
	s_or_b32 s3, s3, s4
	s_and_not1_b32 vcc_lo, exec_lo, s3
	s_cbranch_vccnz .LBB119_10
; %bb.5:
	s_load_b64 s[4:5], s[0:1], 0x20
	v_lshrrev_b32_e32 v1, 6, v0
	v_mov_b32_e32 v6, 0
	s_delay_alu instid0(VALU_DEP_2)
	v_lshl_or_b32 v5, ttmp9, 1, v1
	s_wait_kmcnt 0x0
	s_cmp_lg_u64 s[4:5], 0
	s_cbranch_scc0 .LBB119_11
; %bb.6:
	s_mov_b32 s7, 0
                                        ; implicit-def: $vgpr3_vgpr4
                                        ; implicit-def: $vgpr1_vgpr2
	s_mov_b32 s3, exec_lo
	v_cmpx_gt_i64_e64 s[14:15], v[5:6]
	s_xor_b32 s8, exec_lo, s3
	s_cbranch_execz .LBB119_8
; %bb.7:
	v_lshlrev_b64_e32 v[1:2], 3, v[5:6]
	s_mov_b32 s3, 0
	s_mov_b32 s6, exec_lo
	s_delay_alu instid0(VALU_DEP_1) | instskip(NEXT) | instid1(VALU_DEP_1)
	v_add_co_u32 v1, vcc_lo, s4, v1
	v_add_co_ci_u32_e64 v2, null, s5, v2, vcc_lo
	global_load_b64 v[1:2], v[1:2], off
	s_wait_loadcnt 0x0
	v_sub_co_u32 v3, vcc_lo, v1, s2
	s_wait_alu 0xfffd
	v_subrev_co_ci_u32_e64 v4, null, 0, v2, vcc_lo
	v_dual_mov_b32 v1, s2 :: v_dual_mov_b32 v2, s3
.LBB119_8:
	s_or_b32 exec_lo, exec_lo, s8
	s_delay_alu instid0(SALU_CYCLE_1)
	s_and_b32 vcc_lo, exec_lo, s7
	s_wait_alu 0xfffe
	s_cbranch_vccnz .LBB119_12
.LBB119_9:
	s_and_saveexec_b32 s2, s6
	s_cbranch_execnz .LBB119_15
.LBB119_10:
	s_endpgm
.LBB119_11:
                                        ; implicit-def: $vgpr3_vgpr4
                                        ; implicit-def: $vgpr1_vgpr2
	s_cbranch_execz .LBB119_9
.LBB119_12:
	s_load_b64 s[4:5], s[0:1], 0x0
	s_wait_kmcnt 0x0
	v_cmp_gt_i64_e32 vcc_lo, s[4:5], v[5:6]
	s_and_saveexec_b32 s4, vcc_lo
; %bb.13:
	s_mov_b32 s3, 0
	s_or_b32 s6, s6, exec_lo
; %bb.14:
	s_wait_alu 0xfffe
	s_or_b32 exec_lo, exec_lo, s4
	v_dual_mov_b32 v1, s2 :: v_dual_mov_b32 v2, s3
	v_dual_mov_b32 v3, v5 :: v_dual_mov_b32 v4, v6
	s_and_saveexec_b32 s2, s6
	s_cbranch_execz .LBB119_10
.LBB119_15:
	s_load_b256 s[4:11], s[0:1], 0x28
	s_delay_alu instid0(VALU_DEP_1) | instskip(SKIP_3) | instid1(VALU_DEP_2)
	v_lshlrev_b64_e32 v[5:6], 3, v[3:4]
	v_dual_mov_b32 v25, 0 :: v_dual_and_b32 v0, 63, v0
	s_load_b32 s3, s[0:1], 0x8
	s_wait_kmcnt 0x0
	v_add_co_u32 v7, vcc_lo, s4, v5
	s_wait_alu 0xfffd
	v_add_co_ci_u32_e64 v8, null, s5, v6, vcc_lo
	v_add_co_u32 v5, vcc_lo, s6, v5
	s_wait_alu 0xfffd
	v_add_co_ci_u32_e64 v6, null, s7, v6, vcc_lo
	v_add_co_u32 v9, vcc_lo, v7, 8
	global_load_b64 v[13:14], v[7:8], off
	s_wait_alu 0xfffd
	v_add_co_ci_u32_e64 v10, null, 0, v8, vcc_lo
	s_cmp_eq_u64 s[6:7], 0
	s_load_b64 s[4:5], s[0:1], 0x48
	s_cselect_b32 vcc_lo, -1, 0
	s_cmp_eq_u32 s3, 1
	s_wait_alu 0xfffe
	v_dual_cndmask_b32 v6, v6, v10 :: v_dual_cndmask_b32 v5, v5, v9
	global_load_b64 v[7:8], v[5:6], off
	s_wait_loadcnt 0x1
	v_sub_co_u32 v5, vcc_lo, v13, v1
	s_wait_alu 0xfffd
	v_sub_co_ci_u32_e64 v6, null, v14, v2, vcc_lo
	s_delay_alu instid0(VALU_DEP_2) | instskip(SKIP_1) | instid1(VALU_DEP_2)
	v_add_co_u32 v5, vcc_lo, v5, v0
	s_wait_alu 0xfffd
	v_add_co_ci_u32_e64 v6, null, 0, v6, vcc_lo
	s_delay_alu instid0(VALU_DEP_1) | instskip(SKIP_4) | instid1(VALU_DEP_3)
	v_lshlrev_b64_e32 v[9:10], 5, v[5:6]
	s_wait_loadcnt 0x0
	v_sub_co_u32 v7, vcc_lo, v7, v1
	s_wait_alu 0xfffd
	v_sub_co_ci_u32_e64 v8, null, v8, v2, vcc_lo
	v_add_co_u32 v9, vcc_lo, s10, v9
	s_delay_alu instid0(VALU_DEP_2)
	v_cmp_lt_i64_e64 s2, v[5:6], v[7:8]
	s_wait_alu 0xfffd
	v_add_co_ci_u32_e64 v10, null, s11, v10, vcc_lo
	s_cbranch_scc1 .LBB119_27
; %bb.16:
	v_dual_mov_b32 v26, 0 :: v_dual_mov_b32 v27, 0
	v_mov_b32_e32 v12, 0
	s_and_saveexec_b32 s6, s2
	s_cbranch_execz .LBB119_26
; %bb.17:
	v_or_b32_e32 v11, 64, v0
	v_not_b32_e32 v16, v13
	v_sub_co_u32 v17, s3, v1, v0
	v_not_b32_e32 v15, v14
	s_delay_alu instid0(VALU_DEP_4)
	v_sub_co_u32 v11, vcc_lo, v11, v1
	s_wait_alu 0xfffd
	v_sub_co_ci_u32_e64 v12, null, 0, v2, vcc_lo
	s_wait_alu 0xf1ff
	v_subrev_co_ci_u32_e64 v18, null, 0, v2, s3
	v_add_co_u32 v11, vcc_lo, v11, v13
	s_wait_alu 0xfffd
	v_add_co_ci_u32_e64 v12, null, v12, v14, vcc_lo
	s_mov_b32 s3, exec_lo
	v_cmp_gt_i64_e32 vcc_lo, v[11:12], v[7:8]
	s_wait_alu 0xfffd
	v_dual_cndmask_b32 v20, v8, v12 :: v_dual_cndmask_b32 v11, v7, v11
	v_add_co_u32 v12, vcc_lo, v17, v16
	s_wait_alu 0xfffd
	v_add_co_ci_u32_e64 v15, null, v18, v15, vcc_lo
	v_mov_b32_e32 v18, v10
	s_delay_alu instid0(VALU_DEP_3) | instskip(SKIP_3) | instid1(VALU_DEP_3)
	v_add_co_u32 v19, vcc_lo, v12, v11
	v_mov_b32_e32 v12, 0
	s_wait_alu 0xfffd
	v_add_co_ci_u32_e64 v20, null, v15, v20, vcc_lo
	v_dual_mov_b32 v16, v6 :: v_dual_and_b32 v11, 0xc0, v19
	s_delay_alu instid0(VALU_DEP_3)
	v_mov_b32_e32 v25, v12
	v_mov_b32_e32 v15, v5
	v_dual_mov_b32 v27, v12 :: v_dual_mov_b32 v26, v12
	v_mov_b32_e32 v17, v9
	v_cmpx_ne_u64_e32 0xc0, v[11:12]
	s_cbranch_execz .LBB119_21
; %bb.18:
	v_lshrrev_b32_e32 v11, 6, v19
	v_dual_mov_b32 v25, 0 :: v_dual_mov_b32 v18, v10
	v_dual_mov_b32 v17, v9 :: v_dual_mov_b32 v26, 0
	s_delay_alu instid0(VALU_DEP_3) | instskip(SKIP_3) | instid1(VALU_DEP_4)
	v_dual_mov_b32 v16, v6 :: v_dual_add_nc_u32 v21, 1, v11
	v_lshlrev_b64_e32 v[11:12], 3, v[5:6]
	v_mov_b32_e32 v15, v5
	v_mov_b32_e32 v27, 0
	v_and_b32_e32 v23, 3, v21
	s_delay_alu instid0(VALU_DEP_4) | instskip(NEXT) | instid1(VALU_DEP_2)
	v_add_co_u32 v21, vcc_lo, s8, v11
	v_sub_co_u32 v23, s7, 0, v23
	s_wait_alu 0xfffd
	v_add_co_ci_u32_e64 v22, null, s9, v12, vcc_lo
	s_wait_alu 0xf1ff
	v_sub_co_ci_u32_e64 v24, null, 0, 0, s7
	v_mov_b32_e32 v12, 0
	s_mov_b32 s7, 0
.LBB119_19:                             ; =>This Inner Loop Header: Depth=1
	global_load_b64 v[32:33], v[21:22], off
	global_load_b128 v[28:31], v[17:18], off
	s_wait_loadcnt 0x1
	v_sub_co_u32 v32, vcc_lo, v32, v1
	s_wait_alu 0xfffd
	v_sub_co_ci_u32_e64 v33, null, v33, v2, vcc_lo
	s_delay_alu instid0(VALU_DEP_1) | instskip(SKIP_1) | instid1(VALU_DEP_1)
	v_lshlrev_b64_e32 v[32:33], 3, v[32:33]
	s_wait_kmcnt 0x0
	v_add_co_u32 v36, vcc_lo, s4, v32
	s_wait_alu 0xfffd
	s_delay_alu instid0(VALU_DEP_2)
	v_add_co_ci_u32_e64 v37, null, s5, v33, vcc_lo
	global_load_b128 v[32:35], v[17:18], off offset:16
	global_load_b64 v[36:37], v[36:37], off
	v_add_co_u32 v17, vcc_lo, 0x800, v17
	s_wait_alu 0xfffd
	v_add_co_ci_u32_e64 v18, null, 0, v18, vcc_lo
	v_add_co_u32 v15, vcc_lo, v15, 64
	s_wait_alu 0xfffd
	v_add_co_ci_u32_e64 v16, null, 0, v16, vcc_lo
	;; [unrolled: 3-line block ×4, first 2 shown]
	s_delay_alu instid0(VALU_DEP_1)
	v_cmp_eq_u64_e32 vcc_lo, 0, v[23:24]
	s_wait_alu 0xfffe
	s_or_b32 s7, vcc_lo, s7
	s_wait_loadcnt 0x1
	v_lshlrev_b32_e32 v41, 16, v32
	s_wait_loadcnt 0x0
	v_lshlrev_b32_e32 v45, 16, v36
	v_lshlrev_b32_e32 v11, 16, v28
	;; [unrolled: 1-line block ×3, first 2 shown]
	v_and_b32_e32 v36, 0xffff0000, v36
	s_delay_alu instid0(VALU_DEP_4) | instskip(NEXT) | instid1(VALU_DEP_4)
	v_dual_fmac_f32 v26, v41, v45 :: v_dual_lshlrev_b32 v39, 16, v30
	v_fmac_f32_e32 v12, v11, v45
	v_and_b32_e32 v28, 0xffff0000, v28
	v_dual_fmac_f32 v25, v43, v45 :: v_dual_and_b32 v30, 0xffff0000, v30
	s_delay_alu instid0(VALU_DEP_4) | instskip(SKIP_1) | instid1(VALU_DEP_4)
	v_fmac_f32_e32 v27, v39, v45
	v_lshlrev_b32_e32 v38, 16, v29
	v_dual_fmac_f32 v12, v28, v36 :: v_dual_and_b32 v29, 0xffff0000, v29
	v_and_b32_e32 v28, 0xffff0000, v37
	v_and_b32_e32 v34, 0xffff0000, v34
	v_lshlrev_b32_e32 v40, 16, v31
	v_lshlrev_b32_e32 v11, 16, v37
	v_dual_fmac_f32 v27, v30, v36 :: v_dual_lshlrev_b32 v44, 16, v35
	s_delay_alu instid0(VALU_DEP_4) | instskip(SKIP_1) | instid1(VALU_DEP_3)
	v_fmac_f32_e32 v25, v34, v36
	v_and_b32_e32 v32, 0xffff0000, v32
	v_dual_fmac_f32 v27, v40, v11 :: v_dual_lshlrev_b32 v42, 16, v33
	v_and_b32_e32 v31, 0xffff0000, v31
	v_fmac_f32_e32 v12, v38, v11
	s_delay_alu instid0(VALU_DEP_4)
	v_fmac_f32_e32 v26, v32, v36
	v_fmac_f32_e32 v25, v44, v11
	v_and_b32_e32 v33, 0xffff0000, v33
	v_fmac_f32_e32 v27, v31, v28
	v_fmac_f32_e32 v12, v29, v28
	;; [unrolled: 1-line block ×3, first 2 shown]
	s_delay_alu instid0(VALU_DEP_1) | instskip(NEXT) | instid1(VALU_DEP_1)
	v_dual_fmac_f32 v26, v33, v28 :: v_dual_and_b32 v35, 0xffff0000, v35
	v_fmac_f32_e32 v25, v35, v28
	s_wait_alu 0xfffe
	s_and_not1_b32 exec_lo, exec_lo, s7
	s_cbranch_execnz .LBB119_19
; %bb.20:
	s_or_b32 exec_lo, exec_lo, s7
.LBB119_21:
	s_wait_alu 0xfffe
	s_or_b32 exec_lo, exec_lo, s3
	s_delay_alu instid0(SALU_CYCLE_1)
	s_mov_b32 s7, exec_lo
	v_cmpx_lt_u64_e32 0xbf, v[19:20]
	s_cbranch_execz .LBB119_25
; %bb.22:
	v_lshlrev_b64_e32 v[19:20], 3, v[15:16]
	s_mov_b32 s10, 0
	s_delay_alu instid0(VALU_DEP_1) | instskip(SKIP_1) | instid1(VALU_DEP_2)
	v_add_co_u32 v11, vcc_lo, s8, v19
	s_wait_alu 0xfffd
	v_add_co_ci_u32_e64 v20, null, s9, v20, vcc_lo
	s_delay_alu instid0(VALU_DEP_2) | instskip(SKIP_1) | instid1(VALU_DEP_2)
	v_add_co_u32 v19, vcc_lo, 0x400, v11
	s_wait_alu 0xfffd
	v_add_co_ci_u32_e64 v20, null, 0, v20, vcc_lo
.LBB119_23:                             ; =>This Inner Loop Header: Depth=1
	s_clause 0x3
	global_load_b64 v[56:57], v[19:20], off offset:-1024
	global_load_b64 v[58:59], v[19:20], off offset:-512
	global_load_b64 v[60:61], v[19:20], off
	global_load_b64 v[62:63], v[19:20], off offset:512
	s_clause 0x7
	global_load_b128 v[21:24], v[17:18], off
	global_load_b128 v[28:31], v[17:18], off offset:16
	global_load_b128 v[32:35], v[17:18], off offset:2048
	;; [unrolled: 1-line block ×7, first 2 shown]
	s_wait_loadcnt 0xb
	v_sub_co_u32 v56, vcc_lo, v56, v1
	s_wait_alu 0xfffd
	v_sub_co_ci_u32_e64 v57, null, v57, v2, vcc_lo
	s_wait_loadcnt 0xa
	v_sub_co_u32 v58, vcc_lo, v58, v1
	s_wait_alu 0xfffd
	v_sub_co_ci_u32_e64 v59, null, v59, v2, vcc_lo
	v_lshlrev_b64_e32 v[56:57], 3, v[56:57]
	s_wait_loadcnt 0x6
	v_lshlrev_b32_e32 v67, 16, v28
	s_wait_loadcnt 0x4
	v_lshlrev_b32_e32 v77, 16, v38
	v_lshlrev_b64_e32 v[58:59], 3, v[58:59]
	v_and_b32_e32 v38, 0xffff0000, v38
	s_wait_loadcnt 0x2
	v_lshlrev_b32_e32 v85, 16, v46
	s_wait_kmcnt 0x0
	v_add_co_u32 v56, vcc_lo, s4, v56
	s_wait_alu 0xfffd
	v_add_co_ci_u32_e64 v57, null, s5, v57, vcc_lo
	v_sub_co_u32 v60, vcc_lo, v60, v1
	s_wait_alu 0xfffd
	v_sub_co_ci_u32_e64 v61, null, v61, v2, vcc_lo
	global_load_b64 v[56:57], v[56:57], off
	v_add_co_u32 v58, vcc_lo, s4, v58
	s_wait_alu 0xfffd
	v_add_co_ci_u32_e64 v59, null, s5, v59, vcc_lo
	v_lshlrev_b64_e32 v[60:61], 3, v[60:61]
	v_sub_co_u32 v62, vcc_lo, v62, v1
	global_load_b64 v[58:59], v[58:59], off
	s_wait_alu 0xfffd
	v_sub_co_ci_u32_e64 v63, null, v63, v2, vcc_lo
	v_add_co_u32 v60, s3, s4, v60
	s_wait_alu 0xf1ff
	v_add_co_ci_u32_e64 v61, null, s5, v61, s3
	s_delay_alu instid0(VALU_DEP_3)
	v_lshlrev_b64_e32 v[62:63], 3, v[62:63]
	v_and_b32_e32 v46, 0xffff0000, v46
	s_wait_loadcnt 0x2
	v_lshlrev_b32_e32 v93, 16, v54
	global_load_b64 v[60:61], v[60:61], off
	v_and_b32_e32 v54, 0xffff0000, v54
	v_add_co_u32 v62, vcc_lo, s4, v62
	s_wait_alu 0xfffd
	v_add_co_ci_u32_e64 v63, null, s5, v63, vcc_lo
	v_add_co_u32 v17, vcc_lo, 0x2000, v17
	s_wait_alu 0xfffd
	v_add_co_ci_u32_e64 v18, null, 0, v18, vcc_lo
	global_load_b64 v[62:63], v[62:63], off
	v_add_co_u32 v15, vcc_lo, 0x100, v15
	s_wait_alu 0xfffd
	v_add_co_ci_u32_e64 v16, null, 0, v16, vcc_lo
	v_add_co_u32 v19, vcc_lo, 0x800, v19
	s_wait_alu 0xfffd
	v_add_co_ci_u32_e64 v20, null, 0, v20, vcc_lo
	s_delay_alu instid0(VALU_DEP_3)
	v_cmp_ge_i64_e32 vcc_lo, v[15:16], v[7:8]
	s_wait_alu 0xfffe
	s_or_b32 s10, vcc_lo, s10
	s_wait_loadcnt 0x3
	v_lshlrev_b32_e32 v95, 16, v56
	v_lshlrev_b32_e32 v11, 16, v21
	v_and_b32_e32 v56, 0xffff0000, v56
	s_delay_alu instid0(VALU_DEP_3) | instskip(NEXT) | instid1(VALU_DEP_3)
	v_dual_fmac_f32 v26, v67, v95 :: v_dual_and_b32 v21, 0xffff0000, v21
	v_fmac_f32_e32 v12, v11, v95
	v_lshlrev_b32_e32 v65, 16, v23
	s_delay_alu instid0(VALU_DEP_2) | instskip(SKIP_2) | instid1(VALU_DEP_4)
	v_dual_fmac_f32 v12, v21, v56 :: v_dual_lshlrev_b32 v11, 16, v57
	v_and_b32_e32 v21, 0xffff0000, v57
	v_and_b32_e32 v28, 0xffff0000, v28
	v_dual_fmac_f32 v27, v65, v95 :: v_dual_lshlrev_b32 v64, 16, v22
	s_delay_alu instid0(VALU_DEP_2) | instskip(SKIP_1) | instid1(VALU_DEP_3)
	v_dual_fmac_f32 v26, v28, v56 :: v_dual_and_b32 v23, 0xffff0000, v23
	v_lshlrev_b32_e32 v68, 16, v29
	v_dual_fmac_f32 v12, v64, v11 :: v_dual_lshlrev_b32 v69, 16, v30
	s_delay_alu instid0(VALU_DEP_3) | instskip(NEXT) | instid1(VALU_DEP_3)
	v_fmac_f32_e32 v27, v23, v56
	v_dual_fmac_f32 v26, v68, v11 :: v_dual_and_b32 v29, 0xffff0000, v29
	s_delay_alu instid0(VALU_DEP_3) | instskip(SKIP_1) | instid1(VALU_DEP_3)
	v_dual_fmac_f32 v25, v69, v95 :: v_dual_and_b32 v22, 0xffff0000, v22
	v_lshlrev_b32_e32 v70, 16, v31
	v_dual_fmac_f32 v26, v29, v21 :: v_dual_and_b32 v31, 0xffff0000, v31
	v_and_b32_e32 v30, 0xffff0000, v30
	s_delay_alu instid0(VALU_DEP_4) | instskip(NEXT) | instid1(VALU_DEP_2)
	v_fmac_f32_e32 v12, v22, v21
	v_fmac_f32_e32 v25, v30, v56
	s_delay_alu instid0(VALU_DEP_1) | instskip(NEXT) | instid1(VALU_DEP_1)
	v_dual_fmac_f32 v25, v70, v11 :: v_dual_lshlrev_b32 v66, 16, v24
	v_dual_fmac_f32 v27, v66, v11 :: v_dual_and_b32 v24, 0xffff0000, v24
	s_wait_loadcnt 0x2
	v_lshlrev_b32_e32 v11, 16, v58
	s_delay_alu instid0(VALU_DEP_3) | instskip(SKIP_3) | instid1(VALU_DEP_4)
	v_fmac_f32_e32 v25, v31, v21
	v_lshlrev_b32_e32 v72, 16, v33
	v_fmac_f32_e32 v27, v24, v21
	v_and_b32_e32 v21, 0xffff0000, v58
	v_fmac_f32_e32 v25, v77, v11
	v_lshlrev_b32_e32 v75, 16, v36
	v_lshlrev_b32_e32 v71, 16, v32
	s_delay_alu instid0(VALU_DEP_2) | instskip(NEXT) | instid1(VALU_DEP_2)
	v_dual_fmac_f32 v25, v38, v21 :: v_dual_fmac_f32 v26, v75, v11
	v_dual_fmac_f32 v12, v71, v11 :: v_dual_and_b32 v33, 0xffff0000, v33
	v_lshlrev_b32_e32 v73, 16, v34
	v_and_b32_e32 v32, 0xffff0000, v32
	s_delay_alu instid0(VALU_DEP_2) | instskip(SKIP_1) | instid1(VALU_DEP_3)
	v_dual_fmac_f32 v27, v73, v11 :: v_dual_and_b32 v34, 0xffff0000, v34
	v_lshlrev_b32_e32 v74, 16, v35
	v_dual_fmac_f32 v12, v32, v21 :: v_dual_lshlrev_b32 v11, 16, v59
	s_delay_alu instid0(VALU_DEP_3) | instskip(NEXT) | instid1(VALU_DEP_2)
	v_dual_fmac_f32 v27, v34, v21 :: v_dual_and_b32 v36, 0xffff0000, v36
	v_fmac_f32_e32 v12, v72, v11
	s_delay_alu instid0(VALU_DEP_2) | instskip(NEXT) | instid1(VALU_DEP_3)
	v_fmac_f32_e32 v27, v74, v11
	v_dual_fmac_f32 v26, v36, v21 :: v_dual_and_b32 v35, 0xffff0000, v35
	v_and_b32_e32 v21, 0xffff0000, v59
	v_lshlrev_b32_e32 v78, 16, v39
	v_lshlrev_b32_e32 v76, 16, v37
	s_delay_alu instid0(VALU_DEP_2) | instskip(NEXT) | instid1(VALU_DEP_2)
	v_dual_fmac_f32 v12, v33, v21 :: v_dual_fmac_f32 v25, v78, v11
	v_dual_fmac_f32 v26, v76, v11 :: v_dual_and_b32 v37, 0xffff0000, v37
	v_and_b32_e32 v39, 0xffff0000, v39
	s_wait_loadcnt 0x1
	v_lshlrev_b32_e32 v11, 16, v60
	v_fmac_f32_e32 v27, v35, v21
	v_fmac_f32_e32 v26, v37, v21
	;; [unrolled: 1-line block ×3, first 2 shown]
	v_lshlrev_b32_e32 v80, 16, v41
	v_and_b32_e32 v21, 0xffff0000, v60
	s_delay_alu instid0(VALU_DEP_3) | instskip(SKIP_2) | instid1(VALU_DEP_2)
	v_fmac_f32_e32 v25, v85, v11
	v_lshlrev_b32_e32 v83, 16, v44
	v_lshlrev_b32_e32 v79, 16, v40
	v_dual_fmac_f32 v25, v46, v21 :: v_dual_fmac_f32 v26, v83, v11
	s_delay_alu instid0(VALU_DEP_2) | instskip(SKIP_2) | instid1(VALU_DEP_2)
	v_dual_fmac_f32 v12, v79, v11 :: v_dual_and_b32 v41, 0xffff0000, v41
	v_lshlrev_b32_e32 v81, 16, v42
	v_and_b32_e32 v40, 0xffff0000, v40
	v_dual_fmac_f32 v27, v81, v11 :: v_dual_and_b32 v42, 0xffff0000, v42
	v_lshlrev_b32_e32 v82, 16, v43
	v_lshlrev_b32_e32 v11, 16, v61
	s_delay_alu instid0(VALU_DEP_4) | instskip(NEXT) | instid1(VALU_DEP_4)
	v_fmac_f32_e32 v12, v40, v21
	v_dual_fmac_f32 v27, v42, v21 :: v_dual_and_b32 v44, 0xffff0000, v44
	s_delay_alu instid0(VALU_DEP_2) | instskip(NEXT) | instid1(VALU_DEP_2)
	v_fmac_f32_e32 v12, v80, v11
	v_fmac_f32_e32 v27, v82, v11
	s_delay_alu instid0(VALU_DEP_3) | instskip(SKIP_3) | instid1(VALU_DEP_2)
	v_dual_fmac_f32 v26, v44, v21 :: v_dual_and_b32 v43, 0xffff0000, v43
	v_and_b32_e32 v21, 0xffff0000, v61
	v_lshlrev_b32_e32 v86, 16, v47
	v_lshlrev_b32_e32 v84, 16, v45
	v_dual_fmac_f32 v12, v41, v21 :: v_dual_fmac_f32 v25, v86, v11
	s_delay_alu instid0(VALU_DEP_2)
	v_dual_fmac_f32 v26, v84, v11 :: v_dual_and_b32 v45, 0xffff0000, v45
	v_and_b32_e32 v47, 0xffff0000, v47
	s_wait_loadcnt 0x0
	v_lshlrev_b32_e32 v11, 16, v62
	v_fmac_f32_e32 v27, v43, v21
	v_fmac_f32_e32 v26, v45, v21
	;; [unrolled: 1-line block ×3, first 2 shown]
	v_lshlrev_b32_e32 v88, 16, v49
	v_and_b32_e32 v21, 0xffff0000, v62
	s_delay_alu instid0(VALU_DEP_3) | instskip(SKIP_2) | instid1(VALU_DEP_2)
	v_fmac_f32_e32 v25, v93, v11
	v_lshlrev_b32_e32 v91, 16, v52
	v_lshlrev_b32_e32 v87, 16, v48
	v_dual_fmac_f32 v25, v54, v21 :: v_dual_fmac_f32 v26, v91, v11
	s_delay_alu instid0(VALU_DEP_2) | instskip(SKIP_2) | instid1(VALU_DEP_2)
	v_dual_fmac_f32 v12, v87, v11 :: v_dual_and_b32 v49, 0xffff0000, v49
	v_lshlrev_b32_e32 v89, 16, v50
	v_and_b32_e32 v48, 0xffff0000, v48
	v_dual_fmac_f32 v27, v89, v11 :: v_dual_and_b32 v50, 0xffff0000, v50
	v_lshlrev_b32_e32 v90, 16, v51
	s_delay_alu instid0(VALU_DEP_3) | instskip(NEXT) | instid1(VALU_DEP_3)
	v_dual_fmac_f32 v12, v48, v21 :: v_dual_lshlrev_b32 v11, 16, v63
	v_dual_fmac_f32 v27, v50, v21 :: v_dual_and_b32 v52, 0xffff0000, v52
	s_delay_alu instid0(VALU_DEP_2) | instskip(NEXT) | instid1(VALU_DEP_2)
	v_fmac_f32_e32 v12, v88, v11
	v_fmac_f32_e32 v27, v90, v11
	s_delay_alu instid0(VALU_DEP_3) | instskip(SKIP_3) | instid1(VALU_DEP_2)
	v_dual_fmac_f32 v26, v52, v21 :: v_dual_and_b32 v51, 0xffff0000, v51
	v_and_b32_e32 v21, 0xffff0000, v63
	v_lshlrev_b32_e32 v94, 16, v55
	v_lshlrev_b32_e32 v92, 16, v53
	v_dual_fmac_f32 v12, v49, v21 :: v_dual_fmac_f32 v25, v94, v11
	s_delay_alu instid0(VALU_DEP_2) | instskip(SKIP_2) | instid1(VALU_DEP_3)
	v_dual_fmac_f32 v26, v92, v11 :: v_dual_and_b32 v53, 0xffff0000, v53
	v_and_b32_e32 v55, 0xffff0000, v55
	v_fmac_f32_e32 v27, v51, v21
	v_fmac_f32_e32 v26, v53, v21
	s_delay_alu instid0(VALU_DEP_3)
	v_fmac_f32_e32 v25, v55, v21
	s_wait_alu 0xfffe
	s_and_not1_b32 exec_lo, exec_lo, s10
	s_cbranch_execnz .LBB119_23
; %bb.24:
	s_or_b32 exec_lo, exec_lo, s10
.LBB119_25:
	s_wait_alu 0xfffe
	s_or_b32 exec_lo, exec_lo, s7
.LBB119_26:
	s_wait_alu 0xfffe
	s_or_b32 exec_lo, exec_lo, s6
	s_cbranch_execz .LBB119_28
	s_branch .LBB119_39
.LBB119_27:
                                        ; implicit-def: $vgpr25
                                        ; implicit-def: $vgpr26
                                        ; implicit-def: $vgpr27
                                        ; implicit-def: $vgpr12
.LBB119_28:
	v_dual_mov_b32 v25, 0 :: v_dual_mov_b32 v26, 0
	v_dual_mov_b32 v27, 0 :: v_dual_mov_b32 v12, 0
	s_and_saveexec_b32 s3, s2
	s_cbranch_execz .LBB119_38
; %bb.29:
	v_or_b32_e32 v11, 64, v0
	v_sub_co_u32 v15, s2, v1, v0
	s_wait_alu 0xf1ff
	v_subrev_co_ci_u32_e64 v16, null, 0, v2, s2
	s_delay_alu instid0(VALU_DEP_3)
	v_sub_co_u32 v11, vcc_lo, v11, v1
	s_wait_alu 0xfffd
	v_sub_co_ci_u32_e64 v12, null, 0, v2, vcc_lo
	s_mov_b32 s2, exec_lo
	v_add_co_u32 v11, vcc_lo, v11, v13
	s_wait_alu 0xfffd
	v_add_co_ci_u32_e64 v12, null, v12, v14, vcc_lo
	v_not_b32_e32 v13, v13
	v_not_b32_e32 v14, v14
	s_delay_alu instid0(VALU_DEP_3)
	v_cmp_gt_i64_e32 vcc_lo, v[11:12], v[7:8]
	s_wait_alu 0xfffd
	v_cndmask_b32_e32 v17, v8, v12, vcc_lo
	v_cndmask_b32_e32 v11, v7, v11, vcc_lo
	v_add_co_u32 v12, vcc_lo, v15, v13
	s_wait_alu 0xfffd
	v_add_co_ci_u32_e64 v14, null, v16, v14, vcc_lo
	s_delay_alu instid0(VALU_DEP_2) | instskip(SKIP_2) | instid1(VALU_DEP_3)
	v_add_co_u32 v13, vcc_lo, v12, v11
	v_mov_b32_e32 v12, 0
	s_wait_alu 0xfffd
	v_add_co_ci_u32_e64 v14, null, v14, v17, vcc_lo
	s_delay_alu instid0(VALU_DEP_3) | instskip(NEXT) | instid1(VALU_DEP_3)
	v_and_b32_e32 v11, 0xc0, v13
	v_dual_mov_b32 v27, v12 :: v_dual_mov_b32 v26, v12
	v_mov_b32_e32 v25, v12
	s_delay_alu instid0(VALU_DEP_3)
	v_cmpx_ne_u64_e32 0xc0, v[11:12]
	s_cbranch_execz .LBB119_33
; %bb.30:
	v_lshrrev_b32_e32 v11, 6, v13
	v_mov_b32_e32 v25, 0
	v_dual_mov_b32 v27, 0 :: v_dual_mov_b32 v26, 0
	s_delay_alu instid0(VALU_DEP_3) | instskip(SKIP_1) | instid1(VALU_DEP_2)
	v_add_nc_u32_e32 v15, 1, v11
	v_lshlrev_b64_e32 v[11:12], 3, v[5:6]
	v_and_b32_e32 v17, 3, v15
	s_delay_alu instid0(VALU_DEP_2) | instskip(SKIP_1) | instid1(VALU_DEP_3)
	v_add_co_u32 v15, vcc_lo, s8, v11
	s_wait_alu 0xfffd
	v_add_co_ci_u32_e64 v16, null, s9, v12, vcc_lo
	s_delay_alu instid0(VALU_DEP_3)
	v_sub_co_u32 v17, s6, 0, v17
	s_wait_alu 0xf1ff
	v_sub_co_ci_u32_e64 v18, null, 0, 0, s6
	v_mov_b32_e32 v12, 0
	s_mov_b32 s6, 0
.LBB119_31:                             ; =>This Inner Loop Header: Depth=1
	global_load_b64 v[23:24], v[15:16], off
	global_load_b128 v[19:22], v[9:10], off
	s_wait_loadcnt 0x1
	v_sub_co_u32 v23, vcc_lo, v23, v1
	s_wait_alu 0xfffd
	v_sub_co_ci_u32_e64 v24, null, v24, v2, vcc_lo
	s_wait_loadcnt 0x0
	v_lshlrev_b32_e32 v11, 16, v19
	v_and_b32_e32 v19, 0xffff0000, v19
	s_delay_alu instid0(VALU_DEP_3) | instskip(SKIP_1) | instid1(VALU_DEP_1)
	v_lshlrev_b64_e32 v[23:24], 3, v[23:24]
	s_wait_kmcnt 0x0
	v_add_co_u32 v23, vcc_lo, s4, v23
	s_wait_alu 0xfffd
	s_delay_alu instid0(VALU_DEP_2)
	v_add_co_ci_u32_e64 v24, null, s5, v24, vcc_lo
	global_load_b64 v[23:24], v[23:24], off
	global_load_b128 v[28:31], v[9:10], off offset:16
	v_add_co_u32 v9, vcc_lo, 0x800, v9
	s_wait_alu 0xfffd
	v_add_co_ci_u32_e64 v10, null, 0, v10, vcc_lo
	v_add_co_u32 v5, vcc_lo, v5, 64
	s_wait_alu 0xfffd
	v_add_co_ci_u32_e64 v6, null, 0, v6, vcc_lo
	;; [unrolled: 3-line block ×4, first 2 shown]
	s_delay_alu instid0(VALU_DEP_1)
	v_cmp_eq_u64_e32 vcc_lo, 0, v[17:18]
	s_wait_alu 0xfffe
	s_or_b32 s6, vcc_lo, s6
	s_wait_loadcnt 0x1
	v_lshlrev_b32_e32 v39, 16, v23
	v_lshlrev_b32_e32 v33, 16, v21
	v_and_b32_e32 v23, 0xffff0000, v23
	v_lshlrev_b32_e32 v32, 16, v20
	s_wait_loadcnt 0x0
	v_lshlrev_b32_e32 v38, 16, v31
	v_dual_fmac_f32 v12, v11, v39 :: v_dual_lshlrev_b32 v35, 16, v28
	v_fmac_f32_e32 v27, v19, v39
	v_and_b32_e32 v19, 0xffff0000, v24
	s_delay_alu instid0(VALU_DEP_3) | instskip(SKIP_2) | instid1(VALU_DEP_3)
	v_dual_fmac_f32 v12, v33, v23 :: v_dual_lshlrev_b32 v11, 16, v24
	v_dual_fmac_f32 v26, v32, v39 :: v_dual_and_b32 v21, 0xffff0000, v21
	v_and_b32_e32 v20, 0xffff0000, v20
	v_dual_fmac_f32 v12, v35, v11 :: v_dual_lshlrev_b32 v37, 16, v30
	s_delay_alu instid0(VALU_DEP_3) | instskip(NEXT) | instid1(VALU_DEP_3)
	v_dual_fmac_f32 v27, v21, v23 :: v_dual_lshlrev_b32 v34, 16, v22
	v_dual_fmac_f32 v25, v20, v39 :: v_dual_and_b32 v28, 0xffff0000, v28
	s_delay_alu instid0(VALU_DEP_3) | instskip(SKIP_4) | instid1(VALU_DEP_4)
	v_fmac_f32_e32 v12, v37, v19
	v_and_b32_e32 v22, 0xffff0000, v22
	v_and_b32_e32 v31, 0xffff0000, v31
	v_fmac_f32_e32 v26, v34, v23
	v_fmac_f32_e32 v27, v28, v11
	v_dual_fmac_f32 v25, v22, v23 :: v_dual_lshlrev_b32 v36, 16, v29
	v_and_b32_e32 v29, 0xffff0000, v29
	s_delay_alu instid0(VALU_DEP_1) | instskip(NEXT) | instid1(VALU_DEP_3)
	v_fmac_f32_e32 v25, v29, v11
	v_fmac_f32_e32 v26, v36, v11
	s_delay_alu instid0(VALU_DEP_2) | instskip(NEXT) | instid1(VALU_DEP_2)
	v_dual_fmac_f32 v25, v31, v19 :: v_dual_and_b32 v30, 0xffff0000, v30
	v_fmac_f32_e32 v26, v38, v19
	s_delay_alu instid0(VALU_DEP_2)
	v_fmac_f32_e32 v27, v30, v19
	s_wait_alu 0xfffe
	s_and_not1_b32 exec_lo, exec_lo, s6
	s_cbranch_execnz .LBB119_31
; %bb.32:
	s_or_b32 exec_lo, exec_lo, s6
.LBB119_33:
	s_wait_alu 0xfffe
	s_or_b32 exec_lo, exec_lo, s2
	s_delay_alu instid0(SALU_CYCLE_1)
	s_mov_b32 s2, exec_lo
	v_cmpx_lt_u64_e32 0xbf, v[13:14]
	s_cbranch_execz .LBB119_37
; %bb.34:
	v_lshlrev_b64_e32 v[13:14], 3, v[5:6]
	s_mov_b32 s6, 0
	s_delay_alu instid0(VALU_DEP_1) | instskip(SKIP_1) | instid1(VALU_DEP_2)
	v_add_co_u32 v11, vcc_lo, s8, v13
	s_wait_alu 0xfffd
	v_add_co_ci_u32_e64 v14, null, s9, v14, vcc_lo
	s_delay_alu instid0(VALU_DEP_2) | instskip(SKIP_1) | instid1(VALU_DEP_2)
	v_add_co_u32 v13, vcc_lo, 0x400, v11
	s_wait_alu 0xfffd
	v_add_co_ci_u32_e64 v14, null, 0, v14, vcc_lo
.LBB119_35:                             ; =>This Inner Loop Header: Depth=1
	s_clause 0x3
	global_load_b64 v[23:24], v[13:14], off offset:-1024
	global_load_b64 v[48:49], v[13:14], off offset:-512
	global_load_b64 v[50:51], v[13:14], off
	global_load_b64 v[52:53], v[13:14], off offset:512
	s_clause 0x6
	global_load_b128 v[15:18], v[9:10], off
	global_load_b128 v[19:22], v[9:10], off offset:16
	global_load_b128 v[28:31], v[9:10], off offset:2048
	;; [unrolled: 1-line block ×6, first 2 shown]
	s_wait_loadcnt 0xa
	v_sub_co_u32 v23, vcc_lo, v23, v1
	s_wait_alu 0xfffd
	v_sub_co_ci_u32_e64 v24, null, v24, v2, vcc_lo
	s_wait_loadcnt 0x9
	v_sub_co_u32 v48, vcc_lo, v48, v1
	s_wait_alu 0xfffd
	v_sub_co_ci_u32_e64 v49, null, v49, v2, vcc_lo
	;; [unrolled: 4-line block ×3, first 2 shown]
	s_wait_loadcnt 0x7
	v_sub_co_u32 v52, vcc_lo, v52, v1
	v_lshlrev_b64_e32 v[23:24], 3, v[23:24]
	s_wait_alu 0xfffd
	v_sub_co_ci_u32_e64 v53, null, v53, v2, vcc_lo
	v_lshlrev_b64_e32 v[48:49], 3, v[48:49]
	v_lshlrev_b64_e32 v[50:51], 3, v[50:51]
	s_wait_loadcnt 0x5
	v_lshlrev_b32_e32 v61, 16, v19
	v_lshlrev_b64_e32 v[52:53], 3, v[52:53]
	s_wait_kmcnt 0x0
	v_add_co_u32 v23, vcc_lo, s4, v23
	s_wait_alu 0xfffd
	v_add_co_ci_u32_e64 v24, null, s5, v24, vcc_lo
	v_add_co_u32 v48, vcc_lo, s4, v48
	s_wait_alu 0xfffd
	v_add_co_ci_u32_e64 v49, null, s5, v49, vcc_lo
	;; [unrolled: 3-line block ×4, first 2 shown]
	s_clause 0x3
	global_load_b64 v[23:24], v[23:24], off
	global_load_b64 v[54:55], v[48:49], off
	;; [unrolled: 1-line block ×4, first 2 shown]
	global_load_b128 v[48:51], v[9:10], off offset:6160
	v_and_b32_e32 v19, 0xffff0000, v19
	s_wait_loadcnt 0x5
	v_lshlrev_b32_e32 v84, 16, v47
	v_lshlrev_b32_e32 v68, 16, v31
	v_and_b32_e32 v31, 0xffff0000, v31
	v_lshlrev_b32_e32 v72, 16, v35
	v_and_b32_e32 v35, 0xffff0000, v35
	;; [unrolled: 2-line block ×4, first 2 shown]
	v_and_b32_e32 v47, 0xffff0000, v47
	v_add_co_u32 v9, vcc_lo, 0x2000, v9
	s_wait_alu 0xfffd
	v_add_co_ci_u32_e64 v10, null, 0, v10, vcc_lo
	v_add_co_u32 v5, vcc_lo, 0x100, v5
	s_wait_alu 0xfffd
	v_add_co_ci_u32_e64 v6, null, 0, v6, vcc_lo
	;; [unrolled: 3-line block ×3, first 2 shown]
	s_delay_alu instid0(VALU_DEP_3)
	v_cmp_ge_i64_e32 vcc_lo, v[5:6], v[7:8]
	s_wait_alu 0xfffe
	s_or_b32 s6, vcc_lo, s6
	s_wait_loadcnt 0x4
	v_lshlrev_b32_e32 v89, 16, v23
	v_lshlrev_b32_e32 v58, 16, v16
	;; [unrolled: 1-line block ×4, first 2 shown]
	v_and_b32_e32 v23, 0xffff0000, v23
	s_wait_loadcnt 0x0
	v_lshlrev_b32_e32 v88, 16, v51
	v_dual_fmac_f32 v26, v58, v89 :: v_dual_and_b32 v15, 0xffff0000, v15
	v_fmac_f32_e32 v12, v11, v89
	v_lshlrev_b32_e32 v59, 16, v17
	s_delay_alu instid0(VALU_DEP_3) | instskip(SKIP_2) | instid1(VALU_DEP_4)
	v_dual_fmac_f32 v26, v60, v23 :: v_dual_lshlrev_b32 v11, 16, v24
	v_and_b32_e32 v17, 0xffff0000, v17
	v_fmac_f32_e32 v27, v15, v89
	v_fmac_f32_e32 v12, v59, v23
	v_and_b32_e32 v16, 0xffff0000, v16
	v_lshlrev_b32_e32 v63, 16, v21
	v_and_b32_e32 v15, 0xffff0000, v24
	v_dual_fmac_f32 v27, v17, v23 :: v_dual_and_b32 v18, 0xffff0000, v18
	s_delay_alu instid0(VALU_DEP_4) | instskip(SKIP_1) | instid1(VALU_DEP_3)
	v_dual_fmac_f32 v25, v16, v89 :: v_dual_fmac_f32 v12, v61, v11
	v_lshlrev_b32_e32 v65, 16, v28
	v_dual_fmac_f32 v27, v19, v11 :: v_dual_lshlrev_b32 v62, 16, v20
	s_delay_alu instid0(VALU_DEP_3) | instskip(NEXT) | instid1(VALU_DEP_4)
	v_fmac_f32_e32 v25, v18, v23
	v_dual_fmac_f32 v12, v63, v15 :: v_dual_and_b32 v21, 0xffff0000, v21
	v_and_b32_e32 v51, 0xffff0000, v51
	s_delay_alu instid0(VALU_DEP_4) | instskip(NEXT) | instid1(VALU_DEP_3)
	v_fmac_f32_e32 v26, v62, v11
	v_dual_fmac_f32 v27, v21, v15 :: v_dual_and_b32 v20, 0xffff0000, v20
	s_delay_alu instid0(VALU_DEP_1) | instskip(SKIP_3) | instid1(VALU_DEP_4)
	v_dual_fmac_f32 v25, v20, v11 :: v_dual_lshlrev_b32 v64, 16, v22
	v_and_b32_e32 v28, 0xffff0000, v28
	v_lshlrev_b32_e32 v11, 16, v54
	v_and_b32_e32 v22, 0xffff0000, v22
	v_dual_fmac_f32 v26, v64, v15 :: v_dual_lshlrev_b32 v67, 16, v30
	s_delay_alu instid0(VALU_DEP_3) | instskip(SKIP_1) | instid1(VALU_DEP_4)
	v_fmac_f32_e32 v12, v65, v11
	v_fmac_f32_e32 v27, v28, v11
	v_dual_fmac_f32 v25, v22, v15 :: v_dual_lshlrev_b32 v66, 16, v29
	v_and_b32_e32 v29, 0xffff0000, v29
	v_and_b32_e32 v15, 0xffff0000, v54
	s_delay_alu instid0(VALU_DEP_2) | instskip(NEXT) | instid1(VALU_DEP_4)
	v_dual_fmac_f32 v25, v29, v11 :: v_dual_and_b32 v30, 0xffff0000, v30
	v_dual_fmac_f32 v26, v66, v11 :: v_dual_lshlrev_b32 v69, 16, v32
	v_lshlrev_b32_e32 v71, 16, v34
	v_lshlrev_b32_e32 v11, 16, v55
	v_fmac_f32_e32 v12, v67, v15
	v_dual_fmac_f32 v25, v31, v15 :: v_dual_and_b32 v32, 0xffff0000, v32
	v_dual_fmac_f32 v27, v30, v15 :: v_dual_lshlrev_b32 v70, 16, v33
	v_dual_fmac_f32 v26, v68, v15 :: v_dual_and_b32 v33, 0xffff0000, v33
	v_and_b32_e32 v34, 0xffff0000, v34
	v_dual_fmac_f32 v12, v69, v11 :: v_dual_lshlrev_b32 v73, 16, v36
	v_and_b32_e32 v15, 0xffff0000, v55
	v_fmac_f32_e32 v27, v32, v11
	v_fmac_f32_e32 v26, v70, v11
	v_dual_fmac_f32 v25, v33, v11 :: v_dual_lshlrev_b32 v74, 16, v37
	v_and_b32_e32 v37, 0xffff0000, v37
	s_delay_alu instid0(VALU_DEP_4)
	v_dual_fmac_f32 v27, v34, v15 :: v_dual_and_b32 v36, 0xffff0000, v36
	v_dual_fmac_f32 v12, v71, v15 :: v_dual_lshlrev_b32 v75, 16, v38
	v_dual_fmac_f32 v26, v72, v15 :: v_dual_lshlrev_b32 v77, 16, v40
	v_lshlrev_b32_e32 v11, 16, v56
	v_dual_fmac_f32 v25, v35, v15 :: v_dual_and_b32 v38, 0xffff0000, v38
	v_and_b32_e32 v40, 0xffff0000, v40
	s_delay_alu instid0(VALU_DEP_3) | instskip(SKIP_4) | instid1(VALU_DEP_4)
	v_dual_fmac_f32 v26, v74, v11 :: v_dual_lshlrev_b32 v79, 16, v42
	v_dual_fmac_f32 v12, v73, v11 :: v_dual_and_b32 v15, 0xffff0000, v56
	v_dual_fmac_f32 v27, v36, v11 :: v_dual_lshlrev_b32 v78, 16, v41
	v_and_b32_e32 v41, 0xffff0000, v41
	v_dual_fmac_f32 v25, v37, v11 :: v_dual_and_b32 v42, 0xffff0000, v42
	v_dual_fmac_f32 v12, v75, v15 :: v_dual_lshlrev_b32 v81, 16, v44
	v_lshlrev_b32_e32 v11, 16, v57
	v_fmac_f32_e32 v27, v38, v15
	v_fmac_f32_e32 v26, v76, v15
	v_dual_fmac_f32 v25, v39, v15 :: v_dual_lshlrev_b32 v82, 16, v45
	v_and_b32_e32 v45, 0xffff0000, v45
	s_delay_alu instid0(VALU_DEP_4)
	v_dual_fmac_f32 v27, v40, v11 :: v_dual_and_b32 v44, 0xffff0000, v44
	v_dual_fmac_f32 v12, v77, v11 :: v_dual_lshlrev_b32 v83, 16, v46
	v_dual_fmac_f32 v26, v78, v11 :: v_dual_lshlrev_b32 v85, 16, v48
	v_and_b32_e32 v15, 0xffff0000, v57
	v_dual_fmac_f32 v25, v41, v11 :: v_dual_and_b32 v46, 0xffff0000, v46
	v_and_b32_e32 v48, 0xffff0000, v48
	s_delay_alu instid0(VALU_DEP_3) | instskip(SKIP_4) | instid1(VALU_DEP_4)
	v_dual_fmac_f32 v26, v80, v15 :: v_dual_lshlrev_b32 v87, 16, v50
	v_dual_fmac_f32 v12, v79, v15 :: v_dual_lshlrev_b32 v11, 16, v52
	v_dual_fmac_f32 v27, v42, v15 :: v_dual_lshlrev_b32 v86, 16, v49
	v_and_b32_e32 v49, 0xffff0000, v49
	v_dual_fmac_f32 v25, v43, v15 :: v_dual_and_b32 v50, 0xffff0000, v50
	v_dual_fmac_f32 v12, v81, v11 :: v_dual_and_b32 v15, 0xffff0000, v52
	s_delay_alu instid0(VALU_DEP_4) | instskip(SKIP_1) | instid1(VALU_DEP_4)
	v_fmac_f32_e32 v27, v44, v11
	v_fmac_f32_e32 v26, v82, v11
	;; [unrolled: 1-line block ×3, first 2 shown]
	s_delay_alu instid0(VALU_DEP_4) | instskip(NEXT) | instid1(VALU_DEP_4)
	v_dual_fmac_f32 v12, v83, v15 :: v_dual_lshlrev_b32 v11, 16, v53
	v_fmac_f32_e32 v27, v46, v15
	s_delay_alu instid0(VALU_DEP_4) | instskip(NEXT) | instid1(VALU_DEP_4)
	v_fmac_f32_e32 v26, v84, v15
	v_fmac_f32_e32 v25, v47, v15
	s_delay_alu instid0(VALU_DEP_4) | instskip(NEXT) | instid1(VALU_DEP_4)
	v_dual_fmac_f32 v12, v85, v11 :: v_dual_and_b32 v15, 0xffff0000, v53
	v_fmac_f32_e32 v27, v48, v11
	s_delay_alu instid0(VALU_DEP_4) | instskip(NEXT) | instid1(VALU_DEP_4)
	v_fmac_f32_e32 v26, v86, v11
	v_fmac_f32_e32 v25, v49, v11
	s_delay_alu instid0(VALU_DEP_4) | instskip(NEXT) | instid1(VALU_DEP_4)
	v_fmac_f32_e32 v12, v87, v15
	;; [unrolled: 3-line block ×3, first 2 shown]
	v_fmac_f32_e32 v25, v51, v15
	s_wait_alu 0xfffe
	s_and_not1_b32 exec_lo, exec_lo, s6
	s_cbranch_execnz .LBB119_35
; %bb.36:
	s_or_b32 exec_lo, exec_lo, s6
.LBB119_37:
	s_wait_alu 0xfffe
	s_or_b32 exec_lo, exec_lo, s2
.LBB119_38:
	s_wait_alu 0xfffe
	s_or_b32 exec_lo, exec_lo, s3
.LBB119_39:
	v_mbcnt_lo_u32_b32 v1, -1, 0
	s_mov_b32 s2, -1
	s_delay_alu instid0(VALU_DEP_1) | instskip(SKIP_1) | instid1(VALU_DEP_2)
	v_or_b32_e32 v2, 32, v1
	v_xor_b32_e32 v8, 16, v1
	v_cmp_gt_i32_e32 vcc_lo, 32, v2
	s_wait_alu 0xfffd
	v_cndmask_b32_e32 v2, v1, v2, vcc_lo
	s_delay_alu instid0(VALU_DEP_3) | instskip(NEXT) | instid1(VALU_DEP_2)
	v_cmp_gt_i32_e32 vcc_lo, 32, v8
	v_lshlrev_b32_e32 v2, 2, v2
	ds_bpermute_b32 v7, v2, v26
	s_wait_dscnt 0x0
	v_add_f32_e32 v7, v26, v7
	ds_bpermute_b32 v5, v2, v12
	s_wait_alu 0xfffd
	v_cndmask_b32_e32 v8, v1, v8, vcc_lo
	ds_bpermute_b32 v6, v2, v27
	ds_bpermute_b32 v2, v2, v25
	s_wait_dscnt 0x2
	v_dual_add_f32 v5, v12, v5 :: v_dual_lshlrev_b32 v8, 2, v8
	v_xor_b32_e32 v12, 8, v1
	s_wait_dscnt 0x0
	v_add_f32_e32 v2, v25, v2
	ds_bpermute_b32 v9, v8, v5
	v_cmp_gt_i32_e32 vcc_lo, 32, v12
	s_wait_dscnt 0x0
	v_add_f32_e32 v5, v5, v9
	ds_bpermute_b32 v11, v8, v7
	v_add_f32_e32 v6, v27, v6
	ds_bpermute_b32 v10, v8, v6
	ds_bpermute_b32 v8, v8, v2
	s_wait_dscnt 0x2
	s_wait_alu 0xfffd
	v_dual_add_f32 v7, v7, v11 :: v_dual_cndmask_b32 v12, v1, v12
	s_delay_alu instid0(VALU_DEP_1)
	v_lshlrev_b32_e32 v12, 2, v12
	s_wait_dscnt 0x0
	v_add_f32_e32 v2, v2, v8
	ds_bpermute_b32 v8, v12, v5
	ds_bpermute_b32 v11, v12, v2
	s_wait_dscnt 0x1
	v_dual_add_f32 v5, v5, v8 :: v_dual_add_f32 v6, v6, v10
	ds_bpermute_b32 v10, v12, v7
	s_wait_dscnt 0x1
	v_add_f32_e32 v2, v2, v11
	ds_bpermute_b32 v9, v12, v6
	v_xor_b32_e32 v12, 4, v1
	s_delay_alu instid0(VALU_DEP_1) | instskip(SKIP_3) | instid1(VALU_DEP_1)
	v_cmp_gt_i32_e32 vcc_lo, 32, v12
	s_wait_alu 0xfffd
	v_cndmask_b32_e32 v12, v1, v12, vcc_lo
	s_wait_dscnt 0x1
	v_dual_add_f32 v7, v7, v10 :: v_dual_lshlrev_b32 v12, 2, v12
	ds_bpermute_b32 v8, v12, v5
	ds_bpermute_b32 v10, v12, v7
	;; [unrolled: 1-line block ×3, first 2 shown]
	s_wait_dscnt 0x2
	v_dual_add_f32 v5, v5, v8 :: v_dual_add_f32 v6, v6, v9
	s_wait_dscnt 0x0
	v_dual_add_f32 v7, v7, v10 :: v_dual_add_f32 v8, v2, v11
	ds_bpermute_b32 v9, v12, v6
	v_xor_b32_e32 v12, 2, v1
	s_delay_alu instid0(VALU_DEP_1) | instskip(SKIP_2) | instid1(VALU_DEP_1)
	v_cmp_gt_i32_e32 vcc_lo, 32, v12
	s_wait_alu 0xfffd
	v_cndmask_b32_e32 v12, v1, v12, vcc_lo
	v_lshlrev_b32_e32 v12, 2, v12
	s_wait_dscnt 0x0
	v_add_f32_e32 v6, v6, v9
	ds_bpermute_b32 v2, v12, v5
	ds_bpermute_b32 v10, v12, v7
	;; [unrolled: 1-line block ×4, first 2 shown]
	v_xor_b32_e32 v12, 1, v1
	s_delay_alu instid0(VALU_DEP_1) | instskip(SKIP_4) | instid1(VALU_DEP_2)
	v_cmp_gt_i32_e32 vcc_lo, 32, v12
	s_wait_alu 0xfffd
	v_cndmask_b32_e32 v1, v1, v12, vcc_lo
	v_cmp_eq_u32_e32 vcc_lo, 63, v0
	s_wait_dscnt 0x3
	v_dual_add_f32 v1, v5, v2 :: v_dual_lshlrev_b32 v12, 2, v1
	s_wait_dscnt 0x0
	v_dual_add_f32 v5, v7, v10 :: v_dual_add_f32 v2, v6, v9
	v_add_f32_e32 v6, v8, v11
	ds_bpermute_b32 v7, v12, v1
	ds_bpermute_b32 v9, v12, v5
	;; [unrolled: 1-line block ×4, first 2 shown]
	s_and_b32 exec_lo, exec_lo, vcc_lo
	s_cbranch_execz .LBB119_10
; %bb.40:
	s_load_b64 s[0:1], s[0:1], 0x58
	s_wait_dscnt 0x1
	v_dual_add_f32 v0, v1, v7 :: v_dual_add_f32 v1, v2, v8
	s_wait_dscnt 0x0
	v_add_f32_e32 v6, v6, v10
	s_cmp_eq_f32 s16, 0
	s_delay_alu instid0(VALU_DEP_2) | instskip(SKIP_3) | instid1(VALU_DEP_3)
	v_dual_mul_f32 v0, s12, v0 :: v_dual_mul_f32 v1, s12, v1
	v_add_f32_e32 v2, v5, v9
	v_lshlrev_b64_e32 v[4:5], 4, v[3:4]
	v_mul_f32_e32 v3, s12, v6
	v_mul_f32_e32 v2, s12, v2
	s_cbranch_scc0 .LBB119_42
; %bb.41:
	s_wait_kmcnt 0x0
	s_delay_alu instid0(VALU_DEP_3)
	v_add_co_u32 v6, vcc_lo, s0, v4
	s_wait_alu 0xfffd
	v_add_co_ci_u32_e64 v7, null, s1, v5, vcc_lo
	s_mov_b32 s2, 0
	global_store_b128 v[6:7], v[0:3], off
.LBB119_42:
	s_wait_alu 0xfffe
	s_and_not1_b32 vcc_lo, exec_lo, s2
	s_wait_alu 0xfffe
	s_cbranch_vccnz .LBB119_10
; %bb.43:
	s_wait_kmcnt 0x0
	v_add_co_u32 v8, vcc_lo, s0, v4
	s_wait_alu 0xfffd
	v_add_co_ci_u32_e64 v9, null, s1, v5, vcc_lo
	global_load_b128 v[4:7], v[8:9], off
	s_wait_loadcnt 0x0
	v_dual_fmac_f32 v0, s16, v4 :: v_dual_fmac_f32 v1, s16, v5
	v_dual_fmac_f32 v2, s16, v6 :: v_dual_fmac_f32 v3, s16, v7
	global_store_b128 v[8:9], v[0:3], off
	s_endpgm
	.section	.rodata,"a",@progbits
	.p2align	6, 0x0
	.amdhsa_kernel _ZN9rocsparseL18bsrxmvn_4x4_kernelILj128ELj64Efll18rocsparse_bfloat16S1_fEEvT3_20rocsparse_direction_NS_24const_host_device_scalarIT1_EES2_PKS2_PKT2_SB_S8_PKT4_PKT5_S6_PT6_21rocsparse_index_base_b
		.amdhsa_group_segment_fixed_size 0
		.amdhsa_private_segment_fixed_size 0
		.amdhsa_kernarg_size 104
		.amdhsa_user_sgpr_count 2
		.amdhsa_user_sgpr_dispatch_ptr 0
		.amdhsa_user_sgpr_queue_ptr 0
		.amdhsa_user_sgpr_kernarg_segment_ptr 1
		.amdhsa_user_sgpr_dispatch_id 0
		.amdhsa_user_sgpr_private_segment_size 0
		.amdhsa_wavefront_size32 1
		.amdhsa_uses_dynamic_stack 0
		.amdhsa_enable_private_segment 0
		.amdhsa_system_sgpr_workgroup_id_x 1
		.amdhsa_system_sgpr_workgroup_id_y 0
		.amdhsa_system_sgpr_workgroup_id_z 0
		.amdhsa_system_sgpr_workgroup_info 0
		.amdhsa_system_vgpr_workitem_id 0
		.amdhsa_next_free_vgpr 96
		.amdhsa_next_free_sgpr 18
		.amdhsa_reserve_vcc 1
		.amdhsa_float_round_mode_32 0
		.amdhsa_float_round_mode_16_64 0
		.amdhsa_float_denorm_mode_32 3
		.amdhsa_float_denorm_mode_16_64 3
		.amdhsa_fp16_overflow 0
		.amdhsa_workgroup_processor_mode 1
		.amdhsa_memory_ordered 1
		.amdhsa_forward_progress 1
		.amdhsa_inst_pref_size 45
		.amdhsa_round_robin_scheduling 0
		.amdhsa_exception_fp_ieee_invalid_op 0
		.amdhsa_exception_fp_denorm_src 0
		.amdhsa_exception_fp_ieee_div_zero 0
		.amdhsa_exception_fp_ieee_overflow 0
		.amdhsa_exception_fp_ieee_underflow 0
		.amdhsa_exception_fp_ieee_inexact 0
		.amdhsa_exception_int_div_zero 0
	.end_amdhsa_kernel
	.section	.text._ZN9rocsparseL18bsrxmvn_4x4_kernelILj128ELj64Efll18rocsparse_bfloat16S1_fEEvT3_20rocsparse_direction_NS_24const_host_device_scalarIT1_EES2_PKS2_PKT2_SB_S8_PKT4_PKT5_S6_PT6_21rocsparse_index_base_b,"axG",@progbits,_ZN9rocsparseL18bsrxmvn_4x4_kernelILj128ELj64Efll18rocsparse_bfloat16S1_fEEvT3_20rocsparse_direction_NS_24const_host_device_scalarIT1_EES2_PKS2_PKT2_SB_S8_PKT4_PKT5_S6_PT6_21rocsparse_index_base_b,comdat
.Lfunc_end119:
	.size	_ZN9rocsparseL18bsrxmvn_4x4_kernelILj128ELj64Efll18rocsparse_bfloat16S1_fEEvT3_20rocsparse_direction_NS_24const_host_device_scalarIT1_EES2_PKS2_PKT2_SB_S8_PKT4_PKT5_S6_PT6_21rocsparse_index_base_b, .Lfunc_end119-_ZN9rocsparseL18bsrxmvn_4x4_kernelILj128ELj64Efll18rocsparse_bfloat16S1_fEEvT3_20rocsparse_direction_NS_24const_host_device_scalarIT1_EES2_PKS2_PKT2_SB_S8_PKT4_PKT5_S6_PT6_21rocsparse_index_base_b
                                        ; -- End function
	.set _ZN9rocsparseL18bsrxmvn_4x4_kernelILj128ELj64Efll18rocsparse_bfloat16S1_fEEvT3_20rocsparse_direction_NS_24const_host_device_scalarIT1_EES2_PKS2_PKT2_SB_S8_PKT4_PKT5_S6_PT6_21rocsparse_index_base_b.num_vgpr, 96
	.set _ZN9rocsparseL18bsrxmvn_4x4_kernelILj128ELj64Efll18rocsparse_bfloat16S1_fEEvT3_20rocsparse_direction_NS_24const_host_device_scalarIT1_EES2_PKS2_PKT2_SB_S8_PKT4_PKT5_S6_PT6_21rocsparse_index_base_b.num_agpr, 0
	.set _ZN9rocsparseL18bsrxmvn_4x4_kernelILj128ELj64Efll18rocsparse_bfloat16S1_fEEvT3_20rocsparse_direction_NS_24const_host_device_scalarIT1_EES2_PKS2_PKT2_SB_S8_PKT4_PKT5_S6_PT6_21rocsparse_index_base_b.numbered_sgpr, 18
	.set _ZN9rocsparseL18bsrxmvn_4x4_kernelILj128ELj64Efll18rocsparse_bfloat16S1_fEEvT3_20rocsparse_direction_NS_24const_host_device_scalarIT1_EES2_PKS2_PKT2_SB_S8_PKT4_PKT5_S6_PT6_21rocsparse_index_base_b.num_named_barrier, 0
	.set _ZN9rocsparseL18bsrxmvn_4x4_kernelILj128ELj64Efll18rocsparse_bfloat16S1_fEEvT3_20rocsparse_direction_NS_24const_host_device_scalarIT1_EES2_PKS2_PKT2_SB_S8_PKT4_PKT5_S6_PT6_21rocsparse_index_base_b.private_seg_size, 0
	.set _ZN9rocsparseL18bsrxmvn_4x4_kernelILj128ELj64Efll18rocsparse_bfloat16S1_fEEvT3_20rocsparse_direction_NS_24const_host_device_scalarIT1_EES2_PKS2_PKT2_SB_S8_PKT4_PKT5_S6_PT6_21rocsparse_index_base_b.uses_vcc, 1
	.set _ZN9rocsparseL18bsrxmvn_4x4_kernelILj128ELj64Efll18rocsparse_bfloat16S1_fEEvT3_20rocsparse_direction_NS_24const_host_device_scalarIT1_EES2_PKS2_PKT2_SB_S8_PKT4_PKT5_S6_PT6_21rocsparse_index_base_b.uses_flat_scratch, 0
	.set _ZN9rocsparseL18bsrxmvn_4x4_kernelILj128ELj64Efll18rocsparse_bfloat16S1_fEEvT3_20rocsparse_direction_NS_24const_host_device_scalarIT1_EES2_PKS2_PKT2_SB_S8_PKT4_PKT5_S6_PT6_21rocsparse_index_base_b.has_dyn_sized_stack, 0
	.set _ZN9rocsparseL18bsrxmvn_4x4_kernelILj128ELj64Efll18rocsparse_bfloat16S1_fEEvT3_20rocsparse_direction_NS_24const_host_device_scalarIT1_EES2_PKS2_PKT2_SB_S8_PKT4_PKT5_S6_PT6_21rocsparse_index_base_b.has_recursion, 0
	.set _ZN9rocsparseL18bsrxmvn_4x4_kernelILj128ELj64Efll18rocsparse_bfloat16S1_fEEvT3_20rocsparse_direction_NS_24const_host_device_scalarIT1_EES2_PKS2_PKT2_SB_S8_PKT4_PKT5_S6_PT6_21rocsparse_index_base_b.has_indirect_call, 0
	.section	.AMDGPU.csdata,"",@progbits
; Kernel info:
; codeLenInByte = 5732
; TotalNumSgprs: 20
; NumVgprs: 96
; ScratchSize: 0
; MemoryBound: 0
; FloatMode: 240
; IeeeMode: 1
; LDSByteSize: 0 bytes/workgroup (compile time only)
; SGPRBlocks: 0
; VGPRBlocks: 11
; NumSGPRsForWavesPerEU: 20
; NumVGPRsForWavesPerEU: 96
; Occupancy: 16
; WaveLimiterHint : 1
; COMPUTE_PGM_RSRC2:SCRATCH_EN: 0
; COMPUTE_PGM_RSRC2:USER_SGPR: 2
; COMPUTE_PGM_RSRC2:TRAP_HANDLER: 0
; COMPUTE_PGM_RSRC2:TGID_X_EN: 1
; COMPUTE_PGM_RSRC2:TGID_Y_EN: 0
; COMPUTE_PGM_RSRC2:TGID_Z_EN: 0
; COMPUTE_PGM_RSRC2:TIDIG_COMP_CNT: 0
	.section	.text._ZN9rocsparseL18bsrxmvn_4x4_kernelILj128ELj4E21rocsparse_complex_numIfEiifS2_S2_EEvT3_20rocsparse_direction_NS_24const_host_device_scalarIT1_EES3_PKS3_PKT2_SC_S9_PKT4_PKT5_S7_PT6_21rocsparse_index_base_b,"axG",@progbits,_ZN9rocsparseL18bsrxmvn_4x4_kernelILj128ELj4E21rocsparse_complex_numIfEiifS2_S2_EEvT3_20rocsparse_direction_NS_24const_host_device_scalarIT1_EES3_PKS3_PKT2_SC_S9_PKT4_PKT5_S7_PT6_21rocsparse_index_base_b,comdat
	.globl	_ZN9rocsparseL18bsrxmvn_4x4_kernelILj128ELj4E21rocsparse_complex_numIfEiifS2_S2_EEvT3_20rocsparse_direction_NS_24const_host_device_scalarIT1_EES3_PKS3_PKT2_SC_S9_PKT4_PKT5_S7_PT6_21rocsparse_index_base_b ; -- Begin function _ZN9rocsparseL18bsrxmvn_4x4_kernelILj128ELj4E21rocsparse_complex_numIfEiifS2_S2_EEvT3_20rocsparse_direction_NS_24const_host_device_scalarIT1_EES3_PKS3_PKT2_SC_S9_PKT4_PKT5_S7_PT6_21rocsparse_index_base_b
	.p2align	8
	.type	_ZN9rocsparseL18bsrxmvn_4x4_kernelILj128ELj4E21rocsparse_complex_numIfEiifS2_S2_EEvT3_20rocsparse_direction_NS_24const_host_device_scalarIT1_EES3_PKS3_PKT2_SC_S9_PKT4_PKT5_S7_PT6_21rocsparse_index_base_b,@function
_ZN9rocsparseL18bsrxmvn_4x4_kernelILj128ELj4E21rocsparse_complex_numIfEiifS2_S2_EEvT3_20rocsparse_direction_NS_24const_host_device_scalarIT1_EES3_PKS3_PKT2_SC_S9_PKT4_PKT5_S7_PT6_21rocsparse_index_base_b: ; @_ZN9rocsparseL18bsrxmvn_4x4_kernelILj128ELj4E21rocsparse_complex_numIfEiifS2_S2_EEvT3_20rocsparse_direction_NS_24const_host_device_scalarIT1_EES3_PKS3_PKT2_SC_S9_PKT4_PKT5_S7_PT6_21rocsparse_index_base_b
; %bb.0:
	s_clause 0x2
	s_load_b64 s[12:13], s[0:1], 0x58
	s_load_b64 s[2:3], s[0:1], 0x8
	;; [unrolled: 1-line block ×3, first 2 shown]
	s_add_nc_u64 s[6:7], s[0:1], 8
	s_wait_kmcnt 0x0
	s_bitcmp1_b32 s13, 0
	s_cselect_b32 s2, s6, s2
	s_cselect_b32 s3, s7, s3
	s_delay_alu instid0(SALU_CYCLE_1)
	v_dual_mov_b32 v1, s2 :: v_dual_mov_b32 v2, s3
	s_add_nc_u64 s[2:3], s[0:1], 0x48
	s_wait_alu 0xfffe
	s_cselect_b32 s2, s2, s4
	s_cselect_b32 s3, s3, s5
	flat_load_b64 v[54:55], v[1:2]
	s_wait_alu 0xfffe
	v_dual_mov_b32 v1, s2 :: v_dual_mov_b32 v2, s3
	flat_load_b64 v[52:53], v[1:2]
	s_wait_loadcnt_dscnt 0x101
	v_cmp_eq_f32_e32 vcc_lo, 0, v54
	v_cmp_eq_f32_e64 s2, 0, v55
	s_and_b32 s4, vcc_lo, s2
	s_mov_b32 s2, -1
	s_and_saveexec_b32 s3, s4
	s_cbranch_execz .LBB120_2
; %bb.1:
	s_wait_loadcnt_dscnt 0x0
	v_cmp_neq_f32_e32 vcc_lo, 1.0, v52
	v_cmp_neq_f32_e64 s2, 0, v53
	s_wait_alu 0xfffe
	s_or_b32 s2, vcc_lo, s2
	s_wait_alu 0xfffe
	s_or_not1_b32 s2, s2, exec_lo
.LBB120_2:
	s_wait_alu 0xfffe
	s_or_b32 exec_lo, exec_lo, s3
	s_and_saveexec_b32 s3, s2
	s_cbranch_execz .LBB120_8
; %bb.3:
	s_clause 0x1
	s_load_b64 s[4:5], s[0:1], 0x18
	s_load_b64 s[2:3], s[0:1], 0x0
	v_lshrrev_b32_e32 v1, 2, v0
	s_delay_alu instid0(VALU_DEP_1)
	v_lshl_or_b32 v56, ttmp9, 5, v1
	s_wait_kmcnt 0x0
	s_cmp_lg_u64 s[4:5], 0
	s_cbranch_scc0 .LBB120_9
; %bb.4:
	s_load_b32 s6, s[0:1], 0x10
	s_mov_b32 s7, 0
                                        ; implicit-def: $vgpr1
	s_wait_kmcnt 0x0
	v_cmp_gt_i32_e32 vcc_lo, s6, v56
	s_mov_b32 s6, 0
	s_and_saveexec_b32 s8, vcc_lo
	s_delay_alu instid0(SALU_CYCLE_1)
	s_xor_b32 s8, exec_lo, s8
	s_cbranch_execz .LBB120_6
; %bb.5:
	v_ashrrev_i32_e32 v57, 31, v56
	s_mov_b32 s6, exec_lo
	s_delay_alu instid0(VALU_DEP_1) | instskip(NEXT) | instid1(VALU_DEP_1)
	v_lshlrev_b64_e32 v[1:2], 2, v[56:57]
	v_add_co_u32 v1, vcc_lo, s4, v1
	s_delay_alu instid0(VALU_DEP_1)
	v_add_co_ci_u32_e64 v2, null, s5, v2, vcc_lo
	global_load_b32 v1, v[1:2], off
	s_wait_loadcnt 0x0
	v_subrev_nc_u32_e32 v1, s12, v1
.LBB120_6:
	s_or_b32 exec_lo, exec_lo, s8
	s_delay_alu instid0(SALU_CYCLE_1)
	s_and_b32 vcc_lo, exec_lo, s7
	s_wait_alu 0xfffe
	s_cbranch_vccz .LBB120_10
.LBB120_7:
	v_cmp_gt_i32_e32 vcc_lo, s2, v56
	s_and_not1_b32 s2, s6, exec_lo
	s_and_b32 s4, vcc_lo, exec_lo
	s_wait_alu 0xfffe
	s_or_b32 s6, s2, s4
	s_wait_alu 0xfffe
	s_and_b32 exec_lo, exec_lo, s6
	s_cbranch_execnz .LBB120_11
.LBB120_8:
	s_nop 0
	s_sendmsg sendmsg(MSG_DEALLOC_VGPRS)
	s_endpgm
.LBB120_9:
	s_mov_b32 s6, 0
                                        ; implicit-def: $vgpr1
	s_cbranch_execnz .LBB120_7
.LBB120_10:
	v_mov_b32_e32 v56, v1
	s_and_b32 exec_lo, exec_lo, s6
	s_cbranch_execz .LBB120_8
.LBB120_11:
	s_load_b256 s[4:11], s[0:1], 0x20
	s_delay_alu instid0(VALU_DEP_1) | instskip(SKIP_1) | instid1(VALU_DEP_2)
	v_ashrrev_i32_e32 v57, 31, v56
	v_and_b32_e32 v61, 3, v0
	v_lshlrev_b64_e32 v[1:2], 2, v[56:57]
	s_wait_kmcnt 0x0
	s_delay_alu instid0(VALU_DEP_1) | instskip(SKIP_1) | instid1(VALU_DEP_2)
	v_add_co_u32 v3, vcc_lo, s4, v1
	s_wait_alu 0xfffd
	v_add_co_ci_u32_e64 v4, null, s5, v2, vcc_lo
	v_add_co_u32 v1, vcc_lo, s6, v1
	s_wait_alu 0xfffd
	v_add_co_ci_u32_e64 v2, null, s7, v2, vcc_lo
	global_load_b32 v36, v[3:4], off
	v_add_co_u32 v3, vcc_lo, v3, 4
	s_wait_alu 0xfffd
	v_add_co_ci_u32_e64 v4, null, 0, v4, vcc_lo
	s_cmp_eq_u64 s[6:7], 0
	s_load_b64 s[4:5], s[0:1], 0x40
	s_cselect_b32 vcc_lo, -1, 0
	s_cmp_eq_u32 s3, 1
	s_wait_alu 0xfffe
	v_dual_cndmask_b32 v2, v2, v4 :: v_dual_cndmask_b32 v1, v1, v3
	global_load_b32 v2, v[1:2], off
	s_wait_loadcnt 0x1
	v_subrev_nc_u32_e32 v0, s12, v36
	s_delay_alu instid0(VALU_DEP_1) | instskip(NEXT) | instid1(VALU_DEP_1)
	v_add_nc_u32_e32 v57, v0, v61
	v_ashrrev_i32_e32 v58, 31, v57
	s_wait_loadcnt 0x0
	v_subrev_nc_u32_e32 v63, s12, v2
	s_delay_alu instid0(VALU_DEP_2) | instskip(NEXT) | instid1(VALU_DEP_2)
	v_lshlrev_b64_e32 v[0:1], 6, v[57:58]
	v_cmp_lt_i32_e64 s2, v57, v63
	s_delay_alu instid0(VALU_DEP_2) | instskip(SKIP_1) | instid1(VALU_DEP_3)
	v_add_co_u32 v59, vcc_lo, s10, v0
	s_wait_alu 0xfffd
	v_add_co_ci_u32_e64 v60, null, s11, v1, vcc_lo
	s_cbranch_scc1 .LBB120_23
; %bb.12:
	v_dual_mov_b32 v62, 0 :: v_dual_mov_b32 v65, 0
	v_dual_mov_b32 v66, 0 :: v_dual_mov_b32 v67, 0
	;; [unrolled: 1-line block ×3, first 2 shown]
	v_mov_b32_e32 v70, 0
	v_mov_b32_e32 v64, 0
	s_and_saveexec_b32 s3, s2
	s_cbranch_execz .LBB120_22
; %bb.13:
	v_dual_mov_b32 v69, 0 :: v_dual_add_nc_u32 v0, v36, v61
	v_not_b32_e32 v1, v36
	v_mov_b32_e32 v32, v59
	v_dual_mov_b32 v70, 0 :: v_dual_mov_b32 v65, 0
	s_delay_alu instid0(VALU_DEP_4) | instskip(SKIP_2) | instid1(VALU_DEP_3)
	v_subrev_nc_u32_e32 v0, s12, v0
	v_dual_mov_b32 v68, 0 :: v_dual_mov_b32 v33, v60
	v_dual_mov_b32 v66, 0 :: v_dual_mov_b32 v67, 0
	v_add_nc_u32_e32 v0, 4, v0
	v_mov_b32_e32 v62, 0
	v_mov_b32_e32 v34, v57
	s_mov_b32 s6, exec_lo
	s_delay_alu instid0(VALU_DEP_3) | instskip(NEXT) | instid1(VALU_DEP_1)
	v_max_i32_e32 v0, v0, v63
	v_add3_u32 v0, s12, v0, v1
	s_delay_alu instid0(VALU_DEP_1) | instskip(NEXT) | instid1(VALU_DEP_1)
	v_sub_nc_u32_e32 v0, v0, v61
	v_dual_mov_b32 v64, 0 :: v_dual_and_b32 v1, 12, v0
	s_delay_alu instid0(VALU_DEP_1)
	v_cmpx_ne_u32_e32 12, v1
	s_cbranch_execz .LBB120_17
; %bb.14:
	v_lshrrev_b32_e32 v1, 2, v0
	v_mov_b32_e32 v62, 0
	v_dual_mov_b32 v32, v59 :: v_dual_mov_b32 v65, 0
	v_dual_mov_b32 v34, v57 :: v_dual_mov_b32 v33, v60
	s_delay_alu instid0(VALU_DEP_4) | instskip(SKIP_2) | instid1(VALU_DEP_3)
	v_dual_mov_b32 v66, 0 :: v_dual_add_nc_u32 v1, 1, v1
	v_dual_mov_b32 v67, 0 :: v_dual_mov_b32 v68, 0
	v_dual_mov_b32 v69, 0 :: v_dual_mov_b32 v70, 0
	v_dual_mov_b32 v64, 0 :: v_dual_and_b32 v1, 3, v1
	s_mov_b32 s7, 0
	s_delay_alu instid0(VALU_DEP_1)
	v_sub_nc_u32_e32 v1, 0, v1
.LBB120_15:                             ; =>This Inner Loop Header: Depth=1
	v_ashrrev_i32_e32 v35, 31, v34
	s_delay_alu instid0(VALU_DEP_2) | instskip(SKIP_2) | instid1(VALU_DEP_2)
	v_add_co_u32 v1, s10, v1, 1
	s_wait_alu 0xfffe
	s_or_b32 s7, s10, s7
	v_lshlrev_b64_e32 v[2:3], 2, v[34:35]
	s_delay_alu instid0(VALU_DEP_1) | instskip(SKIP_1) | instid1(VALU_DEP_2)
	v_add_co_u32 v2, vcc_lo, s8, v2
	s_wait_alu 0xfffd
	v_add_co_ci_u32_e64 v3, null, s9, v3, vcc_lo
	global_load_b32 v18, v[2:3], off
	s_clause 0x3
	global_load_b128 v[2:5], v[32:33], off offset:48
	global_load_b128 v[6:9], v[32:33], off offset:32
	;; [unrolled: 1-line block ×3, first 2 shown]
	global_load_b128 v[14:17], v[32:33], off
	s_wait_loadcnt 0x4
	v_subrev_nc_u32_e32 v18, s12, v18
	s_delay_alu instid0(VALU_DEP_1) | instskip(NEXT) | instid1(VALU_DEP_1)
	v_lshlrev_b32_e32 v18, 2, v18
	v_ashrrev_i32_e32 v19, 31, v18
	s_delay_alu instid0(VALU_DEP_1) | instskip(SKIP_1) | instid1(VALU_DEP_1)
	v_lshlrev_b64_e32 v[18:19], 3, v[18:19]
	s_wait_kmcnt 0x0
	v_add_co_u32 v22, vcc_lo, s4, v18
	s_wait_alu 0xfffd
	s_delay_alu instid0(VALU_DEP_2)
	v_add_co_ci_u32_e64 v23, null, s5, v19, vcc_lo
	v_add_co_u32 v32, vcc_lo, 0x100, v32
	s_wait_alu 0xfffd
	v_add_co_ci_u32_e64 v33, null, 0, v33, vcc_lo
	s_clause 0x1
	global_load_b128 v[18:21], v[22:23], off
	global_load_b128 v[22:25], v[22:23], off offset:16
	s_wait_loadcnt 0x1
	v_fmac_f32_e32 v64, v2, v18
	s_delay_alu instid0(VALU_DEP_1) | instskip(NEXT) | instid1(VALU_DEP_1)
	v_dual_fmac_f32 v65, v14, v18 :: v_dual_fmac_f32 v64, 0x80000000, v19
	v_dual_fmac_f32 v65, 0x80000000, v19 :: v_dual_fmac_f32 v66, 0, v18
	s_delay_alu instid0(VALU_DEP_1) | instskip(SKIP_1) | instid1(VALU_DEP_2)
	v_dual_fmac_f32 v65, v15, v20 :: v_dual_fmac_f32 v66, v10, v19
	v_fmac_f32_e32 v69, v6, v18
	v_dual_fmac_f32 v70, 0, v18 :: v_dual_fmac_f32 v65, 0x80000000, v21
	s_delay_alu instid0(VALU_DEP_3) | instskip(NEXT) | instid1(VALU_DEP_3)
	v_fmac_f32_e32 v66, 0, v20
	v_dual_fmac_f32 v62, 0, v18 :: v_dual_fmac_f32 v69, 0x80000000, v19
	s_wait_loadcnt 0x0
	s_delay_alu instid0(VALU_DEP_3) | instskip(NEXT) | instid1(VALU_DEP_2)
	v_dual_fmac_f32 v65, v16, v22 :: v_dual_fmac_f32 v64, v3, v20
	v_fmac_f32_e32 v62, v14, v19
	v_fmac_f32_e32 v67, v10, v18
	;; [unrolled: 1-line block ×3, first 2 shown]
	s_delay_alu instid0(VALU_DEP_4) | instskip(NEXT) | instid1(VALU_DEP_4)
	v_dual_fmac_f32 v65, 0x80000000, v23 :: v_dual_fmac_f32 v66, v11, v21
	v_fmac_f32_e32 v62, 0, v20
	s_delay_alu instid0(VALU_DEP_4) | instskip(NEXT) | instid1(VALU_DEP_4)
	v_dual_fmac_f32 v67, 0x80000000, v19 :: v_dual_add_nc_u32 v34, 4, v34
	v_dual_fmac_f32 v68, 0, v18 :: v_dual_fmac_f32 v69, 0x80000000, v21
	s_delay_alu instid0(VALU_DEP_4) | instskip(NEXT) | instid1(VALU_DEP_2)
	v_fmac_f32_e32 v65, v17, v24
	v_dual_fmac_f32 v67, v11, v20 :: v_dual_fmac_f32 v68, v6, v19
	s_delay_alu instid0(VALU_DEP_3) | instskip(NEXT) | instid1(VALU_DEP_3)
	v_dual_fmac_f32 v69, v8, v22 :: v_dual_fmac_f32 v62, v15, v21
	v_fmac_f32_e32 v65, 0x80000000, v25
	s_delay_alu instid0(VALU_DEP_3) | instskip(NEXT) | instid1(VALU_DEP_3)
	v_dual_fmac_f32 v67, 0x80000000, v21 :: v_dual_fmac_f32 v70, v2, v19
	v_dual_fmac_f32 v68, 0, v20 :: v_dual_fmac_f32 v69, 0x80000000, v23
	s_delay_alu instid0(VALU_DEP_2) | instskip(NEXT) | instid1(VALU_DEP_3)
	v_dual_fmac_f32 v64, 0x80000000, v21 :: v_dual_fmac_f32 v67, v12, v22
	v_fmac_f32_e32 v70, 0, v20
	s_delay_alu instid0(VALU_DEP_3) | instskip(NEXT) | instid1(VALU_DEP_3)
	v_dual_fmac_f32 v62, 0, v22 :: v_dual_fmac_f32 v69, v9, v24
	v_dual_fmac_f32 v64, v4, v22 :: v_dual_fmac_f32 v67, 0x80000000, v23
	v_fmac_f32_e32 v68, v7, v21
	s_delay_alu instid0(VALU_DEP_4) | instskip(NEXT) | instid1(VALU_DEP_4)
	v_fmac_f32_e32 v70, v3, v21
	v_fmac_f32_e32 v62, v16, v23
	s_delay_alu instid0(VALU_DEP_4) | instskip(SKIP_2) | instid1(VALU_DEP_3)
	v_dual_fmac_f32 v64, 0x80000000, v23 :: v_dual_fmac_f32 v67, v13, v24
	v_fmac_f32_e32 v66, 0, v22
	v_dual_fmac_f32 v68, 0, v22 :: v_dual_fmac_f32 v69, 0x80000000, v25
	v_dual_fmac_f32 v70, 0, v22 :: v_dual_fmac_f32 v67, 0x80000000, v25
	s_delay_alu instid0(VALU_DEP_3) | instskip(NEXT) | instid1(VALU_DEP_3)
	v_fmac_f32_e32 v66, v12, v23
	v_fmac_f32_e32 v68, v8, v23
	;; [unrolled: 1-line block ×3, first 2 shown]
	s_delay_alu instid0(VALU_DEP_4)
	v_fmac_f32_e32 v70, v4, v23
	v_fmac_f32_e32 v64, v5, v24
	;; [unrolled: 1-line block ×9, first 2 shown]
	s_delay_alu instid0(VALU_DEP_4)
	v_fmac_f32_e32 v70, v5, v25
	s_wait_alu 0xfffe
	s_and_not1_b32 exec_lo, exec_lo, s7
	s_cbranch_execnz .LBB120_15
; %bb.16:
	s_or_b32 exec_lo, exec_lo, s7
.LBB120_17:
	s_wait_alu 0xfffe
	s_or_b32 exec_lo, exec_lo, s6
	s_delay_alu instid0(SALU_CYCLE_1)
	s_mov_b32 s6, exec_lo
	v_cmpx_lt_u32_e32 11, v0
	s_cbranch_execz .LBB120_21
; %bb.18:
	s_mov_b32 s7, 0
.LBB120_19:                             ; =>This Inner Loop Header: Depth=1
	v_ashrrev_i32_e32 v35, 31, v34
	s_clause 0xf
	global_load_b128 v[37:40], v[32:33], off offset:48
	global_load_b128 v[41:44], v[32:33], off offset:32
	;; [unrolled: 1-line block ×3, first 2 shown]
	global_load_b128 v[71:74], v[32:33], off
	global_load_b128 v[75:78], v[32:33], off offset:304
	global_load_b128 v[79:82], v[32:33], off offset:288
	;; [unrolled: 1-line block ×12, first 2 shown]
	v_lshlrev_b64_e32 v[49:50], 2, v[34:35]
	s_delay_alu instid0(VALU_DEP_1) | instskip(SKIP_1) | instid1(VALU_DEP_2)
	v_add_co_u32 v49, vcc_lo, s8, v49
	s_wait_alu 0xfffd
	v_add_co_ci_u32_e64 v50, null, s9, v50, vcc_lo
	s_clause 0x3
	global_load_b32 v35, v[49:50], off
	global_load_b32 v51, v[49:50], off offset:16
	global_load_b32 v58, v[49:50], off offset:32
	;; [unrolled: 1-line block ×3, first 2 shown]
	s_wait_loadcnt 0x3
	v_subrev_nc_u32_e32 v35, s12, v35
	s_wait_loadcnt 0x2
	v_subrev_nc_u32_e32 v50, s12, v51
	;; [unrolled: 2-line block ×4, first 2 shown]
	v_lshlrev_b32_e32 v49, 2, v35
	v_lshlrev_b32_e32 v91, 2, v50
	;; [unrolled: 1-line block ×3, first 2 shown]
	s_delay_alu instid0(VALU_DEP_4) | instskip(NEXT) | instid1(VALU_DEP_4)
	v_lshlrev_b32_e32 v95, 2, v58
	v_ashrrev_i32_e32 v50, 31, v49
	s_delay_alu instid0(VALU_DEP_4) | instskip(NEXT) | instid1(VALU_DEP_4)
	v_ashrrev_i32_e32 v92, 31, v91
	v_ashrrev_i32_e32 v94, 31, v93
	s_delay_alu instid0(VALU_DEP_4) | instskip(NEXT) | instid1(VALU_DEP_4)
	v_ashrrev_i32_e32 v96, 31, v95
	v_lshlrev_b64_e32 v[49:50], 3, v[49:50]
	s_delay_alu instid0(VALU_DEP_4) | instskip(NEXT) | instid1(VALU_DEP_4)
	v_lshlrev_b64_e32 v[91:92], 3, v[91:92]
	v_lshlrev_b64_e32 v[93:94], 3, v[93:94]
	s_delay_alu instid0(VALU_DEP_4) | instskip(SKIP_1) | instid1(VALU_DEP_4)
	v_lshlrev_b64_e32 v[95:96], 3, v[95:96]
	s_wait_kmcnt 0x0
	v_add_co_u32 v49, vcc_lo, s4, v49
	s_wait_alu 0xfffd
	v_add_co_ci_u32_e64 v50, null, s5, v50, vcc_lo
	v_add_co_u32 v99, vcc_lo, s4, v91
	s_wait_alu 0xfffd
	v_add_co_ci_u32_e64 v100, null, s5, v92, vcc_lo
	;; [unrolled: 3-line block ×4, first 2 shown]
	s_clause 0x1
	global_load_b128 v[91:94], v[49:50], off
	global_load_b128 v[95:98], v[49:50], off offset:16
	v_add_co_u32 v32, vcc_lo, 0x400, v32
	s_wait_alu 0xfffd
	v_add_co_ci_u32_e64 v33, null, 0, v33, vcc_lo
	s_wait_loadcnt 0x1
	v_fmac_f32_e32 v62, 0, v91
	v_fmac_f32_e32 v64, v37, v91
	;; [unrolled: 1-line block ×3, first 2 shown]
	s_delay_alu instid0(VALU_DEP_3) | instskip(NEXT) | instid1(VALU_DEP_3)
	v_dual_fmac_f32 v62, v71, v92 :: v_dual_fmac_f32 v67, v45, v91
	v_fmac_f32_e32 v64, 0x80000000, v92
	s_delay_alu instid0(VALU_DEP_3) | instskip(NEXT) | instid1(VALU_DEP_3)
	v_dual_fmac_f32 v66, 0, v91 :: v_dual_fmac_f32 v65, 0x80000000, v92
	v_fmac_f32_e32 v62, 0, v93
	s_delay_alu instid0(VALU_DEP_4) | instskip(NEXT) | instid1(VALU_DEP_3)
	v_dual_fmac_f32 v68, 0, v91 :: v_dual_fmac_f32 v67, 0x80000000, v92
	v_dual_fmac_f32 v70, 0, v91 :: v_dual_fmac_f32 v65, v72, v93
	s_delay_alu instid0(VALU_DEP_4) | instskip(SKIP_1) | instid1(VALU_DEP_4)
	v_fmac_f32_e32 v66, v45, v92
	v_fmac_f32_e32 v69, v41, v91
	;; [unrolled: 1-line block ×3, first 2 shown]
	s_delay_alu instid0(VALU_DEP_4) | instskip(NEXT) | instid1(VALU_DEP_3)
	v_dual_fmac_f32 v70, v37, v92 :: v_dual_fmac_f32 v67, v46, v93
	v_dual_fmac_f32 v66, 0, v93 :: v_dual_fmac_f32 v69, 0x80000000, v92
	s_delay_alu instid0(VALU_DEP_3) | instskip(NEXT) | instid1(VALU_DEP_3)
	v_dual_fmac_f32 v68, 0, v93 :: v_dual_fmac_f32 v65, 0x80000000, v94
	v_dual_fmac_f32 v64, v38, v93 :: v_dual_fmac_f32 v67, 0x80000000, v94
	s_delay_alu instid0(VALU_DEP_3) | instskip(SKIP_3) | instid1(VALU_DEP_3)
	v_dual_fmac_f32 v69, v42, v93 :: v_dual_fmac_f32 v62, v72, v94
	v_fmac_f32_e32 v70, 0, v93
	s_wait_loadcnt 0x0
	v_dual_fmac_f32 v66, v46, v94 :: v_dual_fmac_f32 v65, v73, v95
	v_fmac_f32_e32 v69, 0x80000000, v94
	v_fmac_f32_e32 v68, v42, v94
	v_dual_fmac_f32 v70, v38, v94 :: v_dual_fmac_f32 v67, v47, v95
	s_delay_alu instid0(VALU_DEP_4) | instskip(SKIP_3) | instid1(VALU_DEP_2)
	v_dual_fmac_f32 v65, 0x80000000, v96 :: v_dual_fmac_f32 v64, 0x80000000, v94
	global_load_b128 v[91:94], v[99:100], off
	v_dual_fmac_f32 v62, 0, v95 :: v_dual_fmac_f32 v67, 0x80000000, v96
	v_fmac_f32_e32 v65, v74, v97
	v_dual_fmac_f32 v69, v43, v95 :: v_dual_fmac_f32 v62, v73, v96
	s_delay_alu instid0(VALU_DEP_3) | instskip(NEXT) | instid1(VALU_DEP_3)
	v_fmac_f32_e32 v67, v48, v97
	v_fmac_f32_e32 v65, 0x80000000, v98
	s_delay_alu instid0(VALU_DEP_3) | instskip(NEXT) | instid1(VALU_DEP_3)
	v_dual_fmac_f32 v69, 0x80000000, v96 :: v_dual_fmac_f32 v66, 0, v95
	v_dual_fmac_f32 v62, 0, v97 :: v_dual_fmac_f32 v67, 0x80000000, v98
	s_delay_alu instid0(VALU_DEP_2) | instskip(NEXT) | instid1(VALU_DEP_2)
	v_dual_fmac_f32 v69, v44, v97 :: v_dual_fmac_f32 v66, v47, v96
	v_fmac_f32_e32 v62, v74, v98
	global_load_b128 v[71:74], v[99:100], off offset:16
	v_dual_fmac_f32 v68, 0, v95 :: v_dual_fmac_f32 v69, 0x80000000, v98
	v_fmac_f32_e32 v66, 0, v97
	s_delay_alu instid0(VALU_DEP_1)
	v_fmac_f32_e32 v66, v48, v98
	s_clause 0x1
	global_load_b128 v[45:48], v[101:102], off
	global_load_b128 v[99:102], v[101:102], off offset:16
	s_wait_loadcnt 0x3
	v_fmac_f32_e32 v65, v87, v91
	v_fmac_f32_e32 v70, 0, v95
	;; [unrolled: 1-line block ×12, first 2 shown]
	v_dual_fmac_f32 v64, 0x80000000, v96 :: v_dual_fmac_f32 v67, v84, v93
	v_fmac_f32_e32 v70, 0, v97
	v_fmac_f32_e32 v69, v80, v93
	s_delay_alu instid0(VALU_DEP_4)
	v_fmac_f32_e32 v68, v44, v98
	global_load_b128 v[41:44], v[103:104], off
	v_dual_fmac_f32 v64, v40, v97 :: v_dual_fmac_f32 v65, 0x80000000, v94
	v_fmac_f32_e32 v70, v40, v98
	global_load_b128 v[37:40], v[103:104], off offset:16
	v_dual_fmac_f32 v62, 0, v91 :: v_dual_fmac_f32 v67, 0x80000000, v94
	v_add_nc_u32_e32 v34, 16, v34
	v_dual_fmac_f32 v66, 0, v91 :: v_dual_fmac_f32 v69, 0x80000000, v94
	s_wait_loadcnt 0x4
	s_delay_alu instid0(VALU_DEP_3) | instskip(SKIP_3) | instid1(VALU_DEP_4)
	v_dual_fmac_f32 v64, 0x80000000, v98 :: v_dual_fmac_f32 v67, v85, v71
	v_fmac_f32_e32 v65, v89, v71
	v_fmac_f32_e32 v68, 0, v91
	;; [unrolled: 1-line block ×3, first 2 shown]
	v_dual_fmac_f32 v64, v75, v91 :: v_dual_fmac_f32 v67, 0x80000000, v72
	v_fmac_f32_e32 v70, 0, v91
	v_fmac_f32_e32 v66, v83, v92
	;; [unrolled: 1-line block ×3, first 2 shown]
	s_delay_alu instid0(VALU_DEP_4) | instskip(SKIP_2) | instid1(VALU_DEP_4)
	v_dual_fmac_f32 v62, v87, v92 :: v_dual_fmac_f32 v67, v86, v73
	v_fmac_f32_e32 v69, 0x80000000, v72
	v_fmac_f32_e32 v70, v75, v92
	v_dual_fmac_f32 v68, v79, v92 :: v_dual_fmac_f32 v65, v90, v73
	s_delay_alu instid0(VALU_DEP_4) | instskip(NEXT) | instid1(VALU_DEP_4)
	v_fmac_f32_e32 v67, 0x80000000, v74
	v_fmac_f32_e32 v69, v82, v73
	;; [unrolled: 1-line block ×3, first 2 shown]
	s_delay_alu instid0(VALU_DEP_4)
	v_dual_fmac_f32 v64, 0x80000000, v92 :: v_dual_fmac_f32 v65, 0x80000000, v74
	s_wait_loadcnt 0x3
	v_fmac_f32_e32 v67, v24, v45
	v_dual_fmac_f32 v68, 0, v93 :: v_dual_fmac_f32 v69, 0x80000000, v74
	v_cmp_ge_i32_e32 vcc_lo, v34, v63
	v_fmac_f32_e32 v65, v28, v45
	s_delay_alu instid0(VALU_DEP_4)
	v_fmac_f32_e32 v67, 0x80000000, v46
	v_fmac_f32_e32 v62, v88, v94
	;; [unrolled: 1-line block ×4, first 2 shown]
	v_dual_fmac_f32 v66, 0, v93 :: v_dual_fmac_f32 v65, 0x80000000, v46
	v_fmac_f32_e32 v67, v25, v47
	s_delay_alu instid0(VALU_DEP_4) | instskip(NEXT) | instid1(VALU_DEP_4)
	v_dual_fmac_f32 v62, 0, v71 :: v_dual_fmac_f32 v69, 0x80000000, v46
	v_fmac_f32_e32 v64, 0x80000000, v94
	s_delay_alu instid0(VALU_DEP_4) | instskip(NEXT) | instid1(VALU_DEP_3)
	v_dual_fmac_f32 v70, 0, v93 :: v_dual_fmac_f32 v65, v29, v47
	v_dual_fmac_f32 v66, v84, v94 :: v_dual_fmac_f32 v69, v21, v47
	v_fmac_f32_e32 v68, v80, v94
	s_delay_alu instid0(VALU_DEP_3) | instskip(NEXT) | instid1(VALU_DEP_3)
	v_dual_fmac_f32 v70, v76, v94 :: v_dual_fmac_f32 v67, 0x80000000, v48
	v_dual_fmac_f32 v66, 0, v71 :: v_dual_fmac_f32 v69, 0x80000000, v48
	v_fmac_f32_e32 v65, 0x80000000, v48
	s_wait_loadcnt 0x2
	s_delay_alu instid0(VALU_DEP_3) | instskip(NEXT) | instid1(VALU_DEP_3)
	v_dual_fmac_f32 v62, v89, v72 :: v_dual_fmac_f32 v67, v26, v99
	v_fmac_f32_e32 v66, v85, v72
	v_fmac_f32_e32 v64, v77, v71
	;; [unrolled: 1-line block ×5, first 2 shown]
	v_dual_fmac_f32 v70, 0, v71 :: v_dual_fmac_f32 v67, 0x80000000, v100
	s_delay_alu instid0(VALU_DEP_4) | instskip(NEXT) | instid1(VALU_DEP_4)
	v_fmac_f32_e32 v65, 0x80000000, v100
	v_fmac_f32_e32 v68, v81, v72
	;; [unrolled: 1-line block ×4, first 2 shown]
	v_dual_fmac_f32 v70, v77, v72 :: v_dual_fmac_f32 v67, v27, v101
	v_fmac_f32_e32 v65, v31, v101
	v_fmac_f32_e32 v62, 0, v73
	;; [unrolled: 1-line block ×4, first 2 shown]
	s_delay_alu instid0(VALU_DEP_4) | instskip(NEXT) | instid1(VALU_DEP_4)
	v_dual_fmac_f32 v68, 0, v73 :: v_dual_fmac_f32 v65, 0x80000000, v102
	v_fmac_f32_e32 v62, v90, v74
	v_fmac_f32_e32 v67, 0x80000000, v102
	;; [unrolled: 1-line block ×5, first 2 shown]
	s_wait_alu 0xfffe
	s_or_b32 s7, vcc_lo, s7
	s_wait_loadcnt 0x1
	v_fmac_f32_e32 v65, v12, v41
	v_fmac_f32_e32 v67, v8, v41
	;; [unrolled: 1-line block ×9, first 2 shown]
	s_delay_alu instid0(VALU_DEP_4) | instskip(NEXT) | instid1(VALU_DEP_4)
	v_dual_fmac_f32 v66, 0, v45 :: v_dual_fmac_f32 v65, v13, v43
	v_dual_fmac_f32 v67, v9, v43 :: v_dual_fmac_f32 v62, 0, v45
	;; [unrolled: 1-line block ×3, first 2 shown]
	s_delay_alu instid0(VALU_DEP_3) | instskip(NEXT) | instid1(VALU_DEP_3)
	v_dual_fmac_f32 v64, v16, v45 :: v_dual_fmac_f32 v65, 0x80000000, v44
	v_dual_fmac_f32 v70, 0, v45 :: v_dual_fmac_f32 v67, 0x80000000, v44
	s_delay_alu instid0(VALU_DEP_3) | instskip(SKIP_2) | instid1(VALU_DEP_3)
	v_dual_fmac_f32 v66, v24, v46 :: v_dual_fmac_f32 v69, v5, v43
	v_fmac_f32_e32 v62, v28, v46
	s_wait_loadcnt 0x0
	v_dual_fmac_f32 v68, v20, v46 :: v_dual_fmac_f32 v67, v10, v37
	v_dual_fmac_f32 v65, v14, v37 :: v_dual_fmac_f32 v64, 0x80000000, v46
	;; [unrolled: 1-line block ×3, first 2 shown]
	v_fmac_f32_e32 v70, v16, v46
	s_delay_alu instid0(VALU_DEP_3) | instskip(NEXT) | instid1(VALU_DEP_3)
	v_dual_fmac_f32 v62, 0, v47 :: v_dual_fmac_f32 v65, 0x80000000, v38
	v_dual_fmac_f32 v67, 0x80000000, v38 :: v_dual_fmac_f32 v66, v25, v48
	s_delay_alu instid0(VALU_DEP_4) | instskip(NEXT) | instid1(VALU_DEP_3)
	v_dual_fmac_f32 v69, v6, v37 :: v_dual_fmac_f32 v68, 0, v47
	v_dual_fmac_f32 v62, v29, v48 :: v_dual_fmac_f32 v65, v15, v39
	v_fmac_f32_e32 v64, v17, v47
	s_delay_alu instid0(VALU_DEP_4) | instskip(NEXT) | instid1(VALU_DEP_4)
	v_fmac_f32_e32 v67, v11, v39
	v_dual_fmac_f32 v70, 0, v47 :: v_dual_fmac_f32 v69, 0x80000000, v38
	v_fmac_f32_e32 v68, v21, v48
	v_fmac_f32_e32 v65, 0x80000000, v40
	;; [unrolled: 1-line block ×67, first 2 shown]
	s_wait_alu 0xfffe
	s_and_not1_b32 exec_lo, exec_lo, s7
	s_cbranch_execnz .LBB120_19
; %bb.20:
	s_or_b32 exec_lo, exec_lo, s7
.LBB120_21:
	s_wait_alu 0xfffe
	s_or_b32 exec_lo, exec_lo, s6
.LBB120_22:
	s_wait_alu 0xfffe
	s_or_b32 exec_lo, exec_lo, s3
	s_cbranch_execz .LBB120_24
	s_branch .LBB120_35
.LBB120_23:
                                        ; implicit-def: $vgpr62
                                        ; implicit-def: $vgpr65
                                        ; implicit-def: $vgpr66
                                        ; implicit-def: $vgpr67
                                        ; implicit-def: $vgpr68
                                        ; implicit-def: $vgpr69
                                        ; implicit-def: $vgpr70
                                        ; implicit-def: $vgpr64
.LBB120_24:
	v_dual_mov_b32 v62, 0 :: v_dual_mov_b32 v65, 0
	v_dual_mov_b32 v66, 0 :: v_dual_mov_b32 v67, 0
	;; [unrolled: 1-line block ×3, first 2 shown]
	v_mov_b32_e32 v70, 0
	v_mov_b32_e32 v64, 0
	s_and_saveexec_b32 s3, s2
	s_cbranch_execz .LBB120_34
; %bb.25:
	v_dual_mov_b32 v69, 0 :: v_dual_add_nc_u32 v0, v36, v61
	v_not_b32_e32 v1, v36
	v_dual_mov_b32 v70, 0 :: v_dual_mov_b32 v65, 0
	s_delay_alu instid0(VALU_DEP_3)
	v_subrev_nc_u32_e32 v0, s12, v0
	v_mov_b32_e32 v68, 0
	v_mov_b32_e32 v66, 0
	;; [unrolled: 1-line block ×3, first 2 shown]
	s_mov_b32 s2, exec_lo
	v_dual_mov_b32 v67, 0 :: v_dual_add_nc_u32 v0, 4, v0
	s_delay_alu instid0(VALU_DEP_1) | instskip(NEXT) | instid1(VALU_DEP_1)
	v_max_i32_e32 v0, v0, v63
	v_add3_u32 v0, s12, v0, v1
	s_delay_alu instid0(VALU_DEP_1) | instskip(NEXT) | instid1(VALU_DEP_1)
	v_sub_nc_u32_e32 v0, v0, v61
	v_dual_mov_b32 v64, 0 :: v_dual_and_b32 v1, 12, v0
	s_delay_alu instid0(VALU_DEP_1)
	v_cmpx_ne_u32_e32 12, v1
	s_cbranch_execz .LBB120_29
; %bb.26:
	v_lshrrev_b32_e32 v1, 2, v0
	v_dual_mov_b32 v65, 0 :: v_dual_mov_b32 v66, 0
	v_dual_mov_b32 v67, 0 :: v_dual_mov_b32 v70, 0
	s_delay_alu instid0(VALU_DEP_3) | instskip(SKIP_2) | instid1(VALU_DEP_2)
	v_dual_mov_b32 v62, 0 :: v_dual_add_nc_u32 v1, 1, v1
	v_dual_mov_b32 v69, 0 :: v_dual_mov_b32 v64, 0
	s_mov_b32 s6, 0
	v_dual_mov_b32 v68, 0 :: v_dual_and_b32 v1, 3, v1
	s_delay_alu instid0(VALU_DEP_1)
	v_sub_nc_u32_e32 v1, 0, v1
.LBB120_27:                             ; =>This Inner Loop Header: Depth=1
	v_ashrrev_i32_e32 v58, 31, v57
	s_delay_alu instid0(VALU_DEP_2) | instskip(SKIP_2) | instid1(VALU_DEP_2)
	v_add_co_u32 v1, s7, v1, 1
	s_wait_alu 0xfffe
	s_or_b32 s6, s7, s6
	v_lshlrev_b64_e32 v[2:3], 2, v[57:58]
	s_delay_alu instid0(VALU_DEP_1) | instskip(SKIP_1) | instid1(VALU_DEP_2)
	v_add_co_u32 v2, vcc_lo, s8, v2
	s_wait_alu 0xfffd
	v_add_co_ci_u32_e64 v3, null, s9, v3, vcc_lo
	global_load_b32 v10, v[2:3], off
	s_clause 0x1
	global_load_b128 v[2:5], v[59:60], off offset:16
	global_load_b128 v[6:9], v[59:60], off
	s_wait_loadcnt 0x2
	v_subrev_nc_u32_e32 v10, s12, v10
	s_delay_alu instid0(VALU_DEP_1) | instskip(NEXT) | instid1(VALU_DEP_1)
	v_lshlrev_b32_e32 v10, 2, v10
	v_ashrrev_i32_e32 v11, 31, v10
	s_delay_alu instid0(VALU_DEP_1) | instskip(SKIP_1) | instid1(VALU_DEP_1)
	v_lshlrev_b64_e32 v[10:11], 3, v[10:11]
	s_wait_kmcnt 0x0
	v_add_co_u32 v14, vcc_lo, s4, v10
	s_wait_alu 0xfffd
	s_delay_alu instid0(VALU_DEP_2)
	v_add_co_ci_u32_e64 v15, null, s5, v11, vcc_lo
	s_clause 0x1
	global_load_b128 v[10:13], v[14:15], off
	global_load_b128 v[14:17], v[14:15], off offset:16
	s_clause 0x1
	global_load_b128 v[18:21], v[59:60], off offset:32
	global_load_b128 v[22:25], v[59:60], off offset:48
	v_add_nc_u32_e32 v57, 4, v57
	v_add_co_u32 v59, vcc_lo, 0x100, v59
	s_wait_alu 0xfffd
	v_add_co_ci_u32_e64 v60, null, 0, v60, vcc_lo
	s_wait_loadcnt 0x3
	v_fmac_f32_e32 v62, 0, v10
	s_delay_alu instid0(VALU_DEP_1) | instskip(NEXT) | instid1(VALU_DEP_1)
	v_dual_fmac_f32 v67, v7, v10 :: v_dual_fmac_f32 v62, v6, v11
	v_dual_fmac_f32 v66, 0, v10 :: v_dual_fmac_f32 v67, 0x80000000, v11
	v_fmac_f32_e32 v65, v6, v10
	v_fmac_f32_e32 v70, 0, v10
	s_delay_alu instid0(VALU_DEP_3) | instskip(NEXT) | instid1(VALU_DEP_4)
	v_fmac_f32_e32 v66, v7, v11
	v_fmac_f32_e32 v67, v3, v12
	s_delay_alu instid0(VALU_DEP_4) | instskip(NEXT) | instid1(VALU_DEP_2)
	v_dual_fmac_f32 v65, 0x80000000, v11 :: v_dual_fmac_f32 v64, v9, v10
	v_dual_fmac_f32 v62, 0, v12 :: v_dual_fmac_f32 v67, 0x80000000, v13
	s_delay_alu instid0(VALU_DEP_2) | instskip(NEXT) | instid1(VALU_DEP_3)
	v_fmac_f32_e32 v65, v2, v12
	v_dual_fmac_f32 v69, v8, v10 :: v_dual_fmac_f32 v64, 0x80000000, v11
	v_fmac_f32_e32 v68, 0, v10
	s_wait_loadcnt 0x1
	v_fmac_f32_e32 v67, v19, v14
	v_fmac_f32_e32 v65, 0x80000000, v13
	;; [unrolled: 1-line block ×5, first 2 shown]
	s_delay_alu instid0(VALU_DEP_4) | instskip(NEXT) | instid1(VALU_DEP_4)
	v_dual_fmac_f32 v64, v5, v12 :: v_dual_fmac_f32 v65, v18, v14
	v_fmac_f32_e32 v69, v4, v12
	v_fmac_f32_e32 v66, 0, v12
	s_delay_alu instid0(VALU_DEP_4) | instskip(NEXT) | instid1(VALU_DEP_4)
	v_fmac_f32_e32 v68, 0, v12
	v_dual_fmac_f32 v62, v2, v13 :: v_dual_fmac_f32 v65, 0x80000000, v15
	s_delay_alu instid0(VALU_DEP_4) | instskip(NEXT) | instid1(VALU_DEP_4)
	v_dual_fmac_f32 v69, 0x80000000, v13 :: v_dual_fmac_f32 v70, 0, v12
	v_dual_fmac_f32 v66, v3, v13 :: v_dual_fmac_f32 v67, 0x80000000, v15
	s_wait_loadcnt 0x0
	s_delay_alu instid0(VALU_DEP_3) | instskip(NEXT) | instid1(VALU_DEP_3)
	v_dual_fmac_f32 v64, 0x80000000, v13 :: v_dual_fmac_f32 v65, v22, v16
	v_fmac_f32_e32 v69, v20, v14
	v_fmac_f32_e32 v68, v4, v13
	v_dual_fmac_f32 v70, v5, v13 :: v_dual_fmac_f32 v67, v23, v16
	s_delay_alu instid0(VALU_DEP_4) | instskip(NEXT) | instid1(VALU_DEP_4)
	v_dual_fmac_f32 v66, 0, v14 :: v_dual_fmac_f32 v65, 0x80000000, v17
	v_dual_fmac_f32 v69, 0x80000000, v15 :: v_dual_fmac_f32 v62, 0, v14
	s_delay_alu instid0(VALU_DEP_3) | instskip(NEXT) | instid1(VALU_DEP_2)
	v_dual_fmac_f32 v68, 0, v14 :: v_dual_fmac_f32 v67, 0x80000000, v17
	v_dual_fmac_f32 v70, 0, v14 :: v_dual_fmac_f32 v69, v24, v16
	v_fmac_f32_e32 v64, v21, v14
	s_delay_alu instid0(VALU_DEP_4)
	v_fmac_f32_e32 v62, v18, v15
	v_fmac_f32_e32 v66, v19, v15
	;; [unrolled: 1-line block ×3, first 2 shown]
	v_dual_fmac_f32 v70, v21, v15 :: v_dual_fmac_f32 v69, 0x80000000, v17
	v_fmac_f32_e32 v64, 0x80000000, v15
	v_fmac_f32_e32 v62, 0, v16
	;; [unrolled: 1-line block ×11, first 2 shown]
	s_wait_alu 0xfffe
	s_and_not1_b32 exec_lo, exec_lo, s6
	s_cbranch_execnz .LBB120_27
; %bb.28:
	s_or_b32 exec_lo, exec_lo, s6
.LBB120_29:
	s_wait_alu 0xfffe
	s_or_b32 exec_lo, exec_lo, s2
	s_delay_alu instid0(SALU_CYCLE_1)
	s_mov_b32 s2, exec_lo
	v_cmpx_lt_u32_e32 11, v0
	s_cbranch_execz .LBB120_33
; %bb.30:
	s_mov_b32 s6, 0
.LBB120_31:                             ; =>This Inner Loop Header: Depth=1
	v_ashrrev_i32_e32 v58, 31, v57
	s_clause 0xe
	global_load_b128 v[16:19], v[59:60], off offset:48
	global_load_b128 v[24:27], v[59:60], off offset:32
	;; [unrolled: 1-line block ×3, first 2 shown]
	global_load_b128 v[40:43], v[59:60], off
	global_load_b128 v[0:3], v[59:60], off offset:304
	global_load_b128 v[4:7], v[59:60], off offset:288
	global_load_b128 v[8:11], v[59:60], off offset:272
	global_load_b128 v[12:15], v[59:60], off offset:256
	global_load_b128 v[20:23], v[59:60], off offset:560
	global_load_b128 v[28:31], v[59:60], off offset:544
	global_load_b128 v[36:39], v[59:60], off offset:528
	global_load_b128 v[44:47], v[59:60], off offset:512
	global_load_b128 v[48:51], v[59:60], off offset:784
	global_load_b128 v[71:74], v[59:60], off offset:768
	global_load_b128 v[75:78], v[59:60], off offset:800
	v_lshlrev_b64_e32 v[79:80], 2, v[57:58]
	v_add_nc_u32_e32 v57, 16, v57
	s_delay_alu instid0(VALU_DEP_2) | instskip(SKIP_1) | instid1(VALU_DEP_3)
	v_add_co_u32 v79, vcc_lo, s8, v79
	s_wait_alu 0xfffd
	v_add_co_ci_u32_e64 v80, null, s9, v80, vcc_lo
	s_clause 0x3
	global_load_b32 v58, v[79:80], off
	global_load_b32 v81, v[79:80], off offset:16
	global_load_b32 v82, v[79:80], off offset:32
	;; [unrolled: 1-line block ×3, first 2 shown]
	s_wait_loadcnt 0x3
	v_subrev_nc_u32_e32 v58, s12, v58
	s_wait_loadcnt 0x2
	v_subrev_nc_u32_e32 v80, s12, v81
	;; [unrolled: 2-line block ×4, first 2 shown]
	v_lshlrev_b32_e32 v79, 2, v58
	v_lshlrev_b32_e32 v81, 2, v80
	;; [unrolled: 1-line block ×3, first 2 shown]
	s_delay_alu instid0(VALU_DEP_4) | instskip(NEXT) | instid1(VALU_DEP_4)
	v_lshlrev_b32_e32 v85, 2, v84
	v_ashrrev_i32_e32 v80, 31, v79
	s_delay_alu instid0(VALU_DEP_4) | instskip(NEXT) | instid1(VALU_DEP_4)
	v_ashrrev_i32_e32 v82, 31, v81
	v_ashrrev_i32_e32 v84, 31, v83
	s_delay_alu instid0(VALU_DEP_4) | instskip(NEXT) | instid1(VALU_DEP_4)
	v_ashrrev_i32_e32 v86, 31, v85
	v_lshlrev_b64_e32 v[79:80], 3, v[79:80]
	s_delay_alu instid0(VALU_DEP_4) | instskip(NEXT) | instid1(VALU_DEP_4)
	v_lshlrev_b64_e32 v[81:82], 3, v[81:82]
	v_lshlrev_b64_e32 v[83:84], 3, v[83:84]
	s_delay_alu instid0(VALU_DEP_4) | instskip(SKIP_1) | instid1(VALU_DEP_4)
	v_lshlrev_b64_e32 v[85:86], 3, v[85:86]
	s_wait_kmcnt 0x0
	v_add_co_u32 v87, vcc_lo, s4, v79
	s_wait_alu 0xfffd
	v_add_co_ci_u32_e64 v88, null, s5, v80, vcc_lo
	v_add_co_u32 v91, vcc_lo, s4, v81
	s_wait_alu 0xfffd
	v_add_co_ci_u32_e64 v92, null, s5, v82, vcc_lo
	;; [unrolled: 3-line block ×4, first 2 shown]
	s_clause 0x2
	global_load_b128 v[79:82], v[87:88], off
	global_load_b128 v[83:86], v[87:88], off offset:16
	global_load_b128 v[87:90], v[91:92], off
	s_wait_loadcnt 0x2
	v_fmac_f32_e32 v66, 0, v79
	v_fmac_f32_e32 v65, v40, v79
	;; [unrolled: 1-line block ×6, first 2 shown]
	v_dual_fmac_f32 v70, 0, v79 :: v_dual_fmac_f32 v65, 0x80000000, v80
	v_dual_fmac_f32 v69, v42, v79 :: v_dual_fmac_f32 v62, v40, v80
	v_fmac_f32_e32 v68, v42, v80
	v_dual_fmac_f32 v64, v43, v79 :: v_dual_fmac_f32 v67, 0x80000000, v80
	s_delay_alu instid0(VALU_DEP_4) | instskip(SKIP_4) | instid1(VALU_DEP_3)
	v_fmac_f32_e32 v70, v43, v80
	global_load_b128 v[40:43], v[91:92], off offset:16
	v_dual_fmac_f32 v69, 0x80000000, v80 :: v_dual_fmac_f32 v62, 0, v81
	v_dual_fmac_f32 v64, 0x80000000, v80 :: v_dual_fmac_f32 v65, v32, v81
	v_fmac_f32_e32 v66, 0, v81
	v_dual_fmac_f32 v67, v33, v81 :: v_dual_fmac_f32 v62, v32, v82
	s_delay_alu instid0(VALU_DEP_3) | instskip(NEXT) | instid1(VALU_DEP_3)
	v_dual_fmac_f32 v68, 0, v81 :: v_dual_fmac_f32 v65, 0x80000000, v82
	v_dual_fmac_f32 v69, v34, v81 :: v_dual_fmac_f32 v66, v33, v82
	v_fmac_f32_e32 v70, 0, v81
	s_wait_loadcnt 0x2
	s_delay_alu instid0(VALU_DEP_3)
	v_dual_fmac_f32 v64, v35, v81 :: v_dual_fmac_f32 v65, v24, v83
	v_fmac_f32_e32 v67, 0x80000000, v82
	v_fmac_f32_e32 v68, v34, v82
	;; [unrolled: 1-line block ×4, first 2 shown]
	s_clause 0x1
	global_load_b128 v[32:35], v[93:94], off
	global_load_b128 v[91:94], v[93:94], off offset:16
	v_dual_fmac_f32 v64, 0x80000000, v82 :: v_dual_fmac_f32 v65, 0x80000000, v84
	global_load_b128 v[79:82], v[95:96], off
	v_fmac_f32_e32 v67, v25, v83
	v_fmac_f32_e32 v62, 0, v83
	;; [unrolled: 1-line block ×4, first 2 shown]
	v_dual_fmac_f32 v68, 0, v83 :: v_dual_fmac_f32 v65, v16, v85
	v_dual_fmac_f32 v67, 0x80000000, v84 :: v_dual_fmac_f32 v70, 0, v83
	s_delay_alu instid0(VALU_DEP_4) | instskip(NEXT) | instid1(VALU_DEP_3)
	v_dual_fmac_f32 v69, 0x80000000, v84 :: v_dual_fmac_f32 v64, v27, v83
	v_dual_fmac_f32 v66, v25, v84 :: v_dual_fmac_f32 v65, 0x80000000, v86
	s_delay_alu instid0(VALU_DEP_3) | instskip(SKIP_1) | instid1(VALU_DEP_4)
	v_dual_fmac_f32 v67, v17, v85 :: v_dual_fmac_f32 v62, v24, v84
	v_fmac_f32_e32 v68, v26, v84
	v_dual_fmac_f32 v69, v18, v85 :: v_dual_fmac_f32 v64, 0x80000000, v84
	s_wait_loadcnt 0x4
	v_fmac_f32_e32 v65, v12, v87
	v_dual_fmac_f32 v67, 0x80000000, v86 :: v_dual_fmac_f32 v70, v27, v84
	s_delay_alu instid0(VALU_DEP_3) | instskip(SKIP_4) | instid1(VALU_DEP_3)
	v_fmac_f32_e32 v69, 0x80000000, v86
	global_load_b128 v[24:27], v[95:96], off offset:16
	v_dual_fmac_f32 v62, 0, v85 :: v_dual_fmac_f32 v67, v13, v87
	v_dual_fmac_f32 v66, 0, v85 :: v_dual_fmac_f32 v69, v14, v87
	;; [unrolled: 1-line block ×4, first 2 shown]
	s_delay_alu instid0(VALU_DEP_4) | instskip(NEXT) | instid1(VALU_DEP_3)
	v_fmac_f32_e32 v62, v16, v86
	v_dual_fmac_f32 v66, v17, v86 :: v_dual_fmac_f32 v65, v8, v89
	v_dual_fmac_f32 v64, v19, v85 :: v_dual_fmac_f32 v69, 0x80000000, v88
	s_delay_alu instid0(VALU_DEP_4) | instskip(NEXT) | instid1(VALU_DEP_3)
	v_dual_fmac_f32 v70, v19, v86 :: v_dual_fmac_f32 v67, v9, v89
	v_dual_fmac_f32 v62, 0, v87 :: v_dual_fmac_f32 v65, 0x80000000, v90
	v_fmac_f32_e32 v68, v18, v86
	global_load_b128 v[16:19], v[59:60], off offset:816
	v_dual_fmac_f32 v69, v10, v89 :: v_dual_fmac_f32 v66, 0, v87
	v_fmac_f32_e32 v67, 0x80000000, v90
	v_fmac_f32_e32 v64, 0x80000000, v86
	v_add_co_u32 v59, vcc_lo, 0x400, v59
	s_wait_alu 0xfffd
	v_add_co_ci_u32_e64 v60, null, 0, v60, vcc_lo
	v_cmp_ge_i32_e32 vcc_lo, v57, v63
	v_fmac_f32_e32 v69, 0x80000000, v90
	s_wait_alu 0xfffe
	s_or_b32 s6, vcc_lo, s6
	s_wait_loadcnt 0x5
	v_dual_fmac_f32 v65, v4, v40 :: v_dual_fmac_f32 v68, 0, v87
	v_dual_fmac_f32 v67, v5, v40 :: v_dual_fmac_f32 v64, v15, v87
	;; [unrolled: 1-line block ×3, first 2 shown]
	s_delay_alu instid0(VALU_DEP_3) | instskip(NEXT) | instid1(VALU_DEP_3)
	v_dual_fmac_f32 v65, 0x80000000, v41 :: v_dual_fmac_f32 v62, v12, v88
	v_dual_fmac_f32 v67, 0x80000000, v41 :: v_dual_fmac_f32 v66, v13, v88
	s_delay_alu instid0(VALU_DEP_3) | instskip(NEXT) | instid1(VALU_DEP_3)
	v_dual_fmac_f32 v69, 0x80000000, v41 :: v_dual_fmac_f32 v68, v14, v88
	v_dual_fmac_f32 v65, v0, v42 :: v_dual_fmac_f32 v64, 0x80000000, v88
	s_delay_alu instid0(VALU_DEP_3) | instskip(NEXT) | instid1(VALU_DEP_3)
	v_dual_fmac_f32 v67, v1, v42 :: v_dual_fmac_f32 v70, v15, v88
	v_dual_fmac_f32 v69, v2, v42 :: v_dual_fmac_f32 v62, 0, v89
	s_delay_alu instid0(VALU_DEP_3) | instskip(NEXT) | instid1(VALU_DEP_3)
	v_dual_fmac_f32 v65, 0x80000000, v43 :: v_dual_fmac_f32 v66, 0, v89
	v_dual_fmac_f32 v67, 0x80000000, v43 :: v_dual_fmac_f32 v68, 0, v89
	s_delay_alu instid0(VALU_DEP_3) | instskip(SKIP_1) | instid1(VALU_DEP_3)
	v_dual_fmac_f32 v69, 0x80000000, v43 :: v_dual_fmac_f32 v64, v11, v89
	s_wait_loadcnt 0x4
	v_dual_fmac_f32 v65, v44, v32 :: v_dual_fmac_f32 v70, 0, v89
	s_delay_alu instid0(VALU_DEP_3) | instskip(NEXT) | instid1(VALU_DEP_3)
	v_dual_fmac_f32 v67, v45, v32 :: v_dual_fmac_f32 v62, v8, v90
	v_dual_fmac_f32 v69, v46, v32 :: v_dual_fmac_f32 v66, v9, v90
	s_delay_alu instid0(VALU_DEP_3) | instskip(NEXT) | instid1(VALU_DEP_3)
	v_dual_fmac_f32 v65, 0x80000000, v33 :: v_dual_fmac_f32 v68, v10, v90
	;; [unrolled: 3-line block ×3, first 2 shown]
	v_fmac_f32_e32 v65, v36, v34
	v_fmac_f32_e32 v70, v11, v90
	s_delay_alu instid0(VALU_DEP_4) | instskip(NEXT) | instid1(VALU_DEP_4)
	v_dual_fmac_f32 v66, 0, v40 :: v_dual_fmac_f32 v67, v37, v34
	v_dual_fmac_f32 v68, 0, v40 :: v_dual_fmac_f32 v69, v38, v34
	s_delay_alu instid0(VALU_DEP_4) | instskip(NEXT) | instid1(VALU_DEP_3)
	v_dual_fmac_f32 v64, v7, v40 :: v_dual_fmac_f32 v65, 0x80000000, v35
	v_dual_fmac_f32 v70, 0, v40 :: v_dual_fmac_f32 v67, 0x80000000, v35
	s_delay_alu instid0(VALU_DEP_3) | instskip(SKIP_1) | instid1(VALU_DEP_3)
	v_dual_fmac_f32 v69, 0x80000000, v35 :: v_dual_fmac_f32 v62, v4, v41
	s_wait_loadcnt 0x3
	v_dual_fmac_f32 v66, v5, v41 :: v_dual_fmac_f32 v65, v28, v91
	s_delay_alu instid0(VALU_DEP_2) | instskip(SKIP_1) | instid1(VALU_DEP_3)
	v_dual_fmac_f32 v64, 0x80000000, v41 :: v_dual_fmac_f32 v69, v30, v91
	v_dual_fmac_f32 v67, v29, v91 :: v_dual_fmac_f32 v68, v6, v41
	v_dual_fmac_f32 v65, 0x80000000, v92 :: v_dual_fmac_f32 v70, v7, v41
	s_delay_alu instid0(VALU_DEP_3) | instskip(NEXT) | instid1(VALU_DEP_3)
	v_dual_fmac_f32 v62, 0, v42 :: v_dual_fmac_f32 v69, 0x80000000, v92
	v_dual_fmac_f32 v67, 0x80000000, v92 :: v_dual_fmac_f32 v66, 0, v42
	s_delay_alu instid0(VALU_DEP_3) | instskip(NEXT) | instid1(VALU_DEP_3)
	v_dual_fmac_f32 v65, v20, v93 :: v_dual_fmac_f32 v68, 0, v42
	v_dual_fmac_f32 v64, v3, v42 :: v_dual_fmac_f32 v69, v22, v93
	;; [unrolled: 3-line block ×3, first 2 shown]
	s_delay_alu instid0(VALU_DEP_3) | instskip(NEXT) | instid1(VALU_DEP_3)
	v_dual_fmac_f32 v68, v2, v43 :: v_dual_fmac_f32 v69, 0x80000000, v94
	v_fmac_f32_e32 v67, 0x80000000, v94
	s_wait_loadcnt 0x2
	s_delay_alu instid0(VALU_DEP_3) | instskip(SKIP_3) | instid1(VALU_DEP_4)
	v_dual_fmac_f32 v70, 0, v42 :: v_dual_fmac_f32 v65, v71, v79
	v_fmac_f32_e32 v62, 0, v32
	v_dual_fmac_f32 v66, 0, v32 :: v_dual_fmac_f32 v69, v73, v79
	v_fmac_f32_e32 v67, v72, v79
	;; [unrolled: 2-line block ×3, first 2 shown]
	s_delay_alu instid0(VALU_DEP_4) | instskip(NEXT) | instid1(VALU_DEP_4)
	v_dual_fmac_f32 v62, v44, v33 :: v_dual_fmac_f32 v69, 0x80000000, v80
	v_fmac_f32_e32 v67, 0x80000000, v80
	s_delay_alu instid0(VALU_DEP_4) | instskip(SKIP_1) | instid1(VALU_DEP_4)
	v_dual_fmac_f32 v68, 0, v32 :: v_dual_fmac_f32 v65, v48, v81
	v_fmac_f32_e32 v64, v47, v32
	v_dual_fmac_f32 v70, 0, v32 :: v_dual_fmac_f32 v69, v50, v81
	s_delay_alu instid0(VALU_DEP_4) | instskip(NEXT) | instid1(VALU_DEP_4)
	v_fmac_f32_e32 v67, v49, v81
	v_dual_fmac_f32 v66, v45, v33 :: v_dual_fmac_f32 v65, 0x80000000, v82
	v_fmac_f32_e32 v68, v46, v33
	s_delay_alu instid0(VALU_DEP_4) | instskip(NEXT) | instid1(VALU_DEP_4)
	v_dual_fmac_f32 v64, 0x80000000, v33 :: v_dual_fmac_f32 v69, 0x80000000, v82
	v_dual_fmac_f32 v67, 0x80000000, v82 :: v_dual_fmac_f32 v70, v47, v33
	s_wait_loadcnt 0x1
	v_dual_fmac_f32 v62, 0, v34 :: v_dual_fmac_f32 v65, v75, v24
	s_delay_alu instid0(VALU_DEP_3) | instskip(NEXT) | instid1(VALU_DEP_3)
	v_dual_fmac_f32 v66, 0, v34 :: v_dual_fmac_f32 v69, v77, v24
	v_dual_fmac_f32 v68, 0, v34 :: v_dual_fmac_f32 v67, v76, v24
	v_fmac_f32_e32 v64, v39, v34
	s_delay_alu instid0(VALU_DEP_3) | instskip(NEXT) | instid1(VALU_DEP_4)
	v_dual_fmac_f32 v70, 0, v34 :: v_dual_fmac_f32 v69, 0x80000000, v25
	v_dual_fmac_f32 v65, 0x80000000, v25 :: v_dual_fmac_f32 v66, v37, v35
	s_delay_alu instid0(VALU_DEP_4) | instskip(NEXT) | instid1(VALU_DEP_3)
	v_fmac_f32_e32 v68, v38, v35
	v_dual_fmac_f32 v70, v39, v35 :: v_dual_fmac_f32 v67, 0x80000000, v25
	v_fmac_f32_e32 v62, v36, v35
	s_wait_loadcnt 0x0
	v_dual_fmac_f32 v64, 0x80000000, v35 :: v_dual_fmac_f32 v69, v18, v26
	v_fmac_f32_e32 v68, 0, v91
	v_dual_fmac_f32 v70, 0, v91 :: v_dual_fmac_f32 v65, v16, v26
	v_fmac_f32_e32 v66, 0, v91
	s_delay_alu instid0(VALU_DEP_4) | instskip(SKIP_2) | instid1(VALU_DEP_3)
	v_dual_fmac_f32 v64, v31, v91 :: v_dual_fmac_f32 v67, v17, v26
	v_fmac_f32_e32 v62, 0, v91
	v_dual_fmac_f32 v68, v30, v92 :: v_dual_fmac_f32 v69, 0x80000000, v27
	v_dual_fmac_f32 v66, v29, v92 :: v_dual_fmac_f32 v67, 0x80000000, v27
	s_delay_alu instid0(VALU_DEP_3) | instskip(SKIP_2) | instid1(VALU_DEP_4)
	v_dual_fmac_f32 v62, v28, v92 :: v_dual_fmac_f32 v65, 0x80000000, v27
	v_fmac_f32_e32 v64, 0x80000000, v92
	v_fmac_f32_e32 v70, v31, v92
	v_fmac_f32_e32 v66, 0, v93
	s_delay_alu instid0(VALU_DEP_4)
	v_fmac_f32_e32 v62, 0, v93
	v_fmac_f32_e32 v68, 0, v93
	;; [unrolled: 1-line block ×49, first 2 shown]
	s_wait_alu 0xfffe
	s_and_not1_b32 exec_lo, exec_lo, s6
	s_cbranch_execnz .LBB120_31
; %bb.32:
	s_or_b32 exec_lo, exec_lo, s6
.LBB120_33:
	s_wait_alu 0xfffe
	s_or_b32 exec_lo, exec_lo, s2
.LBB120_34:
	s_wait_alu 0xfffe
	s_or_b32 exec_lo, exec_lo, s3
.LBB120_35:
	v_mbcnt_lo_u32_b32 v0, -1, 0
	s_delay_alu instid0(VALU_DEP_1) | instskip(NEXT) | instid1(VALU_DEP_1)
	v_xor_b32_e32 v1, 2, v0
	v_cmp_gt_i32_e32 vcc_lo, 32, v1
	s_wait_alu 0xfffd
	v_cndmask_b32_e32 v1, v0, v1, vcc_lo
	s_delay_alu instid0(VALU_DEP_1)
	v_lshlrev_b32_e32 v1, 2, v1
	ds_bpermute_b32 v2, v1, v65
	ds_bpermute_b32 v3, v1, v62
	;; [unrolled: 1-line block ×8, first 2 shown]
	v_xor_b32_e32 v1, 1, v0
	s_delay_alu instid0(VALU_DEP_1)
	v_cmp_gt_i32_e32 vcc_lo, 32, v1
	s_wait_alu 0xfffd
	v_cndmask_b32_e32 v0, v0, v1, vcc_lo
	v_cmp_eq_u32_e32 vcc_lo, 3, v61
	s_wait_dscnt 0x6
	v_add_f32_e32 v1, v62, v3
	s_delay_alu instid0(VALU_DEP_3)
	v_dual_add_f32 v0, v65, v2 :: v_dual_lshlrev_b32 v15, 2, v0
	s_wait_dscnt 0x4
	v_dual_add_f32 v2, v67, v4 :: v_dual_add_f32 v3, v66, v5
	s_wait_dscnt 0x2
	v_dual_add_f32 v4, v69, v6 :: v_dual_add_f32 v5, v68, v7
	s_wait_dscnt 0x0
	v_dual_add_f32 v6, v64, v8 :: v_dual_add_f32 v7, v70, v9
	ds_bpermute_b32 v8, v15, v0
	ds_bpermute_b32 v9, v15, v1
	;; [unrolled: 1-line block ×8, first 2 shown]
	s_and_b32 exec_lo, exec_lo, vcc_lo
	s_cbranch_execz .LBB120_8
; %bb.36:
	s_load_b64 s[2:3], s[0:1], 0x50
	s_wait_dscnt 0x7
	v_add_f32_e32 v8, v0, v8
	s_wait_dscnt 0x4
	v_dual_add_f32 v0, v1, v9 :: v_dual_add_f32 v1, v3, v11
	s_wait_dscnt 0x2
	v_dual_add_f32 v9, v2, v10 :: v_dual_add_f32 v2, v5, v13
	;; [unrolled: 2-line block ×3, first 2 shown]
	v_add_f32_e32 v11, v6, v14
	v_mul_f32_e64 v4, v0, -v55
	v_mul_f32_e32 v5, v54, v0
	v_mul_f32_e64 v6, v1, -v55
	v_mul_f32_e32 v7, v54, v1
	;; [unrolled: 2-line block ×4, first 2 shown]
	v_cmp_eq_f32_e32 vcc_lo, 0, v52
	v_cmp_eq_f32_e64 s0, 0, v53
	v_fmac_f32_e32 v4, v54, v8
	v_dual_fmac_f32 v5, v55, v8 :: v_dual_fmac_f32 v6, v54, v9
	v_dual_fmac_f32 v7, v55, v9 :: v_dual_lshlrev_b32 v8, 2, v56
	v_dual_fmac_f32 v0, v54, v10 :: v_dual_fmac_f32 v3, v55, v11
	v_dual_fmac_f32 v1, v55, v10 :: v_dual_fmac_f32 v2, v54, v11
	s_and_b32 s0, vcc_lo, s0
	s_wait_alu 0xfffe
	s_and_saveexec_b32 s1, s0
	s_wait_alu 0xfffe
	s_xor_b32 s0, exec_lo, s1
	s_cbranch_execz .LBB120_38
; %bb.37:
	v_ashrrev_i32_e32 v9, 31, v8
                                        ; implicit-def: $vgpr52_vgpr53
	s_delay_alu instid0(VALU_DEP_1) | instskip(SKIP_1) | instid1(VALU_DEP_1)
	v_lshlrev_b64_e32 v[8:9], 3, v[8:9]
	s_wait_kmcnt 0x0
	v_add_co_u32 v8, vcc_lo, s2, v8
	s_wait_alu 0xfffd
	s_delay_alu instid0(VALU_DEP_2)
	v_add_co_ci_u32_e64 v9, null, s3, v9, vcc_lo
	s_clause 0x1
	global_store_b128 v[8:9], v[4:7], off
	global_store_b128 v[8:9], v[0:3], off offset:16
                                        ; implicit-def: $vgpr4
                                        ; implicit-def: $vgpr8
                                        ; implicit-def: $vgpr0
.LBB120_38:
	s_wait_alu 0xfffe
	s_and_not1_saveexec_b32 s0, s0
	s_cbranch_execz .LBB120_8
; %bb.39:
	v_ashrrev_i32_e32 v9, 31, v8
	s_delay_alu instid0(VALU_DEP_1) | instskip(SKIP_1) | instid1(VALU_DEP_1)
	v_lshlrev_b64_e32 v[8:9], 3, v[8:9]
	s_wait_kmcnt 0x0
	v_add_co_u32 v16, vcc_lo, s2, v8
	s_wait_alu 0xfffd
	s_delay_alu instid0(VALU_DEP_2)
	v_add_co_ci_u32_e64 v17, null, s3, v9, vcc_lo
	s_clause 0x1
	global_load_b128 v[8:11], v[16:17], off
	global_load_b128 v[12:15], v[16:17], off offset:16
	s_wait_loadcnt 0x1
	v_dual_fmac_f32 v4, v52, v8 :: v_dual_fmac_f32 v7, v53, v10
	v_dual_fmac_f32 v5, v53, v8 :: v_dual_fmac_f32 v6, v52, v10
	s_wait_loadcnt 0x0
	v_dual_fmac_f32 v0, v52, v12 :: v_dual_fmac_f32 v3, v53, v14
	v_dual_fmac_f32 v1, v53, v12 :: v_dual_fmac_f32 v2, v52, v14
	v_fma_f32 v4, -v53, v9, v4
	v_fmac_f32_e32 v5, v52, v9
	v_fma_f32 v6, -v53, v11, v6
	v_fmac_f32_e32 v7, v52, v11
	;; [unrolled: 2-line block ×4, first 2 shown]
	s_clause 0x1
	global_store_b128 v[16:17], v[4:7], off
	global_store_b128 v[16:17], v[0:3], off offset:16
	s_nop 0
	s_sendmsg sendmsg(MSG_DEALLOC_VGPRS)
	s_endpgm
	.section	.rodata,"a",@progbits
	.p2align	6, 0x0
	.amdhsa_kernel _ZN9rocsparseL18bsrxmvn_4x4_kernelILj128ELj4E21rocsparse_complex_numIfEiifS2_S2_EEvT3_20rocsparse_direction_NS_24const_host_device_scalarIT1_EES3_PKS3_PKT2_SC_S9_PKT4_PKT5_S7_PT6_21rocsparse_index_base_b
		.amdhsa_group_segment_fixed_size 0
		.amdhsa_private_segment_fixed_size 0
		.amdhsa_kernarg_size 96
		.amdhsa_user_sgpr_count 2
		.amdhsa_user_sgpr_dispatch_ptr 0
		.amdhsa_user_sgpr_queue_ptr 0
		.amdhsa_user_sgpr_kernarg_segment_ptr 1
		.amdhsa_user_sgpr_dispatch_id 0
		.amdhsa_user_sgpr_private_segment_size 0
		.amdhsa_wavefront_size32 1
		.amdhsa_uses_dynamic_stack 0
		.amdhsa_enable_private_segment 0
		.amdhsa_system_sgpr_workgroup_id_x 1
		.amdhsa_system_sgpr_workgroup_id_y 0
		.amdhsa_system_sgpr_workgroup_id_z 0
		.amdhsa_system_sgpr_workgroup_info 0
		.amdhsa_system_vgpr_workitem_id 0
		.amdhsa_next_free_vgpr 105
		.amdhsa_next_free_sgpr 14
		.amdhsa_reserve_vcc 1
		.amdhsa_float_round_mode_32 0
		.amdhsa_float_round_mode_16_64 0
		.amdhsa_float_denorm_mode_32 3
		.amdhsa_float_denorm_mode_16_64 3
		.amdhsa_fp16_overflow 0
		.amdhsa_workgroup_processor_mode 1
		.amdhsa_memory_ordered 1
		.amdhsa_forward_progress 1
		.amdhsa_inst_pref_size 57
		.amdhsa_round_robin_scheduling 0
		.amdhsa_exception_fp_ieee_invalid_op 0
		.amdhsa_exception_fp_denorm_src 0
		.amdhsa_exception_fp_ieee_div_zero 0
		.amdhsa_exception_fp_ieee_overflow 0
		.amdhsa_exception_fp_ieee_underflow 0
		.amdhsa_exception_fp_ieee_inexact 0
		.amdhsa_exception_int_div_zero 0
	.end_amdhsa_kernel
	.section	.text._ZN9rocsparseL18bsrxmvn_4x4_kernelILj128ELj4E21rocsparse_complex_numIfEiifS2_S2_EEvT3_20rocsparse_direction_NS_24const_host_device_scalarIT1_EES3_PKS3_PKT2_SC_S9_PKT4_PKT5_S7_PT6_21rocsparse_index_base_b,"axG",@progbits,_ZN9rocsparseL18bsrxmvn_4x4_kernelILj128ELj4E21rocsparse_complex_numIfEiifS2_S2_EEvT3_20rocsparse_direction_NS_24const_host_device_scalarIT1_EES3_PKS3_PKT2_SC_S9_PKT4_PKT5_S7_PT6_21rocsparse_index_base_b,comdat
.Lfunc_end120:
	.size	_ZN9rocsparseL18bsrxmvn_4x4_kernelILj128ELj4E21rocsparse_complex_numIfEiifS2_S2_EEvT3_20rocsparse_direction_NS_24const_host_device_scalarIT1_EES3_PKS3_PKT2_SC_S9_PKT4_PKT5_S7_PT6_21rocsparse_index_base_b, .Lfunc_end120-_ZN9rocsparseL18bsrxmvn_4x4_kernelILj128ELj4E21rocsparse_complex_numIfEiifS2_S2_EEvT3_20rocsparse_direction_NS_24const_host_device_scalarIT1_EES3_PKS3_PKT2_SC_S9_PKT4_PKT5_S7_PT6_21rocsparse_index_base_b
                                        ; -- End function
	.set _ZN9rocsparseL18bsrxmvn_4x4_kernelILj128ELj4E21rocsparse_complex_numIfEiifS2_S2_EEvT3_20rocsparse_direction_NS_24const_host_device_scalarIT1_EES3_PKS3_PKT2_SC_S9_PKT4_PKT5_S7_PT6_21rocsparse_index_base_b.num_vgpr, 105
	.set _ZN9rocsparseL18bsrxmvn_4x4_kernelILj128ELj4E21rocsparse_complex_numIfEiifS2_S2_EEvT3_20rocsparse_direction_NS_24const_host_device_scalarIT1_EES3_PKS3_PKT2_SC_S9_PKT4_PKT5_S7_PT6_21rocsparse_index_base_b.num_agpr, 0
	.set _ZN9rocsparseL18bsrxmvn_4x4_kernelILj128ELj4E21rocsparse_complex_numIfEiifS2_S2_EEvT3_20rocsparse_direction_NS_24const_host_device_scalarIT1_EES3_PKS3_PKT2_SC_S9_PKT4_PKT5_S7_PT6_21rocsparse_index_base_b.numbered_sgpr, 14
	.set _ZN9rocsparseL18bsrxmvn_4x4_kernelILj128ELj4E21rocsparse_complex_numIfEiifS2_S2_EEvT3_20rocsparse_direction_NS_24const_host_device_scalarIT1_EES3_PKS3_PKT2_SC_S9_PKT4_PKT5_S7_PT6_21rocsparse_index_base_b.num_named_barrier, 0
	.set _ZN9rocsparseL18bsrxmvn_4x4_kernelILj128ELj4E21rocsparse_complex_numIfEiifS2_S2_EEvT3_20rocsparse_direction_NS_24const_host_device_scalarIT1_EES3_PKS3_PKT2_SC_S9_PKT4_PKT5_S7_PT6_21rocsparse_index_base_b.private_seg_size, 0
	.set _ZN9rocsparseL18bsrxmvn_4x4_kernelILj128ELj4E21rocsparse_complex_numIfEiifS2_S2_EEvT3_20rocsparse_direction_NS_24const_host_device_scalarIT1_EES3_PKS3_PKT2_SC_S9_PKT4_PKT5_S7_PT6_21rocsparse_index_base_b.uses_vcc, 1
	.set _ZN9rocsparseL18bsrxmvn_4x4_kernelILj128ELj4E21rocsparse_complex_numIfEiifS2_S2_EEvT3_20rocsparse_direction_NS_24const_host_device_scalarIT1_EES3_PKS3_PKT2_SC_S9_PKT4_PKT5_S7_PT6_21rocsparse_index_base_b.uses_flat_scratch, 0
	.set _ZN9rocsparseL18bsrxmvn_4x4_kernelILj128ELj4E21rocsparse_complex_numIfEiifS2_S2_EEvT3_20rocsparse_direction_NS_24const_host_device_scalarIT1_EES3_PKS3_PKT2_SC_S9_PKT4_PKT5_S7_PT6_21rocsparse_index_base_b.has_dyn_sized_stack, 0
	.set _ZN9rocsparseL18bsrxmvn_4x4_kernelILj128ELj4E21rocsparse_complex_numIfEiifS2_S2_EEvT3_20rocsparse_direction_NS_24const_host_device_scalarIT1_EES3_PKS3_PKT2_SC_S9_PKT4_PKT5_S7_PT6_21rocsparse_index_base_b.has_recursion, 0
	.set _ZN9rocsparseL18bsrxmvn_4x4_kernelILj128ELj4E21rocsparse_complex_numIfEiifS2_S2_EEvT3_20rocsparse_direction_NS_24const_host_device_scalarIT1_EES3_PKS3_PKT2_SC_S9_PKT4_PKT5_S7_PT6_21rocsparse_index_base_b.has_indirect_call, 0
	.section	.AMDGPU.csdata,"",@progbits
; Kernel info:
; codeLenInByte = 7232
; TotalNumSgprs: 16
; NumVgprs: 105
; ScratchSize: 0
; MemoryBound: 0
; FloatMode: 240
; IeeeMode: 1
; LDSByteSize: 0 bytes/workgroup (compile time only)
; SGPRBlocks: 0
; VGPRBlocks: 13
; NumSGPRsForWavesPerEU: 16
; NumVGPRsForWavesPerEU: 105
; Occupancy: 12
; WaveLimiterHint : 1
; COMPUTE_PGM_RSRC2:SCRATCH_EN: 0
; COMPUTE_PGM_RSRC2:USER_SGPR: 2
; COMPUTE_PGM_RSRC2:TRAP_HANDLER: 0
; COMPUTE_PGM_RSRC2:TGID_X_EN: 1
; COMPUTE_PGM_RSRC2:TGID_Y_EN: 0
; COMPUTE_PGM_RSRC2:TGID_Z_EN: 0
; COMPUTE_PGM_RSRC2:TIDIG_COMP_CNT: 0
	.section	.text._ZN9rocsparseL18bsrxmvn_4x4_kernelILj128ELj8E21rocsparse_complex_numIfEiifS2_S2_EEvT3_20rocsparse_direction_NS_24const_host_device_scalarIT1_EES3_PKS3_PKT2_SC_S9_PKT4_PKT5_S7_PT6_21rocsparse_index_base_b,"axG",@progbits,_ZN9rocsparseL18bsrxmvn_4x4_kernelILj128ELj8E21rocsparse_complex_numIfEiifS2_S2_EEvT3_20rocsparse_direction_NS_24const_host_device_scalarIT1_EES3_PKS3_PKT2_SC_S9_PKT4_PKT5_S7_PT6_21rocsparse_index_base_b,comdat
	.globl	_ZN9rocsparseL18bsrxmvn_4x4_kernelILj128ELj8E21rocsparse_complex_numIfEiifS2_S2_EEvT3_20rocsparse_direction_NS_24const_host_device_scalarIT1_EES3_PKS3_PKT2_SC_S9_PKT4_PKT5_S7_PT6_21rocsparse_index_base_b ; -- Begin function _ZN9rocsparseL18bsrxmvn_4x4_kernelILj128ELj8E21rocsparse_complex_numIfEiifS2_S2_EEvT3_20rocsparse_direction_NS_24const_host_device_scalarIT1_EES3_PKS3_PKT2_SC_S9_PKT4_PKT5_S7_PT6_21rocsparse_index_base_b
	.p2align	8
	.type	_ZN9rocsparseL18bsrxmvn_4x4_kernelILj128ELj8E21rocsparse_complex_numIfEiifS2_S2_EEvT3_20rocsparse_direction_NS_24const_host_device_scalarIT1_EES3_PKS3_PKT2_SC_S9_PKT4_PKT5_S7_PT6_21rocsparse_index_base_b,@function
_ZN9rocsparseL18bsrxmvn_4x4_kernelILj128ELj8E21rocsparse_complex_numIfEiifS2_S2_EEvT3_20rocsparse_direction_NS_24const_host_device_scalarIT1_EES3_PKS3_PKT2_SC_S9_PKT4_PKT5_S7_PT6_21rocsparse_index_base_b: ; @_ZN9rocsparseL18bsrxmvn_4x4_kernelILj128ELj8E21rocsparse_complex_numIfEiifS2_S2_EEvT3_20rocsparse_direction_NS_24const_host_device_scalarIT1_EES3_PKS3_PKT2_SC_S9_PKT4_PKT5_S7_PT6_21rocsparse_index_base_b
; %bb.0:
	s_clause 0x2
	s_load_b64 s[12:13], s[0:1], 0x58
	s_load_b64 s[2:3], s[0:1], 0x8
	;; [unrolled: 1-line block ×3, first 2 shown]
	s_add_nc_u64 s[6:7], s[0:1], 8
	s_wait_kmcnt 0x0
	s_bitcmp1_b32 s13, 0
	s_cselect_b32 s2, s6, s2
	s_cselect_b32 s3, s7, s3
	s_delay_alu instid0(SALU_CYCLE_1)
	v_dual_mov_b32 v1, s2 :: v_dual_mov_b32 v2, s3
	s_add_nc_u64 s[2:3], s[0:1], 0x48
	s_wait_alu 0xfffe
	s_cselect_b32 s2, s2, s4
	s_cselect_b32 s3, s3, s5
	flat_load_b64 v[54:55], v[1:2]
	s_wait_alu 0xfffe
	v_dual_mov_b32 v1, s2 :: v_dual_mov_b32 v2, s3
	flat_load_b64 v[52:53], v[1:2]
	s_wait_loadcnt_dscnt 0x101
	v_cmp_eq_f32_e32 vcc_lo, 0, v54
	v_cmp_eq_f32_e64 s2, 0, v55
	s_and_b32 s4, vcc_lo, s2
	s_mov_b32 s2, -1
	s_and_saveexec_b32 s3, s4
	s_cbranch_execz .LBB121_2
; %bb.1:
	s_wait_loadcnt_dscnt 0x0
	v_cmp_neq_f32_e32 vcc_lo, 1.0, v52
	v_cmp_neq_f32_e64 s2, 0, v53
	s_wait_alu 0xfffe
	s_or_b32 s2, vcc_lo, s2
	s_wait_alu 0xfffe
	s_or_not1_b32 s2, s2, exec_lo
.LBB121_2:
	s_wait_alu 0xfffe
	s_or_b32 exec_lo, exec_lo, s3
	s_and_saveexec_b32 s3, s2
	s_cbranch_execz .LBB121_8
; %bb.3:
	s_clause 0x1
	s_load_b64 s[4:5], s[0:1], 0x18
	s_load_b64 s[2:3], s[0:1], 0x0
	v_lshrrev_b32_e32 v1, 3, v0
	s_delay_alu instid0(VALU_DEP_1)
	v_lshl_or_b32 v56, ttmp9, 4, v1
	s_wait_kmcnt 0x0
	s_cmp_lg_u64 s[4:5], 0
	s_cbranch_scc0 .LBB121_9
; %bb.4:
	s_load_b32 s6, s[0:1], 0x10
	s_mov_b32 s7, 0
                                        ; implicit-def: $vgpr1
	s_wait_kmcnt 0x0
	v_cmp_gt_i32_e32 vcc_lo, s6, v56
	s_mov_b32 s6, 0
	s_and_saveexec_b32 s8, vcc_lo
	s_delay_alu instid0(SALU_CYCLE_1)
	s_xor_b32 s8, exec_lo, s8
	s_cbranch_execz .LBB121_6
; %bb.5:
	v_ashrrev_i32_e32 v57, 31, v56
	s_mov_b32 s6, exec_lo
	s_delay_alu instid0(VALU_DEP_1) | instskip(NEXT) | instid1(VALU_DEP_1)
	v_lshlrev_b64_e32 v[1:2], 2, v[56:57]
	v_add_co_u32 v1, vcc_lo, s4, v1
	s_delay_alu instid0(VALU_DEP_1)
	v_add_co_ci_u32_e64 v2, null, s5, v2, vcc_lo
	global_load_b32 v1, v[1:2], off
	s_wait_loadcnt 0x0
	v_subrev_nc_u32_e32 v1, s12, v1
.LBB121_6:
	s_or_b32 exec_lo, exec_lo, s8
	s_delay_alu instid0(SALU_CYCLE_1)
	s_and_b32 vcc_lo, exec_lo, s7
	s_wait_alu 0xfffe
	s_cbranch_vccz .LBB121_10
.LBB121_7:
	v_cmp_gt_i32_e32 vcc_lo, s2, v56
	s_and_not1_b32 s2, s6, exec_lo
	s_and_b32 s4, vcc_lo, exec_lo
	s_wait_alu 0xfffe
	s_or_b32 s6, s2, s4
	s_wait_alu 0xfffe
	s_and_b32 exec_lo, exec_lo, s6
	s_cbranch_execnz .LBB121_11
.LBB121_8:
	s_nop 0
	s_sendmsg sendmsg(MSG_DEALLOC_VGPRS)
	s_endpgm
.LBB121_9:
	s_mov_b32 s6, 0
                                        ; implicit-def: $vgpr1
	s_cbranch_execnz .LBB121_7
.LBB121_10:
	v_mov_b32_e32 v56, v1
	s_and_b32 exec_lo, exec_lo, s6
	s_cbranch_execz .LBB121_8
.LBB121_11:
	s_load_b256 s[4:11], s[0:1], 0x20
	s_delay_alu instid0(VALU_DEP_1) | instskip(SKIP_1) | instid1(VALU_DEP_2)
	v_ashrrev_i32_e32 v57, 31, v56
	v_and_b32_e32 v61, 7, v0
	v_lshlrev_b64_e32 v[1:2], 2, v[56:57]
	s_wait_kmcnt 0x0
	s_delay_alu instid0(VALU_DEP_1) | instskip(SKIP_1) | instid1(VALU_DEP_2)
	v_add_co_u32 v3, vcc_lo, s4, v1
	s_wait_alu 0xfffd
	v_add_co_ci_u32_e64 v4, null, s5, v2, vcc_lo
	v_add_co_u32 v1, vcc_lo, s6, v1
	s_wait_alu 0xfffd
	v_add_co_ci_u32_e64 v2, null, s7, v2, vcc_lo
	global_load_b32 v36, v[3:4], off
	v_add_co_u32 v3, vcc_lo, v3, 4
	s_wait_alu 0xfffd
	v_add_co_ci_u32_e64 v4, null, 0, v4, vcc_lo
	s_cmp_eq_u64 s[6:7], 0
	s_load_b64 s[4:5], s[0:1], 0x40
	s_cselect_b32 vcc_lo, -1, 0
	s_cmp_eq_u32 s3, 1
	s_wait_alu 0xfffe
	v_dual_cndmask_b32 v2, v2, v4 :: v_dual_cndmask_b32 v1, v1, v3
	global_load_b32 v2, v[1:2], off
	s_wait_loadcnt 0x1
	v_subrev_nc_u32_e32 v0, s12, v36
	s_delay_alu instid0(VALU_DEP_1) | instskip(NEXT) | instid1(VALU_DEP_1)
	v_add_nc_u32_e32 v57, v0, v61
	v_ashrrev_i32_e32 v58, 31, v57
	s_wait_loadcnt 0x0
	v_subrev_nc_u32_e32 v70, s12, v2
	s_delay_alu instid0(VALU_DEP_2) | instskip(NEXT) | instid1(VALU_DEP_2)
	v_lshlrev_b64_e32 v[0:1], 6, v[57:58]
	v_cmp_lt_i32_e64 s2, v57, v70
	s_delay_alu instid0(VALU_DEP_2) | instskip(SKIP_1) | instid1(VALU_DEP_3)
	v_add_co_u32 v59, vcc_lo, s10, v0
	s_wait_alu 0xfffd
	v_add_co_ci_u32_e64 v60, null, s11, v1, vcc_lo
	s_cbranch_scc1 .LBB121_23
; %bb.12:
	v_dual_mov_b32 v62, 0 :: v_dual_mov_b32 v65, 0
	v_dual_mov_b32 v64, 0 :: v_dual_mov_b32 v67, 0
	;; [unrolled: 1-line block ×4, first 2 shown]
	s_and_saveexec_b32 s3, s2
	s_cbranch_execz .LBB121_22
; %bb.13:
	v_dual_mov_b32 v63, 0 :: v_dual_add_nc_u32 v0, v36, v61
	v_not_b32_e32 v1, v36
	v_mov_b32_e32 v32, v59
	v_dual_mov_b32 v68, 0 :: v_dual_mov_b32 v67, 0
	s_delay_alu instid0(VALU_DEP_4) | instskip(SKIP_2) | instid1(VALU_DEP_3)
	v_subrev_nc_u32_e32 v0, s12, v0
	v_dual_mov_b32 v65, 0 :: v_dual_mov_b32 v64, 0
	v_dual_mov_b32 v62, 0 :: v_dual_mov_b32 v33, v60
	v_dual_mov_b32 v69, 0 :: v_dual_add_nc_u32 v0, 8, v0
	v_mov_b32_e32 v34, v57
	s_mov_b32 s6, exec_lo
	s_delay_alu instid0(VALU_DEP_2) | instskip(NEXT) | instid1(VALU_DEP_1)
	v_max_i32_e32 v0, v0, v70
	v_add3_u32 v0, s12, v0, v1
	s_delay_alu instid0(VALU_DEP_1) | instskip(NEXT) | instid1(VALU_DEP_1)
	v_sub_nc_u32_e32 v0, v0, v61
	v_dual_mov_b32 v66, 0 :: v_dual_and_b32 v1, 24, v0
	s_delay_alu instid0(VALU_DEP_1)
	v_cmpx_ne_u32_e32 24, v1
	s_cbranch_execz .LBB121_17
; %bb.14:
	v_lshrrev_b32_e32 v1, 3, v0
	v_mov_b32_e32 v62, 0
	v_dual_mov_b32 v32, v59 :: v_dual_mov_b32 v65, 0
	v_dual_mov_b32 v34, v57 :: v_dual_mov_b32 v33, v60
	s_delay_alu instid0(VALU_DEP_4) | instskip(SKIP_2) | instid1(VALU_DEP_3)
	v_dual_mov_b32 v64, 0 :: v_dual_add_nc_u32 v1, 1, v1
	v_dual_mov_b32 v66, 0 :: v_dual_mov_b32 v67, 0
	v_dual_mov_b32 v68, 0 :: v_dual_mov_b32 v69, 0
	v_and_b32_e32 v1, 3, v1
	v_mov_b32_e32 v63, 0
	s_mov_b32 s7, 0
	s_delay_alu instid0(VALU_DEP_2)
	v_sub_nc_u32_e32 v1, 0, v1
.LBB121_15:                             ; =>This Inner Loop Header: Depth=1
	v_ashrrev_i32_e32 v35, 31, v34
	s_delay_alu instid0(VALU_DEP_2) | instskip(SKIP_2) | instid1(VALU_DEP_2)
	v_add_co_u32 v1, s10, v1, 1
	s_wait_alu 0xfffe
	s_or_b32 s7, s10, s7
	v_lshlrev_b64_e32 v[2:3], 2, v[34:35]
	s_delay_alu instid0(VALU_DEP_1) | instskip(SKIP_1) | instid1(VALU_DEP_2)
	v_add_co_u32 v2, vcc_lo, s8, v2
	s_wait_alu 0xfffd
	v_add_co_ci_u32_e64 v3, null, s9, v3, vcc_lo
	global_load_b32 v18, v[2:3], off
	s_clause 0x3
	global_load_b128 v[2:5], v[32:33], off offset:48
	global_load_b128 v[6:9], v[32:33], off offset:32
	;; [unrolled: 1-line block ×3, first 2 shown]
	global_load_b128 v[14:17], v[32:33], off
	s_wait_loadcnt 0x4
	v_subrev_nc_u32_e32 v18, s12, v18
	s_delay_alu instid0(VALU_DEP_1) | instskip(NEXT) | instid1(VALU_DEP_1)
	v_lshlrev_b32_e32 v18, 2, v18
	v_ashrrev_i32_e32 v19, 31, v18
	s_delay_alu instid0(VALU_DEP_1) | instskip(SKIP_1) | instid1(VALU_DEP_1)
	v_lshlrev_b64_e32 v[18:19], 3, v[18:19]
	s_wait_kmcnt 0x0
	v_add_co_u32 v22, vcc_lo, s4, v18
	s_wait_alu 0xfffd
	s_delay_alu instid0(VALU_DEP_2)
	v_add_co_ci_u32_e64 v23, null, s5, v19, vcc_lo
	v_add_co_u32 v32, vcc_lo, 0x200, v32
	s_wait_alu 0xfffd
	v_add_co_ci_u32_e64 v33, null, 0, v33, vcc_lo
	s_clause 0x1
	global_load_b128 v[18:21], v[22:23], off
	global_load_b128 v[22:25], v[22:23], off offset:16
	s_wait_loadcnt 0x1
	v_fmac_f32_e32 v63, v2, v18
	v_fmac_f32_e32 v64, v14, v18
	;; [unrolled: 1-line block ×3, first 2 shown]
	s_delay_alu instid0(VALU_DEP_3) | instskip(NEXT) | instid1(VALU_DEP_3)
	v_dual_fmac_f32 v62, 0, v18 :: v_dual_fmac_f32 v63, 0x80000000, v19
	v_dual_fmac_f32 v65, 0, v18 :: v_dual_fmac_f32 v64, 0x80000000, v19
	s_delay_alu instid0(VALU_DEP_3) | instskip(NEXT) | instid1(VALU_DEP_3)
	v_fmac_f32_e32 v69, v2, v19
	v_dual_fmac_f32 v67, 0, v18 :: v_dual_fmac_f32 v62, v14, v19
	s_delay_alu instid0(VALU_DEP_3) | instskip(SKIP_1) | instid1(VALU_DEP_3)
	v_fmac_f32_e32 v65, v10, v19
	v_fmac_f32_e32 v66, v10, v18
	v_dual_fmac_f32 v67, v6, v19 :: v_dual_add_nc_u32 v34, 8, v34
	v_fmac_f32_e32 v63, v3, v20
	s_delay_alu instid0(VALU_DEP_3) | instskip(SKIP_1) | instid1(VALU_DEP_4)
	v_dual_fmac_f32 v65, 0, v20 :: v_dual_fmac_f32 v66, 0x80000000, v19
	v_fmac_f32_e32 v62, 0, v20
	v_dual_fmac_f32 v68, v6, v18 :: v_dual_fmac_f32 v67, 0, v20
	s_delay_alu instid0(VALU_DEP_4) | instskip(NEXT) | instid1(VALU_DEP_4)
	v_dual_fmac_f32 v64, v15, v20 :: v_dual_fmac_f32 v63, 0x80000000, v21
	v_fmac_f32_e32 v65, v11, v21
	v_fmac_f32_e32 v66, v11, v20
	v_dual_fmac_f32 v69, 0, v20 :: v_dual_fmac_f32 v62, v15, v21
	v_fmac_f32_e32 v68, 0x80000000, v19
	v_fmac_f32_e32 v64, 0x80000000, v21
	;; [unrolled: 1-line block ×3, first 2 shown]
	s_wait_loadcnt 0x0
	v_dual_fmac_f32 v69, v3, v21 :: v_dual_fmac_f32 v62, 0, v22
	v_dual_fmac_f32 v65, 0, v22 :: v_dual_fmac_f32 v66, 0x80000000, v21
	v_fmac_f32_e32 v63, v4, v22
	v_fmac_f32_e32 v64, v16, v22
	v_dual_fmac_f32 v68, v7, v20 :: v_dual_fmac_f32 v67, 0, v22
	s_delay_alu instid0(VALU_DEP_3) | instskip(SKIP_1) | instid1(VALU_DEP_3)
	v_dual_fmac_f32 v66, v12, v22 :: v_dual_fmac_f32 v63, 0x80000000, v23
	v_fmac_f32_e32 v62, v16, v23
	v_dual_fmac_f32 v68, 0x80000000, v21 :: v_dual_fmac_f32 v69, 0, v22
	s_delay_alu instid0(VALU_DEP_3) | instskip(NEXT) | instid1(VALU_DEP_3)
	v_fmac_f32_e32 v63, v5, v24
	v_dual_fmac_f32 v67, v8, v23 :: v_dual_fmac_f32 v62, 0, v24
	v_fmac_f32_e32 v64, 0x80000000, v23
	s_delay_alu instid0(VALU_DEP_4) | instskip(NEXT) | instid1(VALU_DEP_3)
	v_fmac_f32_e32 v69, v4, v23
	v_dual_fmac_f32 v66, 0x80000000, v23 :: v_dual_fmac_f32 v67, 0, v24
	s_delay_alu instid0(VALU_DEP_3) | instskip(NEXT) | instid1(VALU_DEP_3)
	v_dual_fmac_f32 v65, v12, v23 :: v_dual_fmac_f32 v64, v17, v24
	v_dual_fmac_f32 v68, v8, v22 :: v_dual_fmac_f32 v69, 0, v24
	s_delay_alu instid0(VALU_DEP_3) | instskip(NEXT) | instid1(VALU_DEP_3)
	v_fmac_f32_e32 v66, v13, v24
	v_dual_fmac_f32 v65, 0, v24 :: v_dual_fmac_f32 v64, 0x80000000, v25
	s_delay_alu instid0(VALU_DEP_3) | instskip(SKIP_1) | instid1(VALU_DEP_4)
	v_fmac_f32_e32 v68, 0x80000000, v23
	v_fmac_f32_e32 v62, v17, v25
	;; [unrolled: 1-line block ×3, first 2 shown]
	s_delay_alu instid0(VALU_DEP_4) | instskip(SKIP_3) | instid1(VALU_DEP_2)
	v_fmac_f32_e32 v65, v13, v25
	v_fmac_f32_e32 v67, v9, v25
	v_dual_fmac_f32 v68, v9, v24 :: v_dual_fmac_f32 v63, 0x80000000, v25
	v_fmac_f32_e32 v69, v5, v25
	v_fmac_f32_e32 v68, 0x80000000, v25
	s_wait_alu 0xfffe
	s_and_not1_b32 exec_lo, exec_lo, s7
	s_cbranch_execnz .LBB121_15
; %bb.16:
	s_or_b32 exec_lo, exec_lo, s7
.LBB121_17:
	s_wait_alu 0xfffe
	s_or_b32 exec_lo, exec_lo, s6
	s_delay_alu instid0(SALU_CYCLE_1)
	s_mov_b32 s6, exec_lo
	v_cmpx_lt_u32_e32 23, v0
	s_cbranch_execz .LBB121_21
; %bb.18:
	s_mov_b32 s7, 0
.LBB121_19:                             ; =>This Inner Loop Header: Depth=1
	v_ashrrev_i32_e32 v35, 31, v34
	s_clause 0xf
	global_load_b128 v[37:40], v[32:33], off offset:48
	global_load_b128 v[41:44], v[32:33], off offset:32
	;; [unrolled: 1-line block ×3, first 2 shown]
	global_load_b128 v[71:74], v[32:33], off
	global_load_b128 v[75:78], v[32:33], off offset:560
	global_load_b128 v[79:82], v[32:33], off offset:544
	;; [unrolled: 1-line block ×12, first 2 shown]
	v_lshlrev_b64_e32 v[49:50], 2, v[34:35]
	v_add_nc_u32_e32 v34, 32, v34
	s_delay_alu instid0(VALU_DEP_2) | instskip(SKIP_1) | instid1(VALU_DEP_3)
	v_add_co_u32 v49, vcc_lo, s8, v49
	s_wait_alu 0xfffd
	v_add_co_ci_u32_e64 v50, null, s9, v50, vcc_lo
	s_clause 0x3
	global_load_b32 v35, v[49:50], off
	global_load_b32 v51, v[49:50], off offset:32
	global_load_b32 v58, v[49:50], off offset:64
	global_load_b32 v49, v[49:50], off offset:96
	s_wait_loadcnt 0x3
	v_subrev_nc_u32_e32 v35, s12, v35
	s_wait_loadcnt 0x2
	v_subrev_nc_u32_e32 v50, s12, v51
	;; [unrolled: 2-line block ×4, first 2 shown]
	v_lshlrev_b32_e32 v49, 2, v35
	v_lshlrev_b32_e32 v91, 2, v50
	;; [unrolled: 1-line block ×3, first 2 shown]
	s_delay_alu instid0(VALU_DEP_4) | instskip(NEXT) | instid1(VALU_DEP_4)
	v_lshlrev_b32_e32 v95, 2, v58
	v_ashrrev_i32_e32 v50, 31, v49
	s_delay_alu instid0(VALU_DEP_4) | instskip(NEXT) | instid1(VALU_DEP_4)
	v_ashrrev_i32_e32 v92, 31, v91
	v_ashrrev_i32_e32 v94, 31, v93
	s_delay_alu instid0(VALU_DEP_4) | instskip(NEXT) | instid1(VALU_DEP_4)
	v_ashrrev_i32_e32 v96, 31, v95
	v_lshlrev_b64_e32 v[49:50], 3, v[49:50]
	s_delay_alu instid0(VALU_DEP_4) | instskip(NEXT) | instid1(VALU_DEP_4)
	v_lshlrev_b64_e32 v[91:92], 3, v[91:92]
	v_lshlrev_b64_e32 v[93:94], 3, v[93:94]
	s_delay_alu instid0(VALU_DEP_4) | instskip(SKIP_1) | instid1(VALU_DEP_4)
	v_lshlrev_b64_e32 v[95:96], 3, v[95:96]
	s_wait_kmcnt 0x0
	v_add_co_u32 v49, vcc_lo, s4, v49
	s_wait_alu 0xfffd
	v_add_co_ci_u32_e64 v50, null, s5, v50, vcc_lo
	v_add_co_u32 v99, vcc_lo, s4, v91
	s_wait_alu 0xfffd
	v_add_co_ci_u32_e64 v100, null, s5, v92, vcc_lo
	;; [unrolled: 3-line block ×4, first 2 shown]
	s_clause 0x1
	global_load_b128 v[91:94], v[49:50], off
	global_load_b128 v[95:98], v[49:50], off offset:16
	v_add_co_u32 v32, vcc_lo, 0x800, v32
	s_wait_alu 0xfffd
	v_add_co_ci_u32_e64 v33, null, 0, v33, vcc_lo
	v_cmp_ge_i32_e32 vcc_lo, v34, v70
	s_wait_alu 0xfffe
	s_or_b32 s7, vcc_lo, s7
	s_wait_loadcnt 0x1
	v_fmac_f32_e32 v68, v41, v91
	v_fmac_f32_e32 v65, 0, v91
	;; [unrolled: 1-line block ×3, first 2 shown]
	s_delay_alu instid0(VALU_DEP_3) | instskip(NEXT) | instid1(VALU_DEP_3)
	v_fmac_f32_e32 v68, 0x80000000, v92
	v_dual_fmac_f32 v62, 0, v91 :: v_dual_fmac_f32 v65, v45, v92
	s_delay_alu instid0(VALU_DEP_3) | instskip(NEXT) | instid1(VALU_DEP_3)
	v_dual_fmac_f32 v64, 0x80000000, v92 :: v_dual_fmac_f32 v67, 0, v91
	v_fmac_f32_e32 v68, v42, v93
	s_delay_alu instid0(VALU_DEP_3) | instskip(NEXT) | instid1(VALU_DEP_3)
	v_dual_fmac_f32 v62, v71, v92 :: v_dual_fmac_f32 v63, v37, v91
	v_dual_fmac_f32 v64, v72, v93 :: v_dual_fmac_f32 v67, v41, v92
	v_fmac_f32_e32 v65, 0, v93
	s_delay_alu instid0(VALU_DEP_3) | instskip(NEXT) | instid1(VALU_DEP_4)
	v_fmac_f32_e32 v62, 0, v93
	v_dual_fmac_f32 v66, v45, v91 :: v_dual_fmac_f32 v63, 0x80000000, v92
	s_delay_alu instid0(VALU_DEP_4) | instskip(NEXT) | instid1(VALU_DEP_3)
	v_dual_fmac_f32 v67, 0, v93 :: v_dual_fmac_f32 v64, 0x80000000, v94
	v_fmac_f32_e32 v62, v72, v94
	s_delay_alu instid0(VALU_DEP_3)
	v_dual_fmac_f32 v66, 0x80000000, v92 :: v_dual_fmac_f32 v69, 0, v91
	v_fmac_f32_e32 v65, v46, v94
	v_fmac_f32_e32 v68, 0x80000000, v94
	s_wait_loadcnt 0x0
	v_dual_fmac_f32 v67, v42, v94 :: v_dual_fmac_f32 v64, v73, v95
	v_dual_fmac_f32 v66, v46, v93 :: v_dual_fmac_f32 v69, v37, v92
	;; [unrolled: 1-line block ×3, first 2 shown]
	s_delay_alu instid0(VALU_DEP_3) | instskip(NEXT) | instid1(VALU_DEP_3)
	v_fmac_f32_e32 v64, 0x80000000, v96
	v_dual_fmac_f32 v66, 0x80000000, v94 :: v_dual_fmac_f32 v69, 0, v93
	s_delay_alu instid0(VALU_DEP_3) | instskip(NEXT) | instid1(VALU_DEP_3)
	v_dual_fmac_f32 v63, 0x80000000, v94 :: v_dual_fmac_f32 v62, v73, v96
	v_dual_fmac_f32 v65, 0, v95 :: v_dual_fmac_f32 v64, v74, v97
	s_delay_alu instid0(VALU_DEP_3) | instskip(SKIP_4) | instid1(VALU_DEP_3)
	v_fmac_f32_e32 v69, v38, v94
	global_load_b128 v[91:94], v[99:100], off
	v_dual_fmac_f32 v62, 0, v97 :: v_dual_fmac_f32 v65, v47, v96
	v_fmac_f32_e32 v67, 0, v95
	v_fmac_f32_e32 v63, v39, v95
	v_dual_fmac_f32 v69, 0, v95 :: v_dual_fmac_f32 v62, v74, v98
	s_delay_alu instid0(VALU_DEP_4)
	v_fmac_f32_e32 v65, 0, v97
	global_load_b128 v[71:74], v[99:100], off offset:16
	v_fmac_f32_e32 v66, v47, v95
	v_fmac_f32_e32 v67, v43, v96
	v_dual_fmac_f32 v68, v43, v95 :: v_dual_fmac_f32 v65, v48, v98
	v_dual_fmac_f32 v69, v39, v96 :: v_dual_fmac_f32 v64, 0x80000000, v98
	s_delay_alu instid0(VALU_DEP_3) | instskip(NEXT) | instid1(VALU_DEP_3)
	v_dual_fmac_f32 v66, 0x80000000, v96 :: v_dual_fmac_f32 v67, 0, v97
	v_fmac_f32_e32 v68, 0x80000000, v96
	s_delay_alu instid0(VALU_DEP_2)
	v_fmac_f32_e32 v66, v48, v97
	s_clause 0x1
	global_load_b128 v[45:48], v[101:102], off
	global_load_b128 v[99:102], v[101:102], off offset:16
	v_fmac_f32_e32 v67, v44, v98
	v_fmac_f32_e32 v68, v44, v97
	global_load_b128 v[41:44], v[103:104], off
	v_dual_fmac_f32 v63, 0x80000000, v96 :: v_dual_fmac_f32 v66, 0x80000000, v98
	v_dual_fmac_f32 v69, 0, v97 :: v_dual_fmac_f32 v68, 0x80000000, v98
	s_delay_alu instid0(VALU_DEP_2) | instskip(NEXT) | instid1(VALU_DEP_2)
	v_fmac_f32_e32 v63, v40, v97
	v_fmac_f32_e32 v69, v40, v98
	global_load_b128 v[37:40], v[103:104], off offset:16
	s_wait_loadcnt 0x5
	v_dual_fmac_f32 v64, v87, v91 :: v_dual_fmac_f32 v63, 0x80000000, v98
	v_fmac_f32_e32 v66, v83, v91
	v_fmac_f32_e32 v62, 0, v91
	s_delay_alu instid0(VALU_DEP_3) | instskip(NEXT) | instid1(VALU_DEP_3)
	v_dual_fmac_f32 v65, 0, v91 :: v_dual_fmac_f32 v64, 0x80000000, v92
	v_dual_fmac_f32 v63, v75, v91 :: v_dual_fmac_f32 v66, 0x80000000, v92
	v_fmac_f32_e32 v68, v79, v91
	s_delay_alu instid0(VALU_DEP_4) | instskip(NEXT) | instid1(VALU_DEP_3)
	v_dual_fmac_f32 v67, 0, v91 :: v_dual_fmac_f32 v62, v87, v92
	v_fmac_f32_e32 v63, 0x80000000, v92
	s_delay_alu instid0(VALU_DEP_3) | instskip(SKIP_1) | instid1(VALU_DEP_4)
	v_dual_fmac_f32 v69, 0, v91 :: v_dual_fmac_f32 v68, 0x80000000, v92
	v_dual_fmac_f32 v65, v83, v92 :: v_dual_fmac_f32 v64, v88, v93
	;; [unrolled: 1-line block ×3, first 2 shown]
	s_delay_alu instid0(VALU_DEP_3) | instskip(SKIP_1) | instid1(VALU_DEP_4)
	v_dual_fmac_f32 v69, v75, v92 :: v_dual_fmac_f32 v66, v84, v93
	v_fmac_f32_e32 v63, v76, v93
	v_dual_fmac_f32 v65, 0, v93 :: v_dual_fmac_f32 v64, 0x80000000, v94
	s_delay_alu instid0(VALU_DEP_4) | instskip(NEXT) | instid1(VALU_DEP_4)
	v_dual_fmac_f32 v67, 0, v93 :: v_dual_fmac_f32 v62, v88, v94
	v_fmac_f32_e32 v66, 0x80000000, v94
	s_delay_alu instid0(VALU_DEP_4) | instskip(SKIP_3) | instid1(VALU_DEP_3)
	v_dual_fmac_f32 v68, v80, v93 :: v_dual_fmac_f32 v63, 0x80000000, v94
	v_fmac_f32_e32 v69, 0, v93
	s_wait_loadcnt 0x4
	v_dual_fmac_f32 v65, v84, v94 :: v_dual_fmac_f32 v64, v89, v71
	v_fmac_f32_e32 v68, 0x80000000, v94
	v_dual_fmac_f32 v67, v80, v94 :: v_dual_fmac_f32 v62, 0, v71
	v_dual_fmac_f32 v69, v76, v94 :: v_dual_fmac_f32 v66, v85, v71
	v_fmac_f32_e32 v63, v77, v71
	v_dual_fmac_f32 v65, 0, v71 :: v_dual_fmac_f32 v64, 0x80000000, v72
	s_delay_alu instid0(VALU_DEP_4) | instskip(NEXT) | instid1(VALU_DEP_4)
	v_dual_fmac_f32 v67, 0, v71 :: v_dual_fmac_f32 v62, v89, v72
	v_fmac_f32_e32 v66, 0x80000000, v72
	s_delay_alu instid0(VALU_DEP_4) | instskip(SKIP_2) | instid1(VALU_DEP_3)
	v_dual_fmac_f32 v68, v81, v71 :: v_dual_fmac_f32 v63, 0x80000000, v72
	v_fmac_f32_e32 v69, 0, v71
	v_dual_fmac_f32 v65, v85, v72 :: v_dual_fmac_f32 v64, v90, v73
	v_fmac_f32_e32 v68, 0x80000000, v72
	v_dual_fmac_f32 v67, v81, v72 :: v_dual_fmac_f32 v62, 0, v73
	s_delay_alu instid0(VALU_DEP_4) | instskip(SKIP_2) | instid1(VALU_DEP_4)
	v_dual_fmac_f32 v69, v77, v72 :: v_dual_fmac_f32 v66, v86, v73
	v_fmac_f32_e32 v63, v78, v73
	v_dual_fmac_f32 v65, 0, v73 :: v_dual_fmac_f32 v64, 0x80000000, v74
	v_dual_fmac_f32 v67, 0, v73 :: v_dual_fmac_f32 v62, v90, v74
	s_delay_alu instid0(VALU_DEP_4) | instskip(NEXT) | instid1(VALU_DEP_4)
	v_fmac_f32_e32 v66, 0x80000000, v74
	v_dual_fmac_f32 v68, v82, v73 :: v_dual_fmac_f32 v63, 0x80000000, v74
	v_fmac_f32_e32 v69, 0, v73
	s_wait_loadcnt 0x3
	v_dual_fmac_f32 v65, v86, v74 :: v_dual_fmac_f32 v64, v28, v45
	s_delay_alu instid0(VALU_DEP_3) | instskip(SKIP_4) | instid1(VALU_DEP_4)
	v_fmac_f32_e32 v68, 0x80000000, v74
	v_dual_fmac_f32 v67, v82, v74 :: v_dual_fmac_f32 v62, 0, v45
	v_dual_fmac_f32 v69, v78, v74 :: v_dual_fmac_f32 v66, v24, v45
	v_fmac_f32_e32 v63, v16, v45
	v_dual_fmac_f32 v65, 0, v45 :: v_dual_fmac_f32 v64, 0x80000000, v46
	v_dual_fmac_f32 v67, 0, v45 :: v_dual_fmac_f32 v62, v28, v46
	s_delay_alu instid0(VALU_DEP_4) | instskip(NEXT) | instid1(VALU_DEP_4)
	v_fmac_f32_e32 v66, 0x80000000, v46
	v_dual_fmac_f32 v68, v20, v45 :: v_dual_fmac_f32 v63, 0x80000000, v46
	v_fmac_f32_e32 v69, 0, v45
	v_dual_fmac_f32 v65, v24, v46 :: v_dual_fmac_f32 v64, v29, v47
	s_delay_alu instid0(VALU_DEP_3) | instskip(SKIP_1) | instid1(VALU_DEP_4)
	v_fmac_f32_e32 v68, 0x80000000, v46
	v_dual_fmac_f32 v67, v20, v46 :: v_dual_fmac_f32 v62, 0, v47
	v_dual_fmac_f32 v69, v16, v46 :: v_dual_fmac_f32 v66, v25, v47
	v_fmac_f32_e32 v63, v17, v47
	v_dual_fmac_f32 v65, 0, v47 :: v_dual_fmac_f32 v64, 0x80000000, v48
	s_delay_alu instid0(VALU_DEP_4) | instskip(NEXT) | instid1(VALU_DEP_4)
	v_dual_fmac_f32 v67, 0, v47 :: v_dual_fmac_f32 v62, v29, v48
	v_fmac_f32_e32 v66, 0x80000000, v48
	s_delay_alu instid0(VALU_DEP_4) | instskip(SKIP_3) | instid1(VALU_DEP_3)
	v_dual_fmac_f32 v68, v21, v47 :: v_dual_fmac_f32 v63, 0x80000000, v48
	v_fmac_f32_e32 v69, 0, v47
	s_wait_loadcnt 0x2
	v_dual_fmac_f32 v65, v25, v48 :: v_dual_fmac_f32 v64, v30, v99
	v_fmac_f32_e32 v68, 0x80000000, v48
	v_dual_fmac_f32 v67, v21, v48 :: v_dual_fmac_f32 v62, 0, v99
	v_dual_fmac_f32 v69, v17, v48 :: v_dual_fmac_f32 v66, v26, v99
	v_fmac_f32_e32 v63, v18, v99
	v_dual_fmac_f32 v65, 0, v99 :: v_dual_fmac_f32 v64, 0x80000000, v100
	s_delay_alu instid0(VALU_DEP_4) | instskip(NEXT) | instid1(VALU_DEP_4)
	v_dual_fmac_f32 v67, 0, v99 :: v_dual_fmac_f32 v62, v30, v100
	v_fmac_f32_e32 v66, 0x80000000, v100
	s_delay_alu instid0(VALU_DEP_4) | instskip(SKIP_2) | instid1(VALU_DEP_3)
	v_dual_fmac_f32 v68, v22, v99 :: v_dual_fmac_f32 v63, 0x80000000, v100
	v_fmac_f32_e32 v69, 0, v99
	v_dual_fmac_f32 v65, v26, v100 :: v_dual_fmac_f32 v64, v31, v101
	v_fmac_f32_e32 v68, 0x80000000, v100
	v_dual_fmac_f32 v67, v22, v100 :: v_dual_fmac_f32 v62, 0, v101
	s_delay_alu instid0(VALU_DEP_4) | instskip(SKIP_2) | instid1(VALU_DEP_4)
	v_dual_fmac_f32 v69, v18, v100 :: v_dual_fmac_f32 v66, v27, v101
	v_fmac_f32_e32 v63, v19, v101
	v_dual_fmac_f32 v65, 0, v101 :: v_dual_fmac_f32 v64, 0x80000000, v102
	v_dual_fmac_f32 v67, 0, v101 :: v_dual_fmac_f32 v62, v31, v102
	s_delay_alu instid0(VALU_DEP_4) | instskip(NEXT) | instid1(VALU_DEP_4)
	v_fmac_f32_e32 v66, 0x80000000, v102
	v_dual_fmac_f32 v68, v23, v101 :: v_dual_fmac_f32 v63, 0x80000000, v102
	v_fmac_f32_e32 v69, 0, v101
	s_wait_loadcnt 0x1
	v_dual_fmac_f32 v65, v27, v102 :: v_dual_fmac_f32 v64, v12, v41
	s_delay_alu instid0(VALU_DEP_3) | instskip(SKIP_4) | instid1(VALU_DEP_4)
	v_fmac_f32_e32 v68, 0x80000000, v102
	v_dual_fmac_f32 v67, v23, v102 :: v_dual_fmac_f32 v62, 0, v41
	v_dual_fmac_f32 v69, v19, v102 :: v_dual_fmac_f32 v66, v8, v41
	v_fmac_f32_e32 v63, v0, v41
	v_dual_fmac_f32 v65, 0, v41 :: v_dual_fmac_f32 v64, 0x80000000, v42
	v_dual_fmac_f32 v67, 0, v41 :: v_dual_fmac_f32 v62, v12, v42
	s_delay_alu instid0(VALU_DEP_4) | instskip(NEXT) | instid1(VALU_DEP_4)
	v_fmac_f32_e32 v66, 0x80000000, v42
	v_dual_fmac_f32 v68, v4, v41 :: v_dual_fmac_f32 v63, 0x80000000, v42
	v_fmac_f32_e32 v69, 0, v41
	v_dual_fmac_f32 v65, v8, v42 :: v_dual_fmac_f32 v64, v13, v43
	s_delay_alu instid0(VALU_DEP_3) | instskip(SKIP_1) | instid1(VALU_DEP_4)
	v_fmac_f32_e32 v68, 0x80000000, v42
	v_dual_fmac_f32 v67, v4, v42 :: v_dual_fmac_f32 v62, 0, v43
	v_dual_fmac_f32 v69, v0, v42 :: v_dual_fmac_f32 v66, v9, v43
	v_fmac_f32_e32 v63, v1, v43
	v_dual_fmac_f32 v65, 0, v43 :: v_dual_fmac_f32 v64, 0x80000000, v44
	s_delay_alu instid0(VALU_DEP_4) | instskip(NEXT) | instid1(VALU_DEP_4)
	v_dual_fmac_f32 v67, 0, v43 :: v_dual_fmac_f32 v62, v13, v44
	v_fmac_f32_e32 v66, 0x80000000, v44
	s_delay_alu instid0(VALU_DEP_4) | instskip(SKIP_3) | instid1(VALU_DEP_3)
	v_dual_fmac_f32 v68, v5, v43 :: v_dual_fmac_f32 v63, 0x80000000, v44
	v_fmac_f32_e32 v69, 0, v43
	s_wait_loadcnt 0x0
	v_dual_fmac_f32 v65, v9, v44 :: v_dual_fmac_f32 v64, v14, v37
	v_fmac_f32_e32 v68, 0x80000000, v44
	v_dual_fmac_f32 v67, v5, v44 :: v_dual_fmac_f32 v62, 0, v37
	v_dual_fmac_f32 v69, v1, v44 :: v_dual_fmac_f32 v66, v10, v37
	v_fmac_f32_e32 v63, v2, v37
	v_dual_fmac_f32 v65, 0, v37 :: v_dual_fmac_f32 v64, 0x80000000, v38
	s_delay_alu instid0(VALU_DEP_4) | instskip(NEXT) | instid1(VALU_DEP_4)
	v_dual_fmac_f32 v67, 0, v37 :: v_dual_fmac_f32 v62, v14, v38
	v_fmac_f32_e32 v66, 0x80000000, v38
	s_delay_alu instid0(VALU_DEP_4) | instskip(SKIP_2) | instid1(VALU_DEP_3)
	v_dual_fmac_f32 v68, v6, v37 :: v_dual_fmac_f32 v63, 0x80000000, v38
	v_fmac_f32_e32 v69, 0, v37
	v_dual_fmac_f32 v65, v10, v38 :: v_dual_fmac_f32 v64, v15, v39
	v_fmac_f32_e32 v68, 0x80000000, v38
	v_dual_fmac_f32 v67, v6, v38 :: v_dual_fmac_f32 v62, 0, v39
	s_delay_alu instid0(VALU_DEP_4) | instskip(SKIP_2) | instid1(VALU_DEP_4)
	v_dual_fmac_f32 v69, v2, v38 :: v_dual_fmac_f32 v66, v11, v39
	v_fmac_f32_e32 v63, v3, v39
	v_dual_fmac_f32 v65, 0, v39 :: v_dual_fmac_f32 v64, 0x80000000, v40
	v_dual_fmac_f32 v67, 0, v39 :: v_dual_fmac_f32 v62, v15, v40
	s_delay_alu instid0(VALU_DEP_4) | instskip(NEXT) | instid1(VALU_DEP_4)
	v_fmac_f32_e32 v66, 0x80000000, v40
	v_dual_fmac_f32 v68, v7, v39 :: v_dual_fmac_f32 v63, 0x80000000, v40
	v_fmac_f32_e32 v69, 0, v39
	v_fmac_f32_e32 v65, v11, v40
	;; [unrolled: 1-line block ×3, first 2 shown]
	s_delay_alu instid0(VALU_DEP_4) | instskip(NEXT) | instid1(VALU_DEP_4)
	v_fmac_f32_e32 v68, 0x80000000, v40
	v_fmac_f32_e32 v69, v3, v40
	s_wait_alu 0xfffe
	s_and_not1_b32 exec_lo, exec_lo, s7
	s_cbranch_execnz .LBB121_19
; %bb.20:
	s_or_b32 exec_lo, exec_lo, s7
.LBB121_21:
	s_wait_alu 0xfffe
	s_or_b32 exec_lo, exec_lo, s6
.LBB121_22:
	s_wait_alu 0xfffe
	s_or_b32 exec_lo, exec_lo, s3
	s_cbranch_execz .LBB121_24
	s_branch .LBB121_35
.LBB121_23:
                                        ; implicit-def: $vgpr62
                                        ; implicit-def: $vgpr64
                                        ; implicit-def: $vgpr65
                                        ; implicit-def: $vgpr66
                                        ; implicit-def: $vgpr67
                                        ; implicit-def: $vgpr68
                                        ; implicit-def: $vgpr69
                                        ; implicit-def: $vgpr63
.LBB121_24:
	v_dual_mov_b32 v62, 0 :: v_dual_mov_b32 v65, 0
	v_dual_mov_b32 v64, 0 :: v_dual_mov_b32 v67, 0
	;; [unrolled: 1-line block ×4, first 2 shown]
	s_and_saveexec_b32 s3, s2
	s_cbranch_execz .LBB121_34
; %bb.25:
	v_dual_mov_b32 v63, 0 :: v_dual_add_nc_u32 v0, v36, v61
	v_not_b32_e32 v1, v36
	v_dual_mov_b32 v67, 0 :: v_dual_mov_b32 v66, 0
	s_delay_alu instid0(VALU_DEP_3) | instskip(SKIP_3) | instid1(VALU_DEP_3)
	v_subrev_nc_u32_e32 v0, s12, v0
	v_dual_mov_b32 v65, 0 :: v_dual_mov_b32 v64, 0
	v_mov_b32_e32 v62, 0
	s_mov_b32 s2, exec_lo
	v_dual_mov_b32 v69, 0 :: v_dual_add_nc_u32 v0, 8, v0
	s_delay_alu instid0(VALU_DEP_1) | instskip(NEXT) | instid1(VALU_DEP_1)
	v_max_i32_e32 v0, v0, v70
	v_add3_u32 v0, s12, v0, v1
	s_delay_alu instid0(VALU_DEP_1) | instskip(NEXT) | instid1(VALU_DEP_1)
	v_sub_nc_u32_e32 v0, v0, v61
	v_dual_mov_b32 v68, 0 :: v_dual_and_b32 v1, 24, v0
	s_delay_alu instid0(VALU_DEP_1)
	v_cmpx_ne_u32_e32 24, v1
	s_cbranch_execz .LBB121_29
; %bb.26:
	v_lshrrev_b32_e32 v1, 3, v0
	v_dual_mov_b32 v64, 0 :: v_dual_mov_b32 v65, 0
	v_dual_mov_b32 v67, 0 :: v_dual_mov_b32 v68, 0
	s_delay_alu instid0(VALU_DEP_3) | instskip(SKIP_3) | instid1(VALU_DEP_3)
	v_dual_mov_b32 v62, 0 :: v_dual_add_nc_u32 v1, 1, v1
	v_mov_b32_e32 v69, 0
	v_mov_b32_e32 v63, 0
	s_mov_b32 s6, 0
	v_dual_mov_b32 v66, 0 :: v_dual_and_b32 v1, 3, v1
	s_delay_alu instid0(VALU_DEP_1)
	v_sub_nc_u32_e32 v1, 0, v1
.LBB121_27:                             ; =>This Inner Loop Header: Depth=1
	v_ashrrev_i32_e32 v58, 31, v57
	s_delay_alu instid0(VALU_DEP_2) | instskip(SKIP_2) | instid1(VALU_DEP_2)
	v_add_co_u32 v1, s7, v1, 1
	s_wait_alu 0xfffe
	s_or_b32 s6, s7, s6
	v_lshlrev_b64_e32 v[2:3], 2, v[57:58]
	s_delay_alu instid0(VALU_DEP_1) | instskip(SKIP_1) | instid1(VALU_DEP_2)
	v_add_co_u32 v2, vcc_lo, s8, v2
	s_wait_alu 0xfffd
	v_add_co_ci_u32_e64 v3, null, s9, v3, vcc_lo
	global_load_b32 v10, v[2:3], off
	s_clause 0x1
	global_load_b128 v[2:5], v[59:60], off offset:16
	global_load_b128 v[6:9], v[59:60], off
	s_wait_loadcnt 0x2
	v_subrev_nc_u32_e32 v10, s12, v10
	s_delay_alu instid0(VALU_DEP_1) | instskip(NEXT) | instid1(VALU_DEP_1)
	v_lshlrev_b32_e32 v10, 2, v10
	v_ashrrev_i32_e32 v11, 31, v10
	s_delay_alu instid0(VALU_DEP_1) | instskip(SKIP_1) | instid1(VALU_DEP_1)
	v_lshlrev_b64_e32 v[10:11], 3, v[10:11]
	s_wait_kmcnt 0x0
	v_add_co_u32 v14, vcc_lo, s4, v10
	s_wait_alu 0xfffd
	s_delay_alu instid0(VALU_DEP_2)
	v_add_co_ci_u32_e64 v15, null, s5, v11, vcc_lo
	s_clause 0x1
	global_load_b128 v[10:13], v[14:15], off
	global_load_b128 v[14:17], v[14:15], off offset:16
	s_clause 0x1
	global_load_b128 v[18:21], v[59:60], off offset:32
	global_load_b128 v[22:25], v[59:60], off offset:48
	v_add_nc_u32_e32 v57, 8, v57
	v_add_co_u32 v59, vcc_lo, 0x200, v59
	s_wait_alu 0xfffd
	v_add_co_ci_u32_e64 v60, null, 0, v60, vcc_lo
	s_wait_loadcnt 0x3
	v_fmac_f32_e32 v64, v6, v10
	v_fmac_f32_e32 v65, 0, v10
	;; [unrolled: 1-line block ×15, first 2 shown]
	v_dual_fmac_f32 v68, 0x80000000, v11 :: v_dual_fmac_f32 v65, 0, v12
	v_fmac_f32_e32 v64, v2, v12
	v_fmac_f32_e32 v67, 0, v12
	;; [unrolled: 1-line block ×6, first 2 shown]
	v_dual_fmac_f32 v68, v4, v12 :: v_dual_fmac_f32 v65, v3, v13
	v_fmac_f32_e32 v64, 0x80000000, v13
	v_fmac_f32_e32 v67, v4, v13
	;; [unrolled: 1-line block ×6, first 2 shown]
	s_wait_loadcnt 0x2
	v_dual_fmac_f32 v68, 0x80000000, v13 :: v_dual_fmac_f32 v65, 0, v14
	s_wait_loadcnt 0x1
	v_fmac_f32_e32 v64, v18, v14
	v_fmac_f32_e32 v67, 0, v14
	;; [unrolled: 1-line block ×6, first 2 shown]
	v_dual_fmac_f32 v68, v20, v14 :: v_dual_fmac_f32 v65, v19, v15
	v_fmac_f32_e32 v64, 0x80000000, v15
	v_fmac_f32_e32 v67, v20, v15
	;; [unrolled: 1-line block ×6, first 2 shown]
	v_dual_fmac_f32 v68, 0x80000000, v15 :: v_dual_fmac_f32 v65, 0, v16
	s_wait_loadcnt 0x0
	v_fmac_f32_e32 v64, v22, v16
	v_fmac_f32_e32 v67, 0, v16
	;; [unrolled: 1-line block ×6, first 2 shown]
	v_dual_fmac_f32 v68, v24, v16 :: v_dual_fmac_f32 v65, v23, v17
	v_fmac_f32_e32 v64, 0x80000000, v17
	v_fmac_f32_e32 v67, v24, v17
	;; [unrolled: 1-line block ×7, first 2 shown]
	s_wait_alu 0xfffe
	s_and_not1_b32 exec_lo, exec_lo, s6
	s_cbranch_execnz .LBB121_27
; %bb.28:
	s_or_b32 exec_lo, exec_lo, s6
.LBB121_29:
	s_wait_alu 0xfffe
	s_or_b32 exec_lo, exec_lo, s2
	s_delay_alu instid0(SALU_CYCLE_1)
	s_mov_b32 s2, exec_lo
	v_cmpx_lt_u32_e32 23, v0
	s_cbranch_execz .LBB121_33
; %bb.30:
	s_mov_b32 s6, 0
.LBB121_31:                             ; =>This Inner Loop Header: Depth=1
	v_ashrrev_i32_e32 v58, 31, v57
	s_clause 0xe
	global_load_b128 v[16:19], v[59:60], off offset:48
	global_load_b128 v[24:27], v[59:60], off offset:32
	;; [unrolled: 1-line block ×3, first 2 shown]
	global_load_b128 v[40:43], v[59:60], off
	global_load_b128 v[0:3], v[59:60], off offset:560
	global_load_b128 v[4:7], v[59:60], off offset:544
	;; [unrolled: 1-line block ×11, first 2 shown]
	v_lshlrev_b64_e32 v[79:80], 2, v[57:58]
	s_delay_alu instid0(VALU_DEP_1) | instskip(SKIP_1) | instid1(VALU_DEP_2)
	v_add_co_u32 v79, vcc_lo, s8, v79
	s_wait_alu 0xfffd
	v_add_co_ci_u32_e64 v80, null, s9, v80, vcc_lo
	s_clause 0x3
	global_load_b32 v58, v[79:80], off
	global_load_b32 v81, v[79:80], off offset:32
	global_load_b32 v82, v[79:80], off offset:64
	global_load_b32 v79, v[79:80], off offset:96
	s_wait_loadcnt 0x3
	v_subrev_nc_u32_e32 v58, s12, v58
	s_wait_loadcnt 0x2
	v_subrev_nc_u32_e32 v80, s12, v81
	;; [unrolled: 2-line block ×4, first 2 shown]
	v_lshlrev_b32_e32 v79, 2, v58
	v_lshlrev_b32_e32 v81, 2, v80
	;; [unrolled: 1-line block ×3, first 2 shown]
	s_delay_alu instid0(VALU_DEP_4) | instskip(NEXT) | instid1(VALU_DEP_4)
	v_lshlrev_b32_e32 v85, 2, v84
	v_ashrrev_i32_e32 v80, 31, v79
	s_delay_alu instid0(VALU_DEP_4) | instskip(NEXT) | instid1(VALU_DEP_4)
	v_ashrrev_i32_e32 v82, 31, v81
	v_ashrrev_i32_e32 v84, 31, v83
	s_delay_alu instid0(VALU_DEP_4) | instskip(NEXT) | instid1(VALU_DEP_4)
	v_ashrrev_i32_e32 v86, 31, v85
	v_lshlrev_b64_e32 v[79:80], 3, v[79:80]
	s_delay_alu instid0(VALU_DEP_4) | instskip(NEXT) | instid1(VALU_DEP_4)
	v_lshlrev_b64_e32 v[81:82], 3, v[81:82]
	v_lshlrev_b64_e32 v[83:84], 3, v[83:84]
	s_delay_alu instid0(VALU_DEP_4) | instskip(SKIP_1) | instid1(VALU_DEP_4)
	v_lshlrev_b64_e32 v[85:86], 3, v[85:86]
	s_wait_kmcnt 0x0
	v_add_co_u32 v87, vcc_lo, s4, v79
	s_wait_alu 0xfffd
	v_add_co_ci_u32_e64 v88, null, s5, v80, vcc_lo
	v_add_co_u32 v91, vcc_lo, s4, v81
	s_wait_alu 0xfffd
	v_add_co_ci_u32_e64 v92, null, s5, v82, vcc_lo
	;; [unrolled: 3-line block ×4, first 2 shown]
	s_clause 0x2
	global_load_b128 v[79:82], v[87:88], off
	global_load_b128 v[83:86], v[87:88], off offset:16
	global_load_b128 v[87:90], v[91:92], off
	s_wait_loadcnt 0x2
	v_fmac_f32_e32 v64, v40, v79
	v_fmac_f32_e32 v65, 0, v79
	;; [unrolled: 1-line block ×4, first 2 shown]
	s_delay_alu instid0(VALU_DEP_4) | instskip(NEXT) | instid1(VALU_DEP_4)
	v_dual_fmac_f32 v67, 0, v79 :: v_dual_fmac_f32 v64, 0x80000000, v80
	v_dual_fmac_f32 v68, v42, v79 :: v_dual_fmac_f32 v65, v41, v80
	v_fmac_f32_e32 v69, 0, v79
	s_delay_alu instid0(VALU_DEP_3)
	v_dual_fmac_f32 v63, v43, v79 :: v_dual_fmac_f32 v64, v32, v81
	v_fmac_f32_e32 v62, v40, v80
	v_fmac_f32_e32 v66, 0x80000000, v80
	;; [unrolled: 1-line block ×5, first 2 shown]
	global_load_b128 v[40:43], v[91:92], off offset:16
	v_dual_fmac_f32 v63, 0x80000000, v80 :: v_dual_fmac_f32 v62, 0, v81
	v_fmac_f32_e32 v66, v33, v81
	v_fmac_f32_e32 v65, 0, v81
	v_dual_fmac_f32 v67, 0, v81 :: v_dual_fmac_f32 v64, 0x80000000, v82
	s_delay_alu instid0(VALU_DEP_3)
	v_dual_fmac_f32 v69, 0, v81 :: v_dual_fmac_f32 v66, 0x80000000, v82
	v_fmac_f32_e32 v68, v34, v81
	v_dual_fmac_f32 v63, v35, v81 :: v_dual_fmac_f32 v62, v32, v82
	s_wait_loadcnt 0x2
	v_dual_fmac_f32 v65, v33, v82 :: v_dual_fmac_f32 v64, v24, v83
	v_fmac_f32_e32 v67, v34, v82
	v_dual_fmac_f32 v69, v35, v82 :: v_dual_fmac_f32 v66, v25, v83
	s_clause 0x1
	global_load_b128 v[32:35], v[93:94], off
	global_load_b128 v[91:94], v[93:94], off offset:16
	v_fmac_f32_e32 v68, 0x80000000, v82
	v_fmac_f32_e32 v63, 0x80000000, v82
	global_load_b128 v[79:82], v[95:96], off
	v_fmac_f32_e32 v62, 0, v83
	v_fmac_f32_e32 v65, 0, v83
	v_dual_fmac_f32 v67, 0, v83 :: v_dual_fmac_f32 v64, 0x80000000, v84
	v_dual_fmac_f32 v69, 0, v83 :: v_dual_fmac_f32 v66, 0x80000000, v84
	v_fmac_f32_e32 v68, v26, v83
	v_dual_fmac_f32 v63, v27, v83 :: v_dual_fmac_f32 v62, v24, v84
	s_delay_alu instid0(VALU_DEP_4)
	v_dual_fmac_f32 v65, v25, v84 :: v_dual_fmac_f32 v64, v16, v85
	v_fmac_f32_e32 v67, v26, v84
	v_dual_fmac_f32 v69, v27, v84 :: v_dual_fmac_f32 v66, v17, v85
	global_load_b128 v[24:27], v[95:96], off offset:16
	v_fmac_f32_e32 v68, 0x80000000, v84
	v_dual_fmac_f32 v63, 0x80000000, v84 :: v_dual_fmac_f32 v62, 0, v85
	v_fmac_f32_e32 v65, 0, v85
	v_dual_fmac_f32 v67, 0, v85 :: v_dual_fmac_f32 v64, 0x80000000, v86
	v_dual_fmac_f32 v69, 0, v85 :: v_dual_fmac_f32 v66, 0x80000000, v86
	v_fmac_f32_e32 v68, v18, v85
	v_dual_fmac_f32 v63, v19, v85 :: v_dual_fmac_f32 v62, v16, v86
	s_wait_loadcnt 0x5
	v_dual_fmac_f32 v65, v17, v86 :: v_dual_fmac_f32 v64, v12, v87
	v_fmac_f32_e32 v67, v18, v86
	v_dual_fmac_f32 v69, v19, v86 :: v_dual_fmac_f32 v66, v13, v87
	global_load_b128 v[16:19], v[59:60], off offset:1584
	v_fmac_f32_e32 v68, 0x80000000, v86
	v_dual_fmac_f32 v63, 0x80000000, v86 :: v_dual_fmac_f32 v64, 0x80000000, v88
	v_fmac_f32_e32 v62, 0, v87
	v_fmac_f32_e32 v65, 0, v87
	v_fmac_f32_e32 v69, 0, v87
	v_dual_fmac_f32 v67, 0, v87 :: v_dual_fmac_f32 v66, 0x80000000, v88
	s_delay_alu instid0(VALU_DEP_4) | instskip(NEXT) | instid1(VALU_DEP_4)
	v_fmac_f32_e32 v62, v12, v88
	v_dual_fmac_f32 v65, v13, v88 :: v_dual_fmac_f32 v64, v8, v89
	s_delay_alu instid0(VALU_DEP_4) | instskip(NEXT) | instid1(VALU_DEP_4)
	v_fmac_f32_e32 v69, v15, v88
	;; [unrolled: 3-line block ×3, first 2 shown]
	v_dual_fmac_f32 v65, 0, v89 :: v_dual_fmac_f32 v64, 0x80000000, v90
	s_delay_alu instid0(VALU_DEP_4) | instskip(SKIP_1) | instid1(VALU_DEP_4)
	v_fmac_f32_e32 v69, 0, v89
	v_dual_fmac_f32 v68, v14, v87 :: v_dual_add_nc_u32 v57, 32, v57
	v_fmac_f32_e32 v62, v8, v90
	s_delay_alu instid0(VALU_DEP_4) | instskip(SKIP_4) | instid1(VALU_DEP_4)
	v_fmac_f32_e32 v65, v9, v90
	v_fmac_f32_e32 v63, v15, v87
	v_dual_fmac_f32 v67, 0, v89 :: v_dual_fmac_f32 v66, 0x80000000, v90
	v_fmac_f32_e32 v68, 0x80000000, v88
	v_add_co_u32 v59, vcc_lo, 0x800, v59
	v_fmac_f32_e32 v63, 0x80000000, v88
	s_delay_alu instid0(VALU_DEP_4) | instskip(NEXT) | instid1(VALU_DEP_4)
	v_fmac_f32_e32 v67, v10, v90
	v_fmac_f32_e32 v68, v10, v89
	s_wait_alu 0xfffd
	v_add_co_ci_u32_e64 v60, null, 0, v60, vcc_lo
	v_fmac_f32_e32 v63, v11, v89
	v_cmp_ge_i32_e32 vcc_lo, v57, v70
	v_fmac_f32_e32 v68, 0x80000000, v90
	s_delay_alu instid0(VALU_DEP_3)
	v_fmac_f32_e32 v63, 0x80000000, v90
	s_wait_alu 0xfffe
	s_or_b32 s6, vcc_lo, s6
	s_wait_loadcnt 0x5
	v_dual_fmac_f32 v64, v4, v40 :: v_dual_fmac_f32 v69, v11, v90
	v_fmac_f32_e32 v62, 0, v40
	v_fmac_f32_e32 v65, 0, v40
	;; [unrolled: 1-line block ×3, first 2 shown]
	s_delay_alu instid0(VALU_DEP_4) | instskip(NEXT) | instid1(VALU_DEP_4)
	v_dual_fmac_f32 v64, 0x80000000, v41 :: v_dual_fmac_f32 v69, 0, v40
	v_fmac_f32_e32 v62, v4, v41
	s_delay_alu instid0(VALU_DEP_4) | instskip(NEXT) | instid1(VALU_DEP_4)
	v_fmac_f32_e32 v65, v5, v41
	v_dual_fmac_f32 v67, 0, v40 :: v_dual_fmac_f32 v66, 0x80000000, v41
	s_delay_alu instid0(VALU_DEP_4) | instskip(NEXT) | instid1(VALU_DEP_4)
	v_dual_fmac_f32 v64, v0, v42 :: v_dual_fmac_f32 v69, v7, v41
	v_fmac_f32_e32 v62, 0, v42
	s_delay_alu instid0(VALU_DEP_4) | instskip(NEXT) | instid1(VALU_DEP_4)
	v_fmac_f32_e32 v65, 0, v42
	v_dual_fmac_f32 v67, v6, v41 :: v_dual_fmac_f32 v66, v1, v42
	s_delay_alu instid0(VALU_DEP_4) | instskip(NEXT) | instid1(VALU_DEP_4)
	v_dual_fmac_f32 v64, 0x80000000, v43 :: v_dual_fmac_f32 v69, 0, v42
	v_fmac_f32_e32 v62, v0, v43
	s_delay_alu instid0(VALU_DEP_4) | instskip(SKIP_1) | instid1(VALU_DEP_3)
	v_dual_fmac_f32 v65, v1, v43 :: v_dual_fmac_f32 v68, v6, v40
	s_wait_loadcnt 0x4
	v_fmac_f32_e32 v64, v44, v32
	v_fmac_f32_e32 v63, v7, v40
	v_dual_fmac_f32 v67, 0, v42 :: v_dual_fmac_f32 v66, 0x80000000, v43
	s_delay_alu instid0(VALU_DEP_3)
	v_dual_fmac_f32 v69, v3, v43 :: v_dual_fmac_f32 v64, 0x80000000, v33
	v_fmac_f32_e32 v62, 0, v32
	v_dual_fmac_f32 v65, 0, v32 :: v_dual_fmac_f32 v68, 0x80000000, v41
	v_fmac_f32_e32 v63, 0x80000000, v41
	v_dual_fmac_f32 v67, v2, v43 :: v_dual_fmac_f32 v66, v45, v32
	v_dual_fmac_f32 v69, 0, v32 :: v_dual_fmac_f32 v64, v36, v34
	v_fmac_f32_e32 v62, v44, v33
	v_dual_fmac_f32 v65, v45, v33 :: v_dual_fmac_f32 v68, v2, v42
	v_fmac_f32_e32 v63, v3, v42
	v_dual_fmac_f32 v67, 0, v32 :: v_dual_fmac_f32 v66, 0x80000000, v33
	;; [unrolled: 5-line block ×3, first 2 shown]
	s_wait_loadcnt 0x3
	v_dual_fmac_f32 v69, 0, v34 :: v_dual_fmac_f32 v64, v28, v91
	v_fmac_f32_e32 v62, v36, v35
	v_dual_fmac_f32 v65, v37, v35 :: v_dual_fmac_f32 v68, v46, v32
	v_fmac_f32_e32 v63, v47, v32
	v_dual_fmac_f32 v67, 0, v34 :: v_dual_fmac_f32 v66, 0x80000000, v35
	s_delay_alu instid0(VALU_DEP_3) | instskip(NEXT) | instid1(VALU_DEP_4)
	v_dual_fmac_f32 v64, 0x80000000, v92 :: v_dual_fmac_f32 v65, 0, v91
	v_fmac_f32_e32 v68, 0x80000000, v33
	s_delay_alu instid0(VALU_DEP_4) | instskip(NEXT) | instid1(VALU_DEP_3)
	v_fmac_f32_e32 v63, 0x80000000, v33
	v_fmac_f32_e32 v64, v20, v93
	s_delay_alu instid0(VALU_DEP_4) | instskip(SKIP_2) | instid1(VALU_DEP_3)
	v_dual_fmac_f32 v62, 0, v91 :: v_dual_fmac_f32 v65, v29, v92
	v_fmac_f32_e32 v67, v38, v35
	v_fmac_f32_e32 v68, v38, v34
	v_dual_fmac_f32 v63, v39, v34 :: v_dual_fmac_f32 v62, v28, v92
	s_delay_alu instid0(VALU_DEP_3) | instskip(NEXT) | instid1(VALU_DEP_3)
	v_dual_fmac_f32 v64, 0x80000000, v94 :: v_dual_fmac_f32 v67, 0, v91
	v_fmac_f32_e32 v68, 0x80000000, v35
	s_delay_alu instid0(VALU_DEP_3) | instskip(NEXT) | instid1(VALU_DEP_3)
	v_fmac_f32_e32 v62, 0, v93
	v_dual_fmac_f32 v66, v29, v91 :: v_dual_fmac_f32 v67, v30, v92
	v_fmac_f32_e32 v63, 0x80000000, v35
	s_delay_alu instid0(VALU_DEP_3) | instskip(NEXT) | instid1(VALU_DEP_3)
	v_dual_fmac_f32 v65, 0, v93 :: v_dual_fmac_f32 v62, v20, v94
	v_fmac_f32_e32 v66, 0x80000000, v92
	s_wait_loadcnt 0x2
	v_fmac_f32_e32 v64, v71, v79
	v_fmac_f32_e32 v63, v31, v91
	v_dual_fmac_f32 v65, v21, v94 :: v_dual_fmac_f32 v62, 0, v79
	v_fmac_f32_e32 v66, v21, v93
	s_delay_alu instid0(VALU_DEP_3) | instskip(SKIP_1) | instid1(VALU_DEP_3)
	v_dual_fmac_f32 v68, v30, v91 :: v_dual_fmac_f32 v63, 0x80000000, v92
	v_fmac_f32_e32 v69, v39, v35
	v_dual_fmac_f32 v67, 0, v93 :: v_dual_fmac_f32 v66, 0x80000000, v94
	s_delay_alu instid0(VALU_DEP_3) | instskip(NEXT) | instid1(VALU_DEP_3)
	v_dual_fmac_f32 v68, 0x80000000, v92 :: v_dual_fmac_f32 v65, 0, v79
	v_dual_fmac_f32 v62, v71, v80 :: v_dual_fmac_f32 v69, 0, v91
	s_delay_alu instid0(VALU_DEP_3) | instskip(NEXT) | instid1(VALU_DEP_3)
	v_dual_fmac_f32 v67, v22, v94 :: v_dual_fmac_f32 v66, v72, v79
	v_fmac_f32_e32 v68, v22, v93
	v_fmac_f32_e32 v63, v23, v93
	s_delay_alu instid0(VALU_DEP_4) | instskip(NEXT) | instid1(VALU_DEP_4)
	v_fmac_f32_e32 v69, v31, v92
	v_dual_fmac_f32 v67, 0, v79 :: v_dual_fmac_f32 v66, 0x80000000, v80
	s_delay_alu instid0(VALU_DEP_4) | instskip(NEXT) | instid1(VALU_DEP_4)
	v_fmac_f32_e32 v68, 0x80000000, v94
	v_fmac_f32_e32 v63, 0x80000000, v94
	s_delay_alu instid0(VALU_DEP_4) | instskip(SKIP_1) | instid1(VALU_DEP_2)
	v_dual_fmac_f32 v69, 0, v93 :: v_dual_fmac_f32 v64, 0x80000000, v80
	v_dual_fmac_f32 v65, v72, v80 :: v_dual_fmac_f32 v62, 0, v81
	;; [unrolled: 1-line block ×3, first 2 shown]
	s_delay_alu instid0(VALU_DEP_3) | instskip(SKIP_1) | instid1(VALU_DEP_3)
	v_dual_fmac_f32 v63, v74, v79 :: v_dual_fmac_f32 v64, v48, v81
	v_fmac_f32_e32 v66, v49, v81
	v_dual_fmac_f32 v68, 0x80000000, v80 :: v_dual_fmac_f32 v69, 0, v79
	v_fmac_f32_e32 v67, v73, v80
	s_delay_alu instid0(VALU_DEP_4) | instskip(SKIP_1) | instid1(VALU_DEP_4)
	v_fmac_f32_e32 v63, 0x80000000, v80
	v_dual_fmac_f32 v65, 0, v81 :: v_dual_fmac_f32 v62, v48, v82
	v_dual_fmac_f32 v69, v74, v80 :: v_dual_fmac_f32 v64, 0x80000000, v82
	v_fmac_f32_e32 v68, v50, v81
	v_dual_fmac_f32 v67, 0, v81 :: v_dual_fmac_f32 v66, 0x80000000, v82
	v_fmac_f32_e32 v63, v51, v81
	s_wait_loadcnt 0x1
	v_dual_fmac_f32 v69, 0, v81 :: v_dual_fmac_f32 v64, v75, v24
	v_dual_fmac_f32 v65, v49, v82 :: v_dual_fmac_f32 v62, 0, v24
	v_fmac_f32_e32 v68, 0x80000000, v82
	v_dual_fmac_f32 v67, v50, v82 :: v_dual_fmac_f32 v66, v76, v24
	v_fmac_f32_e32 v63, 0x80000000, v82
	v_dual_fmac_f32 v69, v51, v82 :: v_dual_fmac_f32 v64, 0x80000000, v25
	v_dual_fmac_f32 v65, 0, v24 :: v_dual_fmac_f32 v62, v75, v25
	v_fmac_f32_e32 v68, v77, v24
	v_dual_fmac_f32 v67, 0, v24 :: v_dual_fmac_f32 v66, 0x80000000, v25
	v_fmac_f32_e32 v63, v78, v24
	s_wait_loadcnt 0x0
	v_dual_fmac_f32 v69, 0, v24 :: v_dual_fmac_f32 v64, v16, v26
	v_dual_fmac_f32 v65, v76, v25 :: v_dual_fmac_f32 v62, 0, v26
	v_fmac_f32_e32 v68, 0x80000000, v25
	v_fmac_f32_e32 v67, v77, v25
	v_dual_fmac_f32 v63, 0x80000000, v25 :: v_dual_fmac_f32 v66, v17, v26
	v_dual_fmac_f32 v69, v78, v25 :: v_dual_fmac_f32 v64, 0x80000000, v27
	;; [unrolled: 1-line block ×3, first 2 shown]
	v_fmac_f32_e32 v68, v18, v26
	s_delay_alu instid0(VALU_DEP_4)
	v_dual_fmac_f32 v67, 0, v26 :: v_dual_fmac_f32 v66, 0x80000000, v27
	v_fmac_f32_e32 v63, v19, v26
	v_fmac_f32_e32 v69, 0, v26
	;; [unrolled: 1-line block ×7, first 2 shown]
	s_wait_alu 0xfffe
	s_and_not1_b32 exec_lo, exec_lo, s6
	s_cbranch_execnz .LBB121_31
; %bb.32:
	s_or_b32 exec_lo, exec_lo, s6
.LBB121_33:
	s_wait_alu 0xfffe
	s_or_b32 exec_lo, exec_lo, s2
.LBB121_34:
	s_wait_alu 0xfffe
	s_or_b32 exec_lo, exec_lo, s3
.LBB121_35:
	v_mbcnt_lo_u32_b32 v0, -1, 0
	s_delay_alu instid0(VALU_DEP_1) | instskip(SKIP_2) | instid1(VALU_DEP_3)
	v_xor_b32_e32 v1, 4, v0
	v_xor_b32_e32 v9, 2, v0
	v_xor_b32_e32 v17, 1, v0
	v_cmp_gt_i32_e32 vcc_lo, 32, v1
	s_wait_alu 0xfffd
	v_cndmask_b32_e32 v1, v0, v1, vcc_lo
	v_cmp_gt_i32_e32 vcc_lo, 32, v9
	s_delay_alu instid0(VALU_DEP_2)
	v_lshlrev_b32_e32 v1, 2, v1
	ds_bpermute_b32 v2, v1, v64
	s_wait_dscnt 0x0
	v_add_f32_e32 v2, v64, v2
	ds_bpermute_b32 v4, v1, v66
	ds_bpermute_b32 v8, v1, v63
	;; [unrolled: 1-line block ×7, first 2 shown]
	s_wait_alu 0xfffd
	v_cndmask_b32_e32 v9, v0, v9, vcc_lo
	v_cmp_gt_i32_e32 vcc_lo, 32, v17
	s_wait_alu 0xfffd
	v_cndmask_b32_e32 v0, v0, v17, vcc_lo
	v_cmp_eq_u32_e32 vcc_lo, 7, v61
	s_wait_dscnt 0x6
	v_add_f32_e32 v4, v66, v4
	s_wait_dscnt 0x5
	v_dual_add_f32 v8, v63, v8 :: v_dual_lshlrev_b32 v9, 2, v9
	s_wait_dscnt 0x2
	v_dual_add_f32 v3, v62, v3 :: v_dual_add_f32 v6, v68, v6
	s_wait_dscnt 0x0
	v_dual_add_f32 v7, v67, v7 :: v_dual_add_f32 v10, v69, v1
	ds_bpermute_b32 v1, v9, v2
	ds_bpermute_b32 v12, v9, v4
	v_add_f32_e32 v5, v65, v5
	ds_bpermute_b32 v11, v9, v3
	ds_bpermute_b32 v14, v9, v6
	;; [unrolled: 1-line block ×4, first 2 shown]
	s_wait_dscnt 0x5
	v_dual_add_f32 v0, v2, v1 :: v_dual_lshlrev_b32 v17, 2, v0
	s_wait_dscnt 0x4
	v_add_f32_e32 v2, v4, v12
	ds_bpermute_b32 v13, v9, v5
	ds_bpermute_b32 v9, v9, v10
	s_wait_dscnt 0x4
	v_dual_add_f32 v1, v3, v11 :: v_dual_add_f32 v4, v6, v14
	s_wait_dscnt 0x2
	v_add_f32_e32 v6, v8, v16
	ds_bpermute_b32 v8, v17, v0
	ds_bpermute_b32 v12, v17, v4
	;; [unrolled: 1-line block ×3, first 2 shown]
	s_wait_dscnt 0x4
	v_add_f32_e32 v3, v5, v13
	v_add_f32_e32 v5, v7, v15
	s_wait_dscnt 0x3
	v_add_f32_e32 v7, v10, v9
	ds_bpermute_b32 v9, v17, v1
	ds_bpermute_b32 v10, v17, v2
	;; [unrolled: 1-line block ×5, first 2 shown]
	s_and_b32 exec_lo, exec_lo, vcc_lo
	s_cbranch_execz .LBB121_8
; %bb.36:
	s_load_b64 s[2:3], s[0:1], 0x50
	s_wait_dscnt 0x7
	v_add_f32_e32 v8, v0, v8
	s_wait_dscnt 0x2
	v_dual_add_f32 v0, v1, v9 :: v_dual_add_f32 v1, v3, v11
	s_wait_dscnt 0x1
	v_dual_add_f32 v9, v2, v10 :: v_dual_add_f32 v2, v5, v13
	;; [unrolled: 2-line block ×3, first 2 shown]
	v_add_f32_e32 v11, v6, v14
	v_mul_f32_e64 v4, v0, -v55
	v_mul_f32_e32 v5, v54, v0
	v_mul_f32_e64 v6, v1, -v55
	v_mul_f32_e32 v7, v54, v1
	;; [unrolled: 2-line block ×4, first 2 shown]
	v_cmp_eq_f32_e32 vcc_lo, 0, v52
	v_cmp_eq_f32_e64 s0, 0, v53
	v_fmac_f32_e32 v4, v54, v8
	v_dual_fmac_f32 v5, v55, v8 :: v_dual_fmac_f32 v6, v54, v9
	v_dual_fmac_f32 v7, v55, v9 :: v_dual_lshlrev_b32 v8, 2, v56
	v_dual_fmac_f32 v0, v54, v10 :: v_dual_fmac_f32 v3, v55, v11
	v_dual_fmac_f32 v1, v55, v10 :: v_dual_fmac_f32 v2, v54, v11
	s_and_b32 s0, vcc_lo, s0
	s_wait_alu 0xfffe
	s_and_saveexec_b32 s1, s0
	s_wait_alu 0xfffe
	s_xor_b32 s0, exec_lo, s1
	s_cbranch_execz .LBB121_38
; %bb.37:
	v_ashrrev_i32_e32 v9, 31, v8
                                        ; implicit-def: $vgpr52_vgpr53
	s_delay_alu instid0(VALU_DEP_1) | instskip(SKIP_1) | instid1(VALU_DEP_1)
	v_lshlrev_b64_e32 v[8:9], 3, v[8:9]
	s_wait_kmcnt 0x0
	v_add_co_u32 v8, vcc_lo, s2, v8
	s_wait_alu 0xfffd
	s_delay_alu instid0(VALU_DEP_2)
	v_add_co_ci_u32_e64 v9, null, s3, v9, vcc_lo
	s_clause 0x1
	global_store_b128 v[8:9], v[4:7], off
	global_store_b128 v[8:9], v[0:3], off offset:16
                                        ; implicit-def: $vgpr4
                                        ; implicit-def: $vgpr8
                                        ; implicit-def: $vgpr0
.LBB121_38:
	s_wait_alu 0xfffe
	s_and_not1_saveexec_b32 s0, s0
	s_cbranch_execz .LBB121_8
; %bb.39:
	v_ashrrev_i32_e32 v9, 31, v8
	s_delay_alu instid0(VALU_DEP_1) | instskip(SKIP_1) | instid1(VALU_DEP_1)
	v_lshlrev_b64_e32 v[8:9], 3, v[8:9]
	s_wait_kmcnt 0x0
	v_add_co_u32 v16, vcc_lo, s2, v8
	s_wait_alu 0xfffd
	s_delay_alu instid0(VALU_DEP_2)
	v_add_co_ci_u32_e64 v17, null, s3, v9, vcc_lo
	s_clause 0x1
	global_load_b128 v[8:11], v[16:17], off
	global_load_b128 v[12:15], v[16:17], off offset:16
	s_wait_loadcnt 0x1
	v_dual_fmac_f32 v4, v52, v8 :: v_dual_fmac_f32 v7, v53, v10
	v_dual_fmac_f32 v5, v53, v8 :: v_dual_fmac_f32 v6, v52, v10
	s_wait_loadcnt 0x0
	v_dual_fmac_f32 v0, v52, v12 :: v_dual_fmac_f32 v3, v53, v14
	v_dual_fmac_f32 v1, v53, v12 :: v_dual_fmac_f32 v2, v52, v14
	v_fma_f32 v4, -v53, v9, v4
	v_fmac_f32_e32 v5, v52, v9
	v_fma_f32 v6, -v53, v11, v6
	v_fmac_f32_e32 v7, v52, v11
	;; [unrolled: 2-line block ×4, first 2 shown]
	s_clause 0x1
	global_store_b128 v[16:17], v[4:7], off
	global_store_b128 v[16:17], v[0:3], off offset:16
	s_nop 0
	s_sendmsg sendmsg(MSG_DEALLOC_VGPRS)
	s_endpgm
	.section	.rodata,"a",@progbits
	.p2align	6, 0x0
	.amdhsa_kernel _ZN9rocsparseL18bsrxmvn_4x4_kernelILj128ELj8E21rocsparse_complex_numIfEiifS2_S2_EEvT3_20rocsparse_direction_NS_24const_host_device_scalarIT1_EES3_PKS3_PKT2_SC_S9_PKT4_PKT5_S7_PT6_21rocsparse_index_base_b
		.amdhsa_group_segment_fixed_size 0
		.amdhsa_private_segment_fixed_size 0
		.amdhsa_kernarg_size 96
		.amdhsa_user_sgpr_count 2
		.amdhsa_user_sgpr_dispatch_ptr 0
		.amdhsa_user_sgpr_queue_ptr 0
		.amdhsa_user_sgpr_kernarg_segment_ptr 1
		.amdhsa_user_sgpr_dispatch_id 0
		.amdhsa_user_sgpr_private_segment_size 0
		.amdhsa_wavefront_size32 1
		.amdhsa_uses_dynamic_stack 0
		.amdhsa_enable_private_segment 0
		.amdhsa_system_sgpr_workgroup_id_x 1
		.amdhsa_system_sgpr_workgroup_id_y 0
		.amdhsa_system_sgpr_workgroup_id_z 0
		.amdhsa_system_sgpr_workgroup_info 0
		.amdhsa_system_vgpr_workitem_id 0
		.amdhsa_next_free_vgpr 105
		.amdhsa_next_free_sgpr 14
		.amdhsa_reserve_vcc 1
		.amdhsa_float_round_mode_32 0
		.amdhsa_float_round_mode_16_64 0
		.amdhsa_float_denorm_mode_32 3
		.amdhsa_float_denorm_mode_16_64 3
		.amdhsa_fp16_overflow 0
		.amdhsa_workgroup_processor_mode 1
		.amdhsa_memory_ordered 1
		.amdhsa_forward_progress 1
		.amdhsa_inst_pref_size 58
		.amdhsa_round_robin_scheduling 0
		.amdhsa_exception_fp_ieee_invalid_op 0
		.amdhsa_exception_fp_denorm_src 0
		.amdhsa_exception_fp_ieee_div_zero 0
		.amdhsa_exception_fp_ieee_overflow 0
		.amdhsa_exception_fp_ieee_underflow 0
		.amdhsa_exception_fp_ieee_inexact 0
		.amdhsa_exception_int_div_zero 0
	.end_amdhsa_kernel
	.section	.text._ZN9rocsparseL18bsrxmvn_4x4_kernelILj128ELj8E21rocsparse_complex_numIfEiifS2_S2_EEvT3_20rocsparse_direction_NS_24const_host_device_scalarIT1_EES3_PKS3_PKT2_SC_S9_PKT4_PKT5_S7_PT6_21rocsparse_index_base_b,"axG",@progbits,_ZN9rocsparseL18bsrxmvn_4x4_kernelILj128ELj8E21rocsparse_complex_numIfEiifS2_S2_EEvT3_20rocsparse_direction_NS_24const_host_device_scalarIT1_EES3_PKS3_PKT2_SC_S9_PKT4_PKT5_S7_PT6_21rocsparse_index_base_b,comdat
.Lfunc_end121:
	.size	_ZN9rocsparseL18bsrxmvn_4x4_kernelILj128ELj8E21rocsparse_complex_numIfEiifS2_S2_EEvT3_20rocsparse_direction_NS_24const_host_device_scalarIT1_EES3_PKS3_PKT2_SC_S9_PKT4_PKT5_S7_PT6_21rocsparse_index_base_b, .Lfunc_end121-_ZN9rocsparseL18bsrxmvn_4x4_kernelILj128ELj8E21rocsparse_complex_numIfEiifS2_S2_EEvT3_20rocsparse_direction_NS_24const_host_device_scalarIT1_EES3_PKS3_PKT2_SC_S9_PKT4_PKT5_S7_PT6_21rocsparse_index_base_b
                                        ; -- End function
	.set _ZN9rocsparseL18bsrxmvn_4x4_kernelILj128ELj8E21rocsparse_complex_numIfEiifS2_S2_EEvT3_20rocsparse_direction_NS_24const_host_device_scalarIT1_EES3_PKS3_PKT2_SC_S9_PKT4_PKT5_S7_PT6_21rocsparse_index_base_b.num_vgpr, 105
	.set _ZN9rocsparseL18bsrxmvn_4x4_kernelILj128ELj8E21rocsparse_complex_numIfEiifS2_S2_EEvT3_20rocsparse_direction_NS_24const_host_device_scalarIT1_EES3_PKS3_PKT2_SC_S9_PKT4_PKT5_S7_PT6_21rocsparse_index_base_b.num_agpr, 0
	.set _ZN9rocsparseL18bsrxmvn_4x4_kernelILj128ELj8E21rocsparse_complex_numIfEiifS2_S2_EEvT3_20rocsparse_direction_NS_24const_host_device_scalarIT1_EES3_PKS3_PKT2_SC_S9_PKT4_PKT5_S7_PT6_21rocsparse_index_base_b.numbered_sgpr, 14
	.set _ZN9rocsparseL18bsrxmvn_4x4_kernelILj128ELj8E21rocsparse_complex_numIfEiifS2_S2_EEvT3_20rocsparse_direction_NS_24const_host_device_scalarIT1_EES3_PKS3_PKT2_SC_S9_PKT4_PKT5_S7_PT6_21rocsparse_index_base_b.num_named_barrier, 0
	.set _ZN9rocsparseL18bsrxmvn_4x4_kernelILj128ELj8E21rocsparse_complex_numIfEiifS2_S2_EEvT3_20rocsparse_direction_NS_24const_host_device_scalarIT1_EES3_PKS3_PKT2_SC_S9_PKT4_PKT5_S7_PT6_21rocsparse_index_base_b.private_seg_size, 0
	.set _ZN9rocsparseL18bsrxmvn_4x4_kernelILj128ELj8E21rocsparse_complex_numIfEiifS2_S2_EEvT3_20rocsparse_direction_NS_24const_host_device_scalarIT1_EES3_PKS3_PKT2_SC_S9_PKT4_PKT5_S7_PT6_21rocsparse_index_base_b.uses_vcc, 1
	.set _ZN9rocsparseL18bsrxmvn_4x4_kernelILj128ELj8E21rocsparse_complex_numIfEiifS2_S2_EEvT3_20rocsparse_direction_NS_24const_host_device_scalarIT1_EES3_PKS3_PKT2_SC_S9_PKT4_PKT5_S7_PT6_21rocsparse_index_base_b.uses_flat_scratch, 0
	.set _ZN9rocsparseL18bsrxmvn_4x4_kernelILj128ELj8E21rocsparse_complex_numIfEiifS2_S2_EEvT3_20rocsparse_direction_NS_24const_host_device_scalarIT1_EES3_PKS3_PKT2_SC_S9_PKT4_PKT5_S7_PT6_21rocsparse_index_base_b.has_dyn_sized_stack, 0
	.set _ZN9rocsparseL18bsrxmvn_4x4_kernelILj128ELj8E21rocsparse_complex_numIfEiifS2_S2_EEvT3_20rocsparse_direction_NS_24const_host_device_scalarIT1_EES3_PKS3_PKT2_SC_S9_PKT4_PKT5_S7_PT6_21rocsparse_index_base_b.has_recursion, 0
	.set _ZN9rocsparseL18bsrxmvn_4x4_kernelILj128ELj8E21rocsparse_complex_numIfEiifS2_S2_EEvT3_20rocsparse_direction_NS_24const_host_device_scalarIT1_EES3_PKS3_PKT2_SC_S9_PKT4_PKT5_S7_PT6_21rocsparse_index_base_b.has_indirect_call, 0
	.section	.AMDGPU.csdata,"",@progbits
; Kernel info:
; codeLenInByte = 7368
; TotalNumSgprs: 16
; NumVgprs: 105
; ScratchSize: 0
; MemoryBound: 0
; FloatMode: 240
; IeeeMode: 1
; LDSByteSize: 0 bytes/workgroup (compile time only)
; SGPRBlocks: 0
; VGPRBlocks: 13
; NumSGPRsForWavesPerEU: 16
; NumVGPRsForWavesPerEU: 105
; Occupancy: 12
; WaveLimiterHint : 1
; COMPUTE_PGM_RSRC2:SCRATCH_EN: 0
; COMPUTE_PGM_RSRC2:USER_SGPR: 2
; COMPUTE_PGM_RSRC2:TRAP_HANDLER: 0
; COMPUTE_PGM_RSRC2:TGID_X_EN: 1
; COMPUTE_PGM_RSRC2:TGID_Y_EN: 0
; COMPUTE_PGM_RSRC2:TGID_Z_EN: 0
; COMPUTE_PGM_RSRC2:TIDIG_COMP_CNT: 0
	.section	.text._ZN9rocsparseL18bsrxmvn_4x4_kernelILj128ELj16E21rocsparse_complex_numIfEiifS2_S2_EEvT3_20rocsparse_direction_NS_24const_host_device_scalarIT1_EES3_PKS3_PKT2_SC_S9_PKT4_PKT5_S7_PT6_21rocsparse_index_base_b,"axG",@progbits,_ZN9rocsparseL18bsrxmvn_4x4_kernelILj128ELj16E21rocsparse_complex_numIfEiifS2_S2_EEvT3_20rocsparse_direction_NS_24const_host_device_scalarIT1_EES3_PKS3_PKT2_SC_S9_PKT4_PKT5_S7_PT6_21rocsparse_index_base_b,comdat
	.globl	_ZN9rocsparseL18bsrxmvn_4x4_kernelILj128ELj16E21rocsparse_complex_numIfEiifS2_S2_EEvT3_20rocsparse_direction_NS_24const_host_device_scalarIT1_EES3_PKS3_PKT2_SC_S9_PKT4_PKT5_S7_PT6_21rocsparse_index_base_b ; -- Begin function _ZN9rocsparseL18bsrxmvn_4x4_kernelILj128ELj16E21rocsparse_complex_numIfEiifS2_S2_EEvT3_20rocsparse_direction_NS_24const_host_device_scalarIT1_EES3_PKS3_PKT2_SC_S9_PKT4_PKT5_S7_PT6_21rocsparse_index_base_b
	.p2align	8
	.type	_ZN9rocsparseL18bsrxmvn_4x4_kernelILj128ELj16E21rocsparse_complex_numIfEiifS2_S2_EEvT3_20rocsparse_direction_NS_24const_host_device_scalarIT1_EES3_PKS3_PKT2_SC_S9_PKT4_PKT5_S7_PT6_21rocsparse_index_base_b,@function
_ZN9rocsparseL18bsrxmvn_4x4_kernelILj128ELj16E21rocsparse_complex_numIfEiifS2_S2_EEvT3_20rocsparse_direction_NS_24const_host_device_scalarIT1_EES3_PKS3_PKT2_SC_S9_PKT4_PKT5_S7_PT6_21rocsparse_index_base_b: ; @_ZN9rocsparseL18bsrxmvn_4x4_kernelILj128ELj16E21rocsparse_complex_numIfEiifS2_S2_EEvT3_20rocsparse_direction_NS_24const_host_device_scalarIT1_EES3_PKS3_PKT2_SC_S9_PKT4_PKT5_S7_PT6_21rocsparse_index_base_b
; %bb.0:
	s_clause 0x2
	s_load_b64 s[12:13], s[0:1], 0x58
	s_load_b64 s[2:3], s[0:1], 0x8
	;; [unrolled: 1-line block ×3, first 2 shown]
	s_add_nc_u64 s[6:7], s[0:1], 8
	s_wait_kmcnt 0x0
	s_bitcmp1_b32 s13, 0
	s_cselect_b32 s2, s6, s2
	s_cselect_b32 s3, s7, s3
	s_delay_alu instid0(SALU_CYCLE_1)
	v_dual_mov_b32 v1, s2 :: v_dual_mov_b32 v2, s3
	s_add_nc_u64 s[2:3], s[0:1], 0x48
	s_wait_alu 0xfffe
	s_cselect_b32 s2, s2, s4
	s_cselect_b32 s3, s3, s5
	flat_load_b64 v[54:55], v[1:2]
	s_wait_alu 0xfffe
	v_dual_mov_b32 v1, s2 :: v_dual_mov_b32 v2, s3
	flat_load_b64 v[52:53], v[1:2]
	s_wait_loadcnt_dscnt 0x101
	v_cmp_eq_f32_e32 vcc_lo, 0, v54
	v_cmp_eq_f32_e64 s2, 0, v55
	s_and_b32 s4, vcc_lo, s2
	s_mov_b32 s2, -1
	s_and_saveexec_b32 s3, s4
	s_cbranch_execz .LBB122_2
; %bb.1:
	s_wait_loadcnt_dscnt 0x0
	v_cmp_neq_f32_e32 vcc_lo, 1.0, v52
	v_cmp_neq_f32_e64 s2, 0, v53
	s_wait_alu 0xfffe
	s_or_b32 s2, vcc_lo, s2
	s_wait_alu 0xfffe
	s_or_not1_b32 s2, s2, exec_lo
.LBB122_2:
	s_wait_alu 0xfffe
	s_or_b32 exec_lo, exec_lo, s3
	s_and_saveexec_b32 s3, s2
	s_cbranch_execz .LBB122_8
; %bb.3:
	s_clause 0x1
	s_load_b64 s[4:5], s[0:1], 0x18
	s_load_b64 s[2:3], s[0:1], 0x0
	v_lshrrev_b32_e32 v1, 4, v0
	s_delay_alu instid0(VALU_DEP_1)
	v_lshl_or_b32 v56, ttmp9, 3, v1
	s_wait_kmcnt 0x0
	s_cmp_lg_u64 s[4:5], 0
	s_cbranch_scc0 .LBB122_9
; %bb.4:
	s_load_b32 s6, s[0:1], 0x10
	s_mov_b32 s7, 0
                                        ; implicit-def: $vgpr1
	s_wait_kmcnt 0x0
	v_cmp_gt_i32_e32 vcc_lo, s6, v56
	s_mov_b32 s6, 0
	s_and_saveexec_b32 s8, vcc_lo
	s_delay_alu instid0(SALU_CYCLE_1)
	s_xor_b32 s8, exec_lo, s8
	s_cbranch_execz .LBB122_6
; %bb.5:
	v_ashrrev_i32_e32 v57, 31, v56
	s_mov_b32 s6, exec_lo
	s_delay_alu instid0(VALU_DEP_1) | instskip(NEXT) | instid1(VALU_DEP_1)
	v_lshlrev_b64_e32 v[1:2], 2, v[56:57]
	v_add_co_u32 v1, vcc_lo, s4, v1
	s_delay_alu instid0(VALU_DEP_1)
	v_add_co_ci_u32_e64 v2, null, s5, v2, vcc_lo
	global_load_b32 v1, v[1:2], off
	s_wait_loadcnt 0x0
	v_subrev_nc_u32_e32 v1, s12, v1
.LBB122_6:
	s_or_b32 exec_lo, exec_lo, s8
	s_delay_alu instid0(SALU_CYCLE_1)
	s_and_b32 vcc_lo, exec_lo, s7
	s_wait_alu 0xfffe
	s_cbranch_vccz .LBB122_10
.LBB122_7:
	v_cmp_gt_i32_e32 vcc_lo, s2, v56
	s_and_not1_b32 s2, s6, exec_lo
	s_and_b32 s4, vcc_lo, exec_lo
	s_wait_alu 0xfffe
	s_or_b32 s6, s2, s4
	s_wait_alu 0xfffe
	s_and_b32 exec_lo, exec_lo, s6
	s_cbranch_execnz .LBB122_11
.LBB122_8:
	s_nop 0
	s_sendmsg sendmsg(MSG_DEALLOC_VGPRS)
	s_endpgm
.LBB122_9:
	s_mov_b32 s6, 0
                                        ; implicit-def: $vgpr1
	s_cbranch_execnz .LBB122_7
.LBB122_10:
	v_mov_b32_e32 v56, v1
	s_and_b32 exec_lo, exec_lo, s6
	s_cbranch_execz .LBB122_8
.LBB122_11:
	s_load_b256 s[4:11], s[0:1], 0x20
	s_delay_alu instid0(VALU_DEP_1) | instskip(SKIP_1) | instid1(VALU_DEP_2)
	v_ashrrev_i32_e32 v57, 31, v56
	v_and_b32_e32 v61, 15, v0
	v_lshlrev_b64_e32 v[1:2], 2, v[56:57]
	s_wait_kmcnt 0x0
	s_delay_alu instid0(VALU_DEP_1) | instskip(SKIP_1) | instid1(VALU_DEP_2)
	v_add_co_u32 v3, vcc_lo, s4, v1
	s_wait_alu 0xfffd
	v_add_co_ci_u32_e64 v4, null, s5, v2, vcc_lo
	v_add_co_u32 v1, vcc_lo, s6, v1
	s_wait_alu 0xfffd
	v_add_co_ci_u32_e64 v2, null, s7, v2, vcc_lo
	global_load_b32 v36, v[3:4], off
	v_add_co_u32 v3, vcc_lo, v3, 4
	s_wait_alu 0xfffd
	v_add_co_ci_u32_e64 v4, null, 0, v4, vcc_lo
	s_cmp_eq_u64 s[6:7], 0
	s_load_b64 s[4:5], s[0:1], 0x40
	s_cselect_b32 vcc_lo, -1, 0
	s_cmp_eq_u32 s3, 1
	s_wait_alu 0xfffe
	v_dual_cndmask_b32 v2, v2, v4 :: v_dual_cndmask_b32 v1, v1, v3
	global_load_b32 v2, v[1:2], off
	s_wait_loadcnt 0x1
	v_subrev_nc_u32_e32 v0, s12, v36
	s_delay_alu instid0(VALU_DEP_1) | instskip(NEXT) | instid1(VALU_DEP_1)
	v_add_nc_u32_e32 v57, v0, v61
	v_ashrrev_i32_e32 v58, 31, v57
	s_wait_loadcnt 0x0
	v_subrev_nc_u32_e32 v70, s12, v2
	s_delay_alu instid0(VALU_DEP_2) | instskip(NEXT) | instid1(VALU_DEP_2)
	v_lshlrev_b64_e32 v[0:1], 6, v[57:58]
	v_cmp_lt_i32_e64 s2, v57, v70
	s_delay_alu instid0(VALU_DEP_2) | instskip(SKIP_1) | instid1(VALU_DEP_3)
	v_add_co_u32 v59, vcc_lo, s10, v0
	s_wait_alu 0xfffd
	v_add_co_ci_u32_e64 v60, null, s11, v1, vcc_lo
	s_cbranch_scc1 .LBB122_23
; %bb.12:
	v_dual_mov_b32 v62, 0 :: v_dual_mov_b32 v65, 0
	v_dual_mov_b32 v64, 0 :: v_dual_mov_b32 v67, 0
	v_dual_mov_b32 v66, 0 :: v_dual_mov_b32 v69, 0
	v_dual_mov_b32 v68, 0 :: v_dual_mov_b32 v63, 0
	s_and_saveexec_b32 s3, s2
	s_cbranch_execz .LBB122_22
; %bb.13:
	v_dual_mov_b32 v63, 0 :: v_dual_add_nc_u32 v0, v36, v61
	v_not_b32_e32 v1, v36
	v_mov_b32_e32 v32, v59
	v_dual_mov_b32 v68, 0 :: v_dual_mov_b32 v67, 0
	s_delay_alu instid0(VALU_DEP_4) | instskip(SKIP_2) | instid1(VALU_DEP_3)
	v_subrev_nc_u32_e32 v0, s12, v0
	v_dual_mov_b32 v65, 0 :: v_dual_mov_b32 v64, 0
	v_dual_mov_b32 v62, 0 :: v_dual_mov_b32 v33, v60
	v_dual_mov_b32 v69, 0 :: v_dual_add_nc_u32 v0, 16, v0
	v_mov_b32_e32 v34, v57
	s_mov_b32 s6, exec_lo
	s_delay_alu instid0(VALU_DEP_2) | instskip(NEXT) | instid1(VALU_DEP_1)
	v_max_i32_e32 v0, v0, v70
	v_add3_u32 v0, s12, v0, v1
	s_delay_alu instid0(VALU_DEP_1) | instskip(NEXT) | instid1(VALU_DEP_1)
	v_sub_nc_u32_e32 v0, v0, v61
	v_dual_mov_b32 v66, 0 :: v_dual_and_b32 v1, 48, v0
	s_delay_alu instid0(VALU_DEP_1)
	v_cmpx_ne_u32_e32 48, v1
	s_cbranch_execz .LBB122_17
; %bb.14:
	v_lshrrev_b32_e32 v1, 4, v0
	v_mov_b32_e32 v62, 0
	v_dual_mov_b32 v32, v59 :: v_dual_mov_b32 v65, 0
	v_dual_mov_b32 v34, v57 :: v_dual_mov_b32 v33, v60
	s_delay_alu instid0(VALU_DEP_4) | instskip(SKIP_2) | instid1(VALU_DEP_3)
	v_dual_mov_b32 v64, 0 :: v_dual_add_nc_u32 v1, 1, v1
	v_dual_mov_b32 v66, 0 :: v_dual_mov_b32 v67, 0
	v_dual_mov_b32 v68, 0 :: v_dual_mov_b32 v69, 0
	v_and_b32_e32 v1, 3, v1
	v_mov_b32_e32 v63, 0
	s_mov_b32 s7, 0
	s_delay_alu instid0(VALU_DEP_2)
	v_sub_nc_u32_e32 v1, 0, v1
.LBB122_15:                             ; =>This Inner Loop Header: Depth=1
	v_ashrrev_i32_e32 v35, 31, v34
	s_delay_alu instid0(VALU_DEP_2) | instskip(SKIP_2) | instid1(VALU_DEP_2)
	v_add_co_u32 v1, s10, v1, 1
	s_wait_alu 0xfffe
	s_or_b32 s7, s10, s7
	v_lshlrev_b64_e32 v[2:3], 2, v[34:35]
	s_delay_alu instid0(VALU_DEP_1) | instskip(SKIP_1) | instid1(VALU_DEP_2)
	v_add_co_u32 v2, vcc_lo, s8, v2
	s_wait_alu 0xfffd
	v_add_co_ci_u32_e64 v3, null, s9, v3, vcc_lo
	global_load_b32 v18, v[2:3], off
	s_clause 0x3
	global_load_b128 v[2:5], v[32:33], off offset:48
	global_load_b128 v[6:9], v[32:33], off offset:32
	;; [unrolled: 1-line block ×3, first 2 shown]
	global_load_b128 v[14:17], v[32:33], off
	s_wait_loadcnt 0x4
	v_subrev_nc_u32_e32 v18, s12, v18
	s_delay_alu instid0(VALU_DEP_1) | instskip(NEXT) | instid1(VALU_DEP_1)
	v_lshlrev_b32_e32 v18, 2, v18
	v_ashrrev_i32_e32 v19, 31, v18
	s_delay_alu instid0(VALU_DEP_1) | instskip(SKIP_1) | instid1(VALU_DEP_1)
	v_lshlrev_b64_e32 v[18:19], 3, v[18:19]
	s_wait_kmcnt 0x0
	v_add_co_u32 v22, vcc_lo, s4, v18
	s_wait_alu 0xfffd
	s_delay_alu instid0(VALU_DEP_2)
	v_add_co_ci_u32_e64 v23, null, s5, v19, vcc_lo
	v_add_co_u32 v32, vcc_lo, 0x400, v32
	s_wait_alu 0xfffd
	v_add_co_ci_u32_e64 v33, null, 0, v33, vcc_lo
	s_clause 0x1
	global_load_b128 v[18:21], v[22:23], off
	global_load_b128 v[22:25], v[22:23], off offset:16
	s_wait_loadcnt 0x1
	v_fmac_f32_e32 v63, v2, v18
	v_fmac_f32_e32 v64, v14, v18
	;; [unrolled: 1-line block ×3, first 2 shown]
	s_delay_alu instid0(VALU_DEP_3) | instskip(NEXT) | instid1(VALU_DEP_3)
	v_dual_fmac_f32 v62, 0, v18 :: v_dual_fmac_f32 v63, 0x80000000, v19
	v_dual_fmac_f32 v65, 0, v18 :: v_dual_fmac_f32 v64, 0x80000000, v19
	s_delay_alu instid0(VALU_DEP_3) | instskip(NEXT) | instid1(VALU_DEP_3)
	v_fmac_f32_e32 v69, v2, v19
	v_dual_fmac_f32 v67, 0, v18 :: v_dual_fmac_f32 v62, v14, v19
	s_delay_alu instid0(VALU_DEP_3) | instskip(SKIP_1) | instid1(VALU_DEP_3)
	v_fmac_f32_e32 v65, v10, v19
	v_fmac_f32_e32 v66, v10, v18
	v_dual_fmac_f32 v67, v6, v19 :: v_dual_add_nc_u32 v34, 16, v34
	v_fmac_f32_e32 v63, v3, v20
	s_delay_alu instid0(VALU_DEP_3) | instskip(SKIP_1) | instid1(VALU_DEP_4)
	v_dual_fmac_f32 v65, 0, v20 :: v_dual_fmac_f32 v66, 0x80000000, v19
	v_fmac_f32_e32 v62, 0, v20
	v_dual_fmac_f32 v68, v6, v18 :: v_dual_fmac_f32 v67, 0, v20
	s_delay_alu instid0(VALU_DEP_4) | instskip(NEXT) | instid1(VALU_DEP_4)
	v_dual_fmac_f32 v64, v15, v20 :: v_dual_fmac_f32 v63, 0x80000000, v21
	v_fmac_f32_e32 v65, v11, v21
	v_fmac_f32_e32 v66, v11, v20
	v_dual_fmac_f32 v69, 0, v20 :: v_dual_fmac_f32 v62, v15, v21
	v_fmac_f32_e32 v68, 0x80000000, v19
	v_fmac_f32_e32 v64, 0x80000000, v21
	;; [unrolled: 1-line block ×3, first 2 shown]
	s_wait_loadcnt 0x0
	v_dual_fmac_f32 v69, v3, v21 :: v_dual_fmac_f32 v62, 0, v22
	v_dual_fmac_f32 v65, 0, v22 :: v_dual_fmac_f32 v66, 0x80000000, v21
	v_fmac_f32_e32 v63, v4, v22
	v_fmac_f32_e32 v64, v16, v22
	v_dual_fmac_f32 v68, v7, v20 :: v_dual_fmac_f32 v67, 0, v22
	s_delay_alu instid0(VALU_DEP_3) | instskip(SKIP_1) | instid1(VALU_DEP_3)
	v_dual_fmac_f32 v66, v12, v22 :: v_dual_fmac_f32 v63, 0x80000000, v23
	v_fmac_f32_e32 v62, v16, v23
	v_dual_fmac_f32 v68, 0x80000000, v21 :: v_dual_fmac_f32 v69, 0, v22
	s_delay_alu instid0(VALU_DEP_3) | instskip(NEXT) | instid1(VALU_DEP_3)
	v_fmac_f32_e32 v63, v5, v24
	v_dual_fmac_f32 v67, v8, v23 :: v_dual_fmac_f32 v62, 0, v24
	v_fmac_f32_e32 v64, 0x80000000, v23
	s_delay_alu instid0(VALU_DEP_4) | instskip(NEXT) | instid1(VALU_DEP_3)
	v_fmac_f32_e32 v69, v4, v23
	v_dual_fmac_f32 v66, 0x80000000, v23 :: v_dual_fmac_f32 v67, 0, v24
	s_delay_alu instid0(VALU_DEP_3) | instskip(NEXT) | instid1(VALU_DEP_3)
	v_dual_fmac_f32 v65, v12, v23 :: v_dual_fmac_f32 v64, v17, v24
	v_dual_fmac_f32 v68, v8, v22 :: v_dual_fmac_f32 v69, 0, v24
	s_delay_alu instid0(VALU_DEP_3) | instskip(NEXT) | instid1(VALU_DEP_3)
	v_fmac_f32_e32 v66, v13, v24
	v_dual_fmac_f32 v65, 0, v24 :: v_dual_fmac_f32 v64, 0x80000000, v25
	s_delay_alu instid0(VALU_DEP_3) | instskip(SKIP_1) | instid1(VALU_DEP_4)
	v_fmac_f32_e32 v68, 0x80000000, v23
	v_fmac_f32_e32 v62, v17, v25
	;; [unrolled: 1-line block ×3, first 2 shown]
	s_delay_alu instid0(VALU_DEP_4) | instskip(SKIP_3) | instid1(VALU_DEP_2)
	v_fmac_f32_e32 v65, v13, v25
	v_fmac_f32_e32 v67, v9, v25
	v_dual_fmac_f32 v68, v9, v24 :: v_dual_fmac_f32 v63, 0x80000000, v25
	v_fmac_f32_e32 v69, v5, v25
	v_fmac_f32_e32 v68, 0x80000000, v25
	s_wait_alu 0xfffe
	s_and_not1_b32 exec_lo, exec_lo, s7
	s_cbranch_execnz .LBB122_15
; %bb.16:
	s_or_b32 exec_lo, exec_lo, s7
.LBB122_17:
	s_wait_alu 0xfffe
	s_or_b32 exec_lo, exec_lo, s6
	s_delay_alu instid0(SALU_CYCLE_1)
	s_mov_b32 s6, exec_lo
	v_cmpx_lt_u32_e32 47, v0
	s_cbranch_execz .LBB122_21
; %bb.18:
	s_mov_b32 s7, 0
.LBB122_19:                             ; =>This Inner Loop Header: Depth=1
	v_ashrrev_i32_e32 v35, 31, v34
	s_clause 0xf
	global_load_b128 v[37:40], v[32:33], off offset:48
	global_load_b128 v[41:44], v[32:33], off offset:32
	;; [unrolled: 1-line block ×3, first 2 shown]
	global_load_b128 v[71:74], v[32:33], off
	global_load_b128 v[75:78], v[32:33], off offset:1072
	global_load_b128 v[79:82], v[32:33], off offset:1056
	global_load_b128 v[83:86], v[32:33], off offset:1040
	global_load_b128 v[87:90], v[32:33], off offset:1024
	global_load_b128 v[16:19], v[32:33], off offset:2096
	global_load_b128 v[20:23], v[32:33], off offset:2080
	global_load_b128 v[24:27], v[32:33], off offset:2064
	global_load_b128 v[28:31], v[32:33], off offset:2048
	global_load_b128 v[0:3], v[32:33], off offset:3120
	global_load_b128 v[4:7], v[32:33], off offset:3104
	global_load_b128 v[8:11], v[32:33], off offset:3088
	global_load_b128 v[12:15], v[32:33], off offset:3072
	v_lshlrev_b64_e32 v[49:50], 2, v[34:35]
	v_add_nc_u32_e32 v34, 64, v34
	s_delay_alu instid0(VALU_DEP_2) | instskip(SKIP_1) | instid1(VALU_DEP_3)
	v_add_co_u32 v49, vcc_lo, s8, v49
	s_wait_alu 0xfffd
	v_add_co_ci_u32_e64 v50, null, s9, v50, vcc_lo
	s_clause 0x3
	global_load_b32 v35, v[49:50], off
	global_load_b32 v51, v[49:50], off offset:64
	global_load_b32 v58, v[49:50], off offset:128
	;; [unrolled: 1-line block ×3, first 2 shown]
	s_wait_loadcnt 0x3
	v_subrev_nc_u32_e32 v35, s12, v35
	s_wait_loadcnt 0x2
	v_subrev_nc_u32_e32 v50, s12, v51
	;; [unrolled: 2-line block ×4, first 2 shown]
	v_lshlrev_b32_e32 v49, 2, v35
	v_lshlrev_b32_e32 v91, 2, v50
	v_lshlrev_b32_e32 v93, 2, v51
	s_delay_alu instid0(VALU_DEP_4) | instskip(NEXT) | instid1(VALU_DEP_4)
	v_lshlrev_b32_e32 v95, 2, v58
	v_ashrrev_i32_e32 v50, 31, v49
	s_delay_alu instid0(VALU_DEP_4) | instskip(NEXT) | instid1(VALU_DEP_4)
	v_ashrrev_i32_e32 v92, 31, v91
	v_ashrrev_i32_e32 v94, 31, v93
	s_delay_alu instid0(VALU_DEP_4) | instskip(NEXT) | instid1(VALU_DEP_4)
	v_ashrrev_i32_e32 v96, 31, v95
	v_lshlrev_b64_e32 v[49:50], 3, v[49:50]
	s_delay_alu instid0(VALU_DEP_4) | instskip(NEXT) | instid1(VALU_DEP_4)
	v_lshlrev_b64_e32 v[91:92], 3, v[91:92]
	v_lshlrev_b64_e32 v[93:94], 3, v[93:94]
	s_delay_alu instid0(VALU_DEP_4) | instskip(SKIP_1) | instid1(VALU_DEP_4)
	v_lshlrev_b64_e32 v[95:96], 3, v[95:96]
	s_wait_kmcnt 0x0
	v_add_co_u32 v49, vcc_lo, s4, v49
	s_wait_alu 0xfffd
	v_add_co_ci_u32_e64 v50, null, s5, v50, vcc_lo
	v_add_co_u32 v99, vcc_lo, s4, v91
	s_wait_alu 0xfffd
	v_add_co_ci_u32_e64 v100, null, s5, v92, vcc_lo
	;; [unrolled: 3-line block ×4, first 2 shown]
	s_clause 0x1
	global_load_b128 v[91:94], v[49:50], off
	global_load_b128 v[95:98], v[49:50], off offset:16
	v_add_co_u32 v32, vcc_lo, 0x1000, v32
	s_wait_alu 0xfffd
	v_add_co_ci_u32_e64 v33, null, 0, v33, vcc_lo
	v_cmp_ge_i32_e32 vcc_lo, v34, v70
	s_wait_alu 0xfffe
	s_or_b32 s7, vcc_lo, s7
	s_wait_loadcnt 0x1
	v_fmac_f32_e32 v68, v41, v91
	v_fmac_f32_e32 v65, 0, v91
	;; [unrolled: 1-line block ×3, first 2 shown]
	s_delay_alu instid0(VALU_DEP_3) | instskip(NEXT) | instid1(VALU_DEP_3)
	v_fmac_f32_e32 v68, 0x80000000, v92
	v_dual_fmac_f32 v62, 0, v91 :: v_dual_fmac_f32 v65, v45, v92
	s_delay_alu instid0(VALU_DEP_3) | instskip(NEXT) | instid1(VALU_DEP_3)
	v_dual_fmac_f32 v64, 0x80000000, v92 :: v_dual_fmac_f32 v67, 0, v91
	v_fmac_f32_e32 v68, v42, v93
	s_delay_alu instid0(VALU_DEP_3) | instskip(NEXT) | instid1(VALU_DEP_3)
	v_dual_fmac_f32 v62, v71, v92 :: v_dual_fmac_f32 v63, v37, v91
	v_dual_fmac_f32 v64, v72, v93 :: v_dual_fmac_f32 v67, v41, v92
	v_fmac_f32_e32 v65, 0, v93
	s_delay_alu instid0(VALU_DEP_3) | instskip(NEXT) | instid1(VALU_DEP_4)
	v_fmac_f32_e32 v62, 0, v93
	v_dual_fmac_f32 v66, v45, v91 :: v_dual_fmac_f32 v63, 0x80000000, v92
	s_delay_alu instid0(VALU_DEP_4) | instskip(NEXT) | instid1(VALU_DEP_3)
	v_dual_fmac_f32 v67, 0, v93 :: v_dual_fmac_f32 v64, 0x80000000, v94
	v_fmac_f32_e32 v62, v72, v94
	s_delay_alu instid0(VALU_DEP_3)
	v_dual_fmac_f32 v66, 0x80000000, v92 :: v_dual_fmac_f32 v69, 0, v91
	v_fmac_f32_e32 v65, v46, v94
	v_fmac_f32_e32 v68, 0x80000000, v94
	s_wait_loadcnt 0x0
	v_dual_fmac_f32 v67, v42, v94 :: v_dual_fmac_f32 v64, v73, v95
	v_dual_fmac_f32 v66, v46, v93 :: v_dual_fmac_f32 v69, v37, v92
	;; [unrolled: 1-line block ×3, first 2 shown]
	s_delay_alu instid0(VALU_DEP_3) | instskip(NEXT) | instid1(VALU_DEP_3)
	v_fmac_f32_e32 v64, 0x80000000, v96
	v_dual_fmac_f32 v66, 0x80000000, v94 :: v_dual_fmac_f32 v69, 0, v93
	s_delay_alu instid0(VALU_DEP_3) | instskip(NEXT) | instid1(VALU_DEP_3)
	v_dual_fmac_f32 v63, 0x80000000, v94 :: v_dual_fmac_f32 v62, v73, v96
	v_dual_fmac_f32 v65, 0, v95 :: v_dual_fmac_f32 v64, v74, v97
	s_delay_alu instid0(VALU_DEP_3) | instskip(SKIP_4) | instid1(VALU_DEP_3)
	v_fmac_f32_e32 v69, v38, v94
	global_load_b128 v[91:94], v[99:100], off
	v_dual_fmac_f32 v62, 0, v97 :: v_dual_fmac_f32 v65, v47, v96
	v_fmac_f32_e32 v67, 0, v95
	v_fmac_f32_e32 v63, v39, v95
	v_dual_fmac_f32 v69, 0, v95 :: v_dual_fmac_f32 v62, v74, v98
	s_delay_alu instid0(VALU_DEP_4)
	v_fmac_f32_e32 v65, 0, v97
	global_load_b128 v[71:74], v[99:100], off offset:16
	v_fmac_f32_e32 v66, v47, v95
	v_fmac_f32_e32 v67, v43, v96
	v_dual_fmac_f32 v68, v43, v95 :: v_dual_fmac_f32 v65, v48, v98
	v_dual_fmac_f32 v69, v39, v96 :: v_dual_fmac_f32 v64, 0x80000000, v98
	s_delay_alu instid0(VALU_DEP_3) | instskip(NEXT) | instid1(VALU_DEP_3)
	v_dual_fmac_f32 v66, 0x80000000, v96 :: v_dual_fmac_f32 v67, 0, v97
	v_fmac_f32_e32 v68, 0x80000000, v96
	s_delay_alu instid0(VALU_DEP_2)
	v_fmac_f32_e32 v66, v48, v97
	s_clause 0x1
	global_load_b128 v[45:48], v[101:102], off
	global_load_b128 v[99:102], v[101:102], off offset:16
	v_fmac_f32_e32 v67, v44, v98
	v_fmac_f32_e32 v68, v44, v97
	global_load_b128 v[41:44], v[103:104], off
	v_dual_fmac_f32 v63, 0x80000000, v96 :: v_dual_fmac_f32 v66, 0x80000000, v98
	v_dual_fmac_f32 v69, 0, v97 :: v_dual_fmac_f32 v68, 0x80000000, v98
	s_delay_alu instid0(VALU_DEP_2) | instskip(NEXT) | instid1(VALU_DEP_2)
	v_fmac_f32_e32 v63, v40, v97
	v_fmac_f32_e32 v69, v40, v98
	global_load_b128 v[37:40], v[103:104], off offset:16
	s_wait_loadcnt 0x5
	v_dual_fmac_f32 v64, v87, v91 :: v_dual_fmac_f32 v63, 0x80000000, v98
	v_fmac_f32_e32 v66, v83, v91
	v_fmac_f32_e32 v62, 0, v91
	s_delay_alu instid0(VALU_DEP_3) | instskip(NEXT) | instid1(VALU_DEP_3)
	v_dual_fmac_f32 v65, 0, v91 :: v_dual_fmac_f32 v64, 0x80000000, v92
	v_dual_fmac_f32 v63, v75, v91 :: v_dual_fmac_f32 v66, 0x80000000, v92
	v_fmac_f32_e32 v68, v79, v91
	s_delay_alu instid0(VALU_DEP_4) | instskip(NEXT) | instid1(VALU_DEP_3)
	v_dual_fmac_f32 v67, 0, v91 :: v_dual_fmac_f32 v62, v87, v92
	v_fmac_f32_e32 v63, 0x80000000, v92
	s_delay_alu instid0(VALU_DEP_3) | instskip(SKIP_1) | instid1(VALU_DEP_4)
	v_dual_fmac_f32 v69, 0, v91 :: v_dual_fmac_f32 v68, 0x80000000, v92
	v_dual_fmac_f32 v65, v83, v92 :: v_dual_fmac_f32 v64, v88, v93
	;; [unrolled: 1-line block ×3, first 2 shown]
	s_delay_alu instid0(VALU_DEP_3) | instskip(SKIP_1) | instid1(VALU_DEP_4)
	v_dual_fmac_f32 v69, v75, v92 :: v_dual_fmac_f32 v66, v84, v93
	v_fmac_f32_e32 v63, v76, v93
	v_dual_fmac_f32 v65, 0, v93 :: v_dual_fmac_f32 v64, 0x80000000, v94
	s_delay_alu instid0(VALU_DEP_4) | instskip(NEXT) | instid1(VALU_DEP_4)
	v_dual_fmac_f32 v67, 0, v93 :: v_dual_fmac_f32 v62, v88, v94
	v_fmac_f32_e32 v66, 0x80000000, v94
	s_delay_alu instid0(VALU_DEP_4) | instskip(SKIP_3) | instid1(VALU_DEP_3)
	v_dual_fmac_f32 v68, v80, v93 :: v_dual_fmac_f32 v63, 0x80000000, v94
	v_fmac_f32_e32 v69, 0, v93
	s_wait_loadcnt 0x4
	v_dual_fmac_f32 v65, v84, v94 :: v_dual_fmac_f32 v64, v89, v71
	v_fmac_f32_e32 v68, 0x80000000, v94
	v_dual_fmac_f32 v67, v80, v94 :: v_dual_fmac_f32 v62, 0, v71
	v_dual_fmac_f32 v69, v76, v94 :: v_dual_fmac_f32 v66, v85, v71
	v_fmac_f32_e32 v63, v77, v71
	v_dual_fmac_f32 v65, 0, v71 :: v_dual_fmac_f32 v64, 0x80000000, v72
	s_delay_alu instid0(VALU_DEP_4) | instskip(NEXT) | instid1(VALU_DEP_4)
	v_dual_fmac_f32 v67, 0, v71 :: v_dual_fmac_f32 v62, v89, v72
	v_fmac_f32_e32 v66, 0x80000000, v72
	s_delay_alu instid0(VALU_DEP_4) | instskip(SKIP_2) | instid1(VALU_DEP_3)
	v_dual_fmac_f32 v68, v81, v71 :: v_dual_fmac_f32 v63, 0x80000000, v72
	v_fmac_f32_e32 v69, 0, v71
	v_dual_fmac_f32 v65, v85, v72 :: v_dual_fmac_f32 v64, v90, v73
	v_fmac_f32_e32 v68, 0x80000000, v72
	v_dual_fmac_f32 v67, v81, v72 :: v_dual_fmac_f32 v62, 0, v73
	s_delay_alu instid0(VALU_DEP_4) | instskip(SKIP_2) | instid1(VALU_DEP_4)
	v_dual_fmac_f32 v69, v77, v72 :: v_dual_fmac_f32 v66, v86, v73
	v_fmac_f32_e32 v63, v78, v73
	v_dual_fmac_f32 v65, 0, v73 :: v_dual_fmac_f32 v64, 0x80000000, v74
	v_dual_fmac_f32 v67, 0, v73 :: v_dual_fmac_f32 v62, v90, v74
	s_delay_alu instid0(VALU_DEP_4) | instskip(NEXT) | instid1(VALU_DEP_4)
	v_fmac_f32_e32 v66, 0x80000000, v74
	v_dual_fmac_f32 v68, v82, v73 :: v_dual_fmac_f32 v63, 0x80000000, v74
	v_fmac_f32_e32 v69, 0, v73
	s_wait_loadcnt 0x3
	v_dual_fmac_f32 v65, v86, v74 :: v_dual_fmac_f32 v64, v28, v45
	s_delay_alu instid0(VALU_DEP_3) | instskip(SKIP_4) | instid1(VALU_DEP_4)
	v_fmac_f32_e32 v68, 0x80000000, v74
	v_dual_fmac_f32 v67, v82, v74 :: v_dual_fmac_f32 v62, 0, v45
	v_dual_fmac_f32 v69, v78, v74 :: v_dual_fmac_f32 v66, v24, v45
	v_fmac_f32_e32 v63, v16, v45
	v_dual_fmac_f32 v65, 0, v45 :: v_dual_fmac_f32 v64, 0x80000000, v46
	v_dual_fmac_f32 v67, 0, v45 :: v_dual_fmac_f32 v62, v28, v46
	s_delay_alu instid0(VALU_DEP_4) | instskip(NEXT) | instid1(VALU_DEP_4)
	v_fmac_f32_e32 v66, 0x80000000, v46
	v_dual_fmac_f32 v68, v20, v45 :: v_dual_fmac_f32 v63, 0x80000000, v46
	v_fmac_f32_e32 v69, 0, v45
	v_dual_fmac_f32 v65, v24, v46 :: v_dual_fmac_f32 v64, v29, v47
	s_delay_alu instid0(VALU_DEP_3) | instskip(SKIP_1) | instid1(VALU_DEP_4)
	v_fmac_f32_e32 v68, 0x80000000, v46
	v_dual_fmac_f32 v67, v20, v46 :: v_dual_fmac_f32 v62, 0, v47
	v_dual_fmac_f32 v69, v16, v46 :: v_dual_fmac_f32 v66, v25, v47
	v_fmac_f32_e32 v63, v17, v47
	v_dual_fmac_f32 v65, 0, v47 :: v_dual_fmac_f32 v64, 0x80000000, v48
	s_delay_alu instid0(VALU_DEP_4) | instskip(NEXT) | instid1(VALU_DEP_4)
	v_dual_fmac_f32 v67, 0, v47 :: v_dual_fmac_f32 v62, v29, v48
	v_fmac_f32_e32 v66, 0x80000000, v48
	s_delay_alu instid0(VALU_DEP_4) | instskip(SKIP_3) | instid1(VALU_DEP_3)
	v_dual_fmac_f32 v68, v21, v47 :: v_dual_fmac_f32 v63, 0x80000000, v48
	v_fmac_f32_e32 v69, 0, v47
	s_wait_loadcnt 0x2
	v_dual_fmac_f32 v65, v25, v48 :: v_dual_fmac_f32 v64, v30, v99
	v_fmac_f32_e32 v68, 0x80000000, v48
	v_dual_fmac_f32 v67, v21, v48 :: v_dual_fmac_f32 v62, 0, v99
	v_dual_fmac_f32 v69, v17, v48 :: v_dual_fmac_f32 v66, v26, v99
	v_fmac_f32_e32 v63, v18, v99
	v_dual_fmac_f32 v65, 0, v99 :: v_dual_fmac_f32 v64, 0x80000000, v100
	s_delay_alu instid0(VALU_DEP_4) | instskip(NEXT) | instid1(VALU_DEP_4)
	v_dual_fmac_f32 v67, 0, v99 :: v_dual_fmac_f32 v62, v30, v100
	v_fmac_f32_e32 v66, 0x80000000, v100
	s_delay_alu instid0(VALU_DEP_4) | instskip(SKIP_2) | instid1(VALU_DEP_3)
	v_dual_fmac_f32 v68, v22, v99 :: v_dual_fmac_f32 v63, 0x80000000, v100
	v_fmac_f32_e32 v69, 0, v99
	v_dual_fmac_f32 v65, v26, v100 :: v_dual_fmac_f32 v64, v31, v101
	v_fmac_f32_e32 v68, 0x80000000, v100
	v_dual_fmac_f32 v67, v22, v100 :: v_dual_fmac_f32 v62, 0, v101
	s_delay_alu instid0(VALU_DEP_4) | instskip(SKIP_2) | instid1(VALU_DEP_4)
	v_dual_fmac_f32 v69, v18, v100 :: v_dual_fmac_f32 v66, v27, v101
	v_fmac_f32_e32 v63, v19, v101
	v_dual_fmac_f32 v65, 0, v101 :: v_dual_fmac_f32 v64, 0x80000000, v102
	v_dual_fmac_f32 v67, 0, v101 :: v_dual_fmac_f32 v62, v31, v102
	s_delay_alu instid0(VALU_DEP_4) | instskip(NEXT) | instid1(VALU_DEP_4)
	v_fmac_f32_e32 v66, 0x80000000, v102
	v_dual_fmac_f32 v68, v23, v101 :: v_dual_fmac_f32 v63, 0x80000000, v102
	v_fmac_f32_e32 v69, 0, v101
	s_wait_loadcnt 0x1
	v_dual_fmac_f32 v65, v27, v102 :: v_dual_fmac_f32 v64, v12, v41
	s_delay_alu instid0(VALU_DEP_3) | instskip(SKIP_4) | instid1(VALU_DEP_4)
	v_fmac_f32_e32 v68, 0x80000000, v102
	v_dual_fmac_f32 v67, v23, v102 :: v_dual_fmac_f32 v62, 0, v41
	v_dual_fmac_f32 v69, v19, v102 :: v_dual_fmac_f32 v66, v8, v41
	v_fmac_f32_e32 v63, v0, v41
	v_dual_fmac_f32 v65, 0, v41 :: v_dual_fmac_f32 v64, 0x80000000, v42
	v_dual_fmac_f32 v67, 0, v41 :: v_dual_fmac_f32 v62, v12, v42
	s_delay_alu instid0(VALU_DEP_4) | instskip(NEXT) | instid1(VALU_DEP_4)
	v_fmac_f32_e32 v66, 0x80000000, v42
	v_dual_fmac_f32 v68, v4, v41 :: v_dual_fmac_f32 v63, 0x80000000, v42
	v_fmac_f32_e32 v69, 0, v41
	v_dual_fmac_f32 v65, v8, v42 :: v_dual_fmac_f32 v64, v13, v43
	s_delay_alu instid0(VALU_DEP_3) | instskip(SKIP_1) | instid1(VALU_DEP_4)
	v_fmac_f32_e32 v68, 0x80000000, v42
	v_dual_fmac_f32 v67, v4, v42 :: v_dual_fmac_f32 v62, 0, v43
	v_dual_fmac_f32 v69, v0, v42 :: v_dual_fmac_f32 v66, v9, v43
	v_fmac_f32_e32 v63, v1, v43
	v_dual_fmac_f32 v65, 0, v43 :: v_dual_fmac_f32 v64, 0x80000000, v44
	s_delay_alu instid0(VALU_DEP_4) | instskip(NEXT) | instid1(VALU_DEP_4)
	v_dual_fmac_f32 v67, 0, v43 :: v_dual_fmac_f32 v62, v13, v44
	v_fmac_f32_e32 v66, 0x80000000, v44
	s_delay_alu instid0(VALU_DEP_4) | instskip(SKIP_3) | instid1(VALU_DEP_3)
	v_dual_fmac_f32 v68, v5, v43 :: v_dual_fmac_f32 v63, 0x80000000, v44
	v_fmac_f32_e32 v69, 0, v43
	s_wait_loadcnt 0x0
	v_dual_fmac_f32 v65, v9, v44 :: v_dual_fmac_f32 v64, v14, v37
	v_fmac_f32_e32 v68, 0x80000000, v44
	v_dual_fmac_f32 v67, v5, v44 :: v_dual_fmac_f32 v62, 0, v37
	v_dual_fmac_f32 v69, v1, v44 :: v_dual_fmac_f32 v66, v10, v37
	v_fmac_f32_e32 v63, v2, v37
	v_dual_fmac_f32 v65, 0, v37 :: v_dual_fmac_f32 v64, 0x80000000, v38
	s_delay_alu instid0(VALU_DEP_4) | instskip(NEXT) | instid1(VALU_DEP_4)
	v_dual_fmac_f32 v67, 0, v37 :: v_dual_fmac_f32 v62, v14, v38
	v_fmac_f32_e32 v66, 0x80000000, v38
	s_delay_alu instid0(VALU_DEP_4) | instskip(SKIP_2) | instid1(VALU_DEP_3)
	v_dual_fmac_f32 v68, v6, v37 :: v_dual_fmac_f32 v63, 0x80000000, v38
	v_fmac_f32_e32 v69, 0, v37
	v_dual_fmac_f32 v65, v10, v38 :: v_dual_fmac_f32 v64, v15, v39
	v_fmac_f32_e32 v68, 0x80000000, v38
	v_dual_fmac_f32 v67, v6, v38 :: v_dual_fmac_f32 v62, 0, v39
	s_delay_alu instid0(VALU_DEP_4) | instskip(SKIP_2) | instid1(VALU_DEP_4)
	v_dual_fmac_f32 v69, v2, v38 :: v_dual_fmac_f32 v66, v11, v39
	v_fmac_f32_e32 v63, v3, v39
	v_dual_fmac_f32 v65, 0, v39 :: v_dual_fmac_f32 v64, 0x80000000, v40
	v_dual_fmac_f32 v67, 0, v39 :: v_dual_fmac_f32 v62, v15, v40
	s_delay_alu instid0(VALU_DEP_4) | instskip(NEXT) | instid1(VALU_DEP_4)
	v_fmac_f32_e32 v66, 0x80000000, v40
	v_dual_fmac_f32 v68, v7, v39 :: v_dual_fmac_f32 v63, 0x80000000, v40
	v_fmac_f32_e32 v69, 0, v39
	v_fmac_f32_e32 v65, v11, v40
	;; [unrolled: 1-line block ×3, first 2 shown]
	s_delay_alu instid0(VALU_DEP_4) | instskip(NEXT) | instid1(VALU_DEP_4)
	v_fmac_f32_e32 v68, 0x80000000, v40
	v_fmac_f32_e32 v69, v3, v40
	s_wait_alu 0xfffe
	s_and_not1_b32 exec_lo, exec_lo, s7
	s_cbranch_execnz .LBB122_19
; %bb.20:
	s_or_b32 exec_lo, exec_lo, s7
.LBB122_21:
	s_wait_alu 0xfffe
	s_or_b32 exec_lo, exec_lo, s6
.LBB122_22:
	s_wait_alu 0xfffe
	s_or_b32 exec_lo, exec_lo, s3
	s_cbranch_execz .LBB122_24
	s_branch .LBB122_35
.LBB122_23:
                                        ; implicit-def: $vgpr62
                                        ; implicit-def: $vgpr64
                                        ; implicit-def: $vgpr65
                                        ; implicit-def: $vgpr66
                                        ; implicit-def: $vgpr67
                                        ; implicit-def: $vgpr68
                                        ; implicit-def: $vgpr69
                                        ; implicit-def: $vgpr63
.LBB122_24:
	v_dual_mov_b32 v62, 0 :: v_dual_mov_b32 v65, 0
	v_dual_mov_b32 v64, 0 :: v_dual_mov_b32 v67, 0
	;; [unrolled: 1-line block ×4, first 2 shown]
	s_and_saveexec_b32 s3, s2
	s_cbranch_execz .LBB122_34
; %bb.25:
	v_dual_mov_b32 v63, 0 :: v_dual_add_nc_u32 v0, v36, v61
	v_not_b32_e32 v1, v36
	v_dual_mov_b32 v67, 0 :: v_dual_mov_b32 v66, 0
	s_delay_alu instid0(VALU_DEP_3) | instskip(SKIP_3) | instid1(VALU_DEP_3)
	v_subrev_nc_u32_e32 v0, s12, v0
	v_dual_mov_b32 v65, 0 :: v_dual_mov_b32 v64, 0
	v_mov_b32_e32 v62, 0
	s_mov_b32 s2, exec_lo
	v_dual_mov_b32 v69, 0 :: v_dual_add_nc_u32 v0, 16, v0
	s_delay_alu instid0(VALU_DEP_1) | instskip(NEXT) | instid1(VALU_DEP_1)
	v_max_i32_e32 v0, v0, v70
	v_add3_u32 v0, s12, v0, v1
	s_delay_alu instid0(VALU_DEP_1) | instskip(NEXT) | instid1(VALU_DEP_1)
	v_sub_nc_u32_e32 v0, v0, v61
	v_dual_mov_b32 v68, 0 :: v_dual_and_b32 v1, 48, v0
	s_delay_alu instid0(VALU_DEP_1)
	v_cmpx_ne_u32_e32 48, v1
	s_cbranch_execz .LBB122_29
; %bb.26:
	v_lshrrev_b32_e32 v1, 4, v0
	v_dual_mov_b32 v64, 0 :: v_dual_mov_b32 v65, 0
	v_dual_mov_b32 v67, 0 :: v_dual_mov_b32 v68, 0
	s_delay_alu instid0(VALU_DEP_3) | instskip(SKIP_3) | instid1(VALU_DEP_3)
	v_dual_mov_b32 v62, 0 :: v_dual_add_nc_u32 v1, 1, v1
	v_mov_b32_e32 v69, 0
	v_mov_b32_e32 v63, 0
	s_mov_b32 s6, 0
	v_dual_mov_b32 v66, 0 :: v_dual_and_b32 v1, 3, v1
	s_delay_alu instid0(VALU_DEP_1)
	v_sub_nc_u32_e32 v1, 0, v1
.LBB122_27:                             ; =>This Inner Loop Header: Depth=1
	v_ashrrev_i32_e32 v58, 31, v57
	s_delay_alu instid0(VALU_DEP_2) | instskip(SKIP_2) | instid1(VALU_DEP_2)
	v_add_co_u32 v1, s7, v1, 1
	s_wait_alu 0xfffe
	s_or_b32 s6, s7, s6
	v_lshlrev_b64_e32 v[2:3], 2, v[57:58]
	s_delay_alu instid0(VALU_DEP_1) | instskip(SKIP_1) | instid1(VALU_DEP_2)
	v_add_co_u32 v2, vcc_lo, s8, v2
	s_wait_alu 0xfffd
	v_add_co_ci_u32_e64 v3, null, s9, v3, vcc_lo
	global_load_b32 v10, v[2:3], off
	s_clause 0x1
	global_load_b128 v[2:5], v[59:60], off offset:16
	global_load_b128 v[6:9], v[59:60], off
	s_wait_loadcnt 0x2
	v_subrev_nc_u32_e32 v10, s12, v10
	s_delay_alu instid0(VALU_DEP_1) | instskip(NEXT) | instid1(VALU_DEP_1)
	v_lshlrev_b32_e32 v10, 2, v10
	v_ashrrev_i32_e32 v11, 31, v10
	s_delay_alu instid0(VALU_DEP_1) | instskip(SKIP_1) | instid1(VALU_DEP_1)
	v_lshlrev_b64_e32 v[10:11], 3, v[10:11]
	s_wait_kmcnt 0x0
	v_add_co_u32 v14, vcc_lo, s4, v10
	s_wait_alu 0xfffd
	s_delay_alu instid0(VALU_DEP_2)
	v_add_co_ci_u32_e64 v15, null, s5, v11, vcc_lo
	s_clause 0x1
	global_load_b128 v[10:13], v[14:15], off
	global_load_b128 v[14:17], v[14:15], off offset:16
	s_clause 0x1
	global_load_b128 v[18:21], v[59:60], off offset:32
	global_load_b128 v[22:25], v[59:60], off offset:48
	v_add_nc_u32_e32 v57, 16, v57
	v_add_co_u32 v59, vcc_lo, 0x400, v59
	s_wait_alu 0xfffd
	v_add_co_ci_u32_e64 v60, null, 0, v60, vcc_lo
	s_wait_loadcnt 0x3
	v_fmac_f32_e32 v64, v6, v10
	v_fmac_f32_e32 v65, 0, v10
	;; [unrolled: 1-line block ×15, first 2 shown]
	v_dual_fmac_f32 v68, 0x80000000, v11 :: v_dual_fmac_f32 v65, 0, v12
	v_fmac_f32_e32 v64, v2, v12
	v_fmac_f32_e32 v67, 0, v12
	;; [unrolled: 1-line block ×6, first 2 shown]
	v_dual_fmac_f32 v68, v4, v12 :: v_dual_fmac_f32 v65, v3, v13
	v_fmac_f32_e32 v64, 0x80000000, v13
	v_fmac_f32_e32 v67, v4, v13
	;; [unrolled: 1-line block ×6, first 2 shown]
	s_wait_loadcnt 0x2
	v_dual_fmac_f32 v68, 0x80000000, v13 :: v_dual_fmac_f32 v65, 0, v14
	s_wait_loadcnt 0x1
	v_fmac_f32_e32 v64, v18, v14
	v_fmac_f32_e32 v67, 0, v14
	;; [unrolled: 1-line block ×6, first 2 shown]
	v_dual_fmac_f32 v68, v20, v14 :: v_dual_fmac_f32 v65, v19, v15
	v_fmac_f32_e32 v64, 0x80000000, v15
	v_fmac_f32_e32 v67, v20, v15
	;; [unrolled: 1-line block ×6, first 2 shown]
	v_dual_fmac_f32 v68, 0x80000000, v15 :: v_dual_fmac_f32 v65, 0, v16
	s_wait_loadcnt 0x0
	v_fmac_f32_e32 v64, v22, v16
	v_fmac_f32_e32 v67, 0, v16
	;; [unrolled: 1-line block ×6, first 2 shown]
	v_dual_fmac_f32 v68, v24, v16 :: v_dual_fmac_f32 v65, v23, v17
	v_fmac_f32_e32 v64, 0x80000000, v17
	v_fmac_f32_e32 v67, v24, v17
	;; [unrolled: 1-line block ×7, first 2 shown]
	s_wait_alu 0xfffe
	s_and_not1_b32 exec_lo, exec_lo, s6
	s_cbranch_execnz .LBB122_27
; %bb.28:
	s_or_b32 exec_lo, exec_lo, s6
.LBB122_29:
	s_wait_alu 0xfffe
	s_or_b32 exec_lo, exec_lo, s2
	s_delay_alu instid0(SALU_CYCLE_1)
	s_mov_b32 s2, exec_lo
	v_cmpx_lt_u32_e32 47, v0
	s_cbranch_execz .LBB122_33
; %bb.30:
	s_mov_b32 s6, 0
.LBB122_31:                             ; =>This Inner Loop Header: Depth=1
	v_ashrrev_i32_e32 v58, 31, v57
	s_clause 0xe
	global_load_b128 v[16:19], v[59:60], off offset:48
	global_load_b128 v[24:27], v[59:60], off offset:32
	;; [unrolled: 1-line block ×3, first 2 shown]
	global_load_b128 v[40:43], v[59:60], off
	global_load_b128 v[0:3], v[59:60], off offset:1072
	global_load_b128 v[4:7], v[59:60], off offset:1056
	;; [unrolled: 1-line block ×11, first 2 shown]
	v_lshlrev_b64_e32 v[79:80], 2, v[57:58]
	s_delay_alu instid0(VALU_DEP_1) | instskip(SKIP_1) | instid1(VALU_DEP_2)
	v_add_co_u32 v79, vcc_lo, s8, v79
	s_wait_alu 0xfffd
	v_add_co_ci_u32_e64 v80, null, s9, v80, vcc_lo
	s_clause 0x3
	global_load_b32 v58, v[79:80], off
	global_load_b32 v81, v[79:80], off offset:64
	global_load_b32 v82, v[79:80], off offset:128
	;; [unrolled: 1-line block ×3, first 2 shown]
	s_wait_loadcnt 0x3
	v_subrev_nc_u32_e32 v58, s12, v58
	s_wait_loadcnt 0x2
	v_subrev_nc_u32_e32 v80, s12, v81
	;; [unrolled: 2-line block ×4, first 2 shown]
	v_lshlrev_b32_e32 v79, 2, v58
	v_lshlrev_b32_e32 v81, 2, v80
	;; [unrolled: 1-line block ×3, first 2 shown]
	s_delay_alu instid0(VALU_DEP_4) | instskip(NEXT) | instid1(VALU_DEP_4)
	v_lshlrev_b32_e32 v85, 2, v84
	v_ashrrev_i32_e32 v80, 31, v79
	s_delay_alu instid0(VALU_DEP_4) | instskip(NEXT) | instid1(VALU_DEP_4)
	v_ashrrev_i32_e32 v82, 31, v81
	v_ashrrev_i32_e32 v84, 31, v83
	s_delay_alu instid0(VALU_DEP_4) | instskip(NEXT) | instid1(VALU_DEP_4)
	v_ashrrev_i32_e32 v86, 31, v85
	v_lshlrev_b64_e32 v[79:80], 3, v[79:80]
	s_delay_alu instid0(VALU_DEP_4) | instskip(NEXT) | instid1(VALU_DEP_4)
	v_lshlrev_b64_e32 v[81:82], 3, v[81:82]
	v_lshlrev_b64_e32 v[83:84], 3, v[83:84]
	s_delay_alu instid0(VALU_DEP_4) | instskip(SKIP_1) | instid1(VALU_DEP_4)
	v_lshlrev_b64_e32 v[85:86], 3, v[85:86]
	s_wait_kmcnt 0x0
	v_add_co_u32 v87, vcc_lo, s4, v79
	s_wait_alu 0xfffd
	v_add_co_ci_u32_e64 v88, null, s5, v80, vcc_lo
	v_add_co_u32 v91, vcc_lo, s4, v81
	s_wait_alu 0xfffd
	v_add_co_ci_u32_e64 v92, null, s5, v82, vcc_lo
	;; [unrolled: 3-line block ×4, first 2 shown]
	s_clause 0x2
	global_load_b128 v[79:82], v[87:88], off
	global_load_b128 v[83:86], v[87:88], off offset:16
	global_load_b128 v[87:90], v[91:92], off
	s_wait_loadcnt 0x2
	v_fmac_f32_e32 v64, v40, v79
	v_fmac_f32_e32 v65, 0, v79
	;; [unrolled: 1-line block ×4, first 2 shown]
	s_delay_alu instid0(VALU_DEP_4) | instskip(NEXT) | instid1(VALU_DEP_4)
	v_dual_fmac_f32 v67, 0, v79 :: v_dual_fmac_f32 v64, 0x80000000, v80
	v_dual_fmac_f32 v68, v42, v79 :: v_dual_fmac_f32 v65, v41, v80
	v_fmac_f32_e32 v69, 0, v79
	s_delay_alu instid0(VALU_DEP_3)
	v_dual_fmac_f32 v63, v43, v79 :: v_dual_fmac_f32 v64, v32, v81
	v_fmac_f32_e32 v62, v40, v80
	v_fmac_f32_e32 v66, 0x80000000, v80
	;; [unrolled: 1-line block ×5, first 2 shown]
	global_load_b128 v[40:43], v[91:92], off offset:16
	v_dual_fmac_f32 v63, 0x80000000, v80 :: v_dual_fmac_f32 v62, 0, v81
	v_fmac_f32_e32 v66, v33, v81
	v_fmac_f32_e32 v65, 0, v81
	v_dual_fmac_f32 v67, 0, v81 :: v_dual_fmac_f32 v64, 0x80000000, v82
	s_delay_alu instid0(VALU_DEP_3)
	v_dual_fmac_f32 v69, 0, v81 :: v_dual_fmac_f32 v66, 0x80000000, v82
	v_fmac_f32_e32 v68, v34, v81
	v_dual_fmac_f32 v63, v35, v81 :: v_dual_fmac_f32 v62, v32, v82
	s_wait_loadcnt 0x2
	v_dual_fmac_f32 v65, v33, v82 :: v_dual_fmac_f32 v64, v24, v83
	v_fmac_f32_e32 v67, v34, v82
	v_dual_fmac_f32 v69, v35, v82 :: v_dual_fmac_f32 v66, v25, v83
	s_clause 0x1
	global_load_b128 v[32:35], v[93:94], off
	global_load_b128 v[91:94], v[93:94], off offset:16
	v_fmac_f32_e32 v68, 0x80000000, v82
	v_fmac_f32_e32 v63, 0x80000000, v82
	global_load_b128 v[79:82], v[95:96], off
	v_fmac_f32_e32 v62, 0, v83
	v_fmac_f32_e32 v65, 0, v83
	v_dual_fmac_f32 v67, 0, v83 :: v_dual_fmac_f32 v64, 0x80000000, v84
	v_dual_fmac_f32 v69, 0, v83 :: v_dual_fmac_f32 v66, 0x80000000, v84
	v_fmac_f32_e32 v68, v26, v83
	v_dual_fmac_f32 v63, v27, v83 :: v_dual_fmac_f32 v62, v24, v84
	s_delay_alu instid0(VALU_DEP_4)
	v_dual_fmac_f32 v65, v25, v84 :: v_dual_fmac_f32 v64, v16, v85
	v_fmac_f32_e32 v67, v26, v84
	v_dual_fmac_f32 v69, v27, v84 :: v_dual_fmac_f32 v66, v17, v85
	global_load_b128 v[24:27], v[95:96], off offset:16
	v_fmac_f32_e32 v68, 0x80000000, v84
	v_dual_fmac_f32 v63, 0x80000000, v84 :: v_dual_fmac_f32 v62, 0, v85
	v_fmac_f32_e32 v65, 0, v85
	v_dual_fmac_f32 v67, 0, v85 :: v_dual_fmac_f32 v64, 0x80000000, v86
	v_dual_fmac_f32 v69, 0, v85 :: v_dual_fmac_f32 v66, 0x80000000, v86
	v_fmac_f32_e32 v68, v18, v85
	v_dual_fmac_f32 v63, v19, v85 :: v_dual_fmac_f32 v62, v16, v86
	s_wait_loadcnt 0x5
	v_dual_fmac_f32 v65, v17, v86 :: v_dual_fmac_f32 v64, v12, v87
	v_fmac_f32_e32 v67, v18, v86
	v_dual_fmac_f32 v69, v19, v86 :: v_dual_fmac_f32 v66, v13, v87
	global_load_b128 v[16:19], v[59:60], off offset:3120
	v_fmac_f32_e32 v68, 0x80000000, v86
	v_dual_fmac_f32 v63, 0x80000000, v86 :: v_dual_fmac_f32 v64, 0x80000000, v88
	v_fmac_f32_e32 v62, 0, v87
	v_fmac_f32_e32 v65, 0, v87
	;; [unrolled: 1-line block ×3, first 2 shown]
	v_dual_fmac_f32 v67, 0, v87 :: v_dual_fmac_f32 v66, 0x80000000, v88
	s_delay_alu instid0(VALU_DEP_4) | instskip(NEXT) | instid1(VALU_DEP_4)
	v_fmac_f32_e32 v62, v12, v88
	v_dual_fmac_f32 v65, v13, v88 :: v_dual_fmac_f32 v64, v8, v89
	s_delay_alu instid0(VALU_DEP_4) | instskip(NEXT) | instid1(VALU_DEP_4)
	v_fmac_f32_e32 v69, v15, v88
	v_dual_fmac_f32 v67, v14, v88 :: v_dual_fmac_f32 v66, v9, v89
	s_delay_alu instid0(VALU_DEP_4) | instskip(NEXT) | instid1(VALU_DEP_4)
	v_fmac_f32_e32 v62, 0, v89
	v_dual_fmac_f32 v65, 0, v89 :: v_dual_fmac_f32 v64, 0x80000000, v90
	s_delay_alu instid0(VALU_DEP_4) | instskip(SKIP_1) | instid1(VALU_DEP_4)
	v_fmac_f32_e32 v69, 0, v89
	v_dual_fmac_f32 v68, v14, v87 :: v_dual_add_nc_u32 v57, 64, v57
	v_fmac_f32_e32 v62, v8, v90
	s_delay_alu instid0(VALU_DEP_4) | instskip(SKIP_4) | instid1(VALU_DEP_4)
	v_fmac_f32_e32 v65, v9, v90
	v_fmac_f32_e32 v63, v15, v87
	v_dual_fmac_f32 v67, 0, v89 :: v_dual_fmac_f32 v66, 0x80000000, v90
	v_fmac_f32_e32 v68, 0x80000000, v88
	v_add_co_u32 v59, vcc_lo, 0x1000, v59
	v_fmac_f32_e32 v63, 0x80000000, v88
	s_delay_alu instid0(VALU_DEP_4) | instskip(NEXT) | instid1(VALU_DEP_4)
	v_fmac_f32_e32 v67, v10, v90
	v_fmac_f32_e32 v68, v10, v89
	s_wait_alu 0xfffd
	v_add_co_ci_u32_e64 v60, null, 0, v60, vcc_lo
	v_fmac_f32_e32 v63, v11, v89
	v_cmp_ge_i32_e32 vcc_lo, v57, v70
	v_fmac_f32_e32 v68, 0x80000000, v90
	s_delay_alu instid0(VALU_DEP_3)
	v_fmac_f32_e32 v63, 0x80000000, v90
	s_wait_alu 0xfffe
	s_or_b32 s6, vcc_lo, s6
	s_wait_loadcnt 0x5
	v_dual_fmac_f32 v64, v4, v40 :: v_dual_fmac_f32 v69, v11, v90
	v_fmac_f32_e32 v62, 0, v40
	v_fmac_f32_e32 v65, 0, v40
	;; [unrolled: 1-line block ×3, first 2 shown]
	s_delay_alu instid0(VALU_DEP_4) | instskip(NEXT) | instid1(VALU_DEP_4)
	v_dual_fmac_f32 v64, 0x80000000, v41 :: v_dual_fmac_f32 v69, 0, v40
	v_fmac_f32_e32 v62, v4, v41
	s_delay_alu instid0(VALU_DEP_4) | instskip(NEXT) | instid1(VALU_DEP_4)
	v_fmac_f32_e32 v65, v5, v41
	v_dual_fmac_f32 v67, 0, v40 :: v_dual_fmac_f32 v66, 0x80000000, v41
	s_delay_alu instid0(VALU_DEP_4) | instskip(NEXT) | instid1(VALU_DEP_4)
	v_dual_fmac_f32 v64, v0, v42 :: v_dual_fmac_f32 v69, v7, v41
	v_fmac_f32_e32 v62, 0, v42
	s_delay_alu instid0(VALU_DEP_4) | instskip(NEXT) | instid1(VALU_DEP_4)
	v_fmac_f32_e32 v65, 0, v42
	v_dual_fmac_f32 v67, v6, v41 :: v_dual_fmac_f32 v66, v1, v42
	s_delay_alu instid0(VALU_DEP_4) | instskip(NEXT) | instid1(VALU_DEP_4)
	v_dual_fmac_f32 v64, 0x80000000, v43 :: v_dual_fmac_f32 v69, 0, v42
	v_fmac_f32_e32 v62, v0, v43
	s_delay_alu instid0(VALU_DEP_4) | instskip(SKIP_1) | instid1(VALU_DEP_3)
	v_dual_fmac_f32 v65, v1, v43 :: v_dual_fmac_f32 v68, v6, v40
	s_wait_loadcnt 0x4
	v_fmac_f32_e32 v64, v44, v32
	v_fmac_f32_e32 v63, v7, v40
	v_dual_fmac_f32 v67, 0, v42 :: v_dual_fmac_f32 v66, 0x80000000, v43
	s_delay_alu instid0(VALU_DEP_3)
	v_dual_fmac_f32 v69, v3, v43 :: v_dual_fmac_f32 v64, 0x80000000, v33
	v_fmac_f32_e32 v62, 0, v32
	v_dual_fmac_f32 v65, 0, v32 :: v_dual_fmac_f32 v68, 0x80000000, v41
	v_fmac_f32_e32 v63, 0x80000000, v41
	v_dual_fmac_f32 v67, v2, v43 :: v_dual_fmac_f32 v66, v45, v32
	v_dual_fmac_f32 v69, 0, v32 :: v_dual_fmac_f32 v64, v36, v34
	v_fmac_f32_e32 v62, v44, v33
	v_dual_fmac_f32 v65, v45, v33 :: v_dual_fmac_f32 v68, v2, v42
	v_fmac_f32_e32 v63, v3, v42
	v_dual_fmac_f32 v67, 0, v32 :: v_dual_fmac_f32 v66, 0x80000000, v33
	;; [unrolled: 5-line block ×3, first 2 shown]
	s_wait_loadcnt 0x3
	v_dual_fmac_f32 v69, 0, v34 :: v_dual_fmac_f32 v64, v28, v91
	v_fmac_f32_e32 v62, v36, v35
	v_dual_fmac_f32 v65, v37, v35 :: v_dual_fmac_f32 v68, v46, v32
	v_fmac_f32_e32 v63, v47, v32
	v_dual_fmac_f32 v67, 0, v34 :: v_dual_fmac_f32 v66, 0x80000000, v35
	s_delay_alu instid0(VALU_DEP_3) | instskip(NEXT) | instid1(VALU_DEP_4)
	v_dual_fmac_f32 v64, 0x80000000, v92 :: v_dual_fmac_f32 v65, 0, v91
	v_fmac_f32_e32 v68, 0x80000000, v33
	s_delay_alu instid0(VALU_DEP_4) | instskip(NEXT) | instid1(VALU_DEP_3)
	v_fmac_f32_e32 v63, 0x80000000, v33
	v_fmac_f32_e32 v64, v20, v93
	s_delay_alu instid0(VALU_DEP_4) | instskip(SKIP_2) | instid1(VALU_DEP_3)
	v_dual_fmac_f32 v62, 0, v91 :: v_dual_fmac_f32 v65, v29, v92
	v_fmac_f32_e32 v67, v38, v35
	v_fmac_f32_e32 v68, v38, v34
	v_dual_fmac_f32 v63, v39, v34 :: v_dual_fmac_f32 v62, v28, v92
	s_delay_alu instid0(VALU_DEP_3) | instskip(NEXT) | instid1(VALU_DEP_3)
	v_dual_fmac_f32 v64, 0x80000000, v94 :: v_dual_fmac_f32 v67, 0, v91
	v_fmac_f32_e32 v68, 0x80000000, v35
	s_delay_alu instid0(VALU_DEP_3) | instskip(NEXT) | instid1(VALU_DEP_3)
	v_fmac_f32_e32 v62, 0, v93
	v_dual_fmac_f32 v66, v29, v91 :: v_dual_fmac_f32 v67, v30, v92
	v_fmac_f32_e32 v63, 0x80000000, v35
	s_delay_alu instid0(VALU_DEP_3) | instskip(NEXT) | instid1(VALU_DEP_3)
	v_dual_fmac_f32 v65, 0, v93 :: v_dual_fmac_f32 v62, v20, v94
	v_fmac_f32_e32 v66, 0x80000000, v92
	s_wait_loadcnt 0x2
	v_fmac_f32_e32 v64, v71, v79
	v_fmac_f32_e32 v63, v31, v91
	v_dual_fmac_f32 v65, v21, v94 :: v_dual_fmac_f32 v62, 0, v79
	v_fmac_f32_e32 v66, v21, v93
	s_delay_alu instid0(VALU_DEP_3) | instskip(SKIP_1) | instid1(VALU_DEP_3)
	v_dual_fmac_f32 v68, v30, v91 :: v_dual_fmac_f32 v63, 0x80000000, v92
	v_fmac_f32_e32 v69, v39, v35
	v_dual_fmac_f32 v67, 0, v93 :: v_dual_fmac_f32 v66, 0x80000000, v94
	s_delay_alu instid0(VALU_DEP_3) | instskip(NEXT) | instid1(VALU_DEP_3)
	v_dual_fmac_f32 v68, 0x80000000, v92 :: v_dual_fmac_f32 v65, 0, v79
	v_dual_fmac_f32 v62, v71, v80 :: v_dual_fmac_f32 v69, 0, v91
	s_delay_alu instid0(VALU_DEP_3) | instskip(NEXT) | instid1(VALU_DEP_3)
	v_dual_fmac_f32 v67, v22, v94 :: v_dual_fmac_f32 v66, v72, v79
	v_fmac_f32_e32 v68, v22, v93
	v_fmac_f32_e32 v63, v23, v93
	s_delay_alu instid0(VALU_DEP_4) | instskip(NEXT) | instid1(VALU_DEP_4)
	v_fmac_f32_e32 v69, v31, v92
	v_dual_fmac_f32 v67, 0, v79 :: v_dual_fmac_f32 v66, 0x80000000, v80
	s_delay_alu instid0(VALU_DEP_4) | instskip(NEXT) | instid1(VALU_DEP_4)
	v_fmac_f32_e32 v68, 0x80000000, v94
	v_fmac_f32_e32 v63, 0x80000000, v94
	s_delay_alu instid0(VALU_DEP_4) | instskip(SKIP_1) | instid1(VALU_DEP_2)
	v_dual_fmac_f32 v69, 0, v93 :: v_dual_fmac_f32 v64, 0x80000000, v80
	v_dual_fmac_f32 v65, v72, v80 :: v_dual_fmac_f32 v62, 0, v81
	;; [unrolled: 1-line block ×3, first 2 shown]
	s_delay_alu instid0(VALU_DEP_3) | instskip(SKIP_1) | instid1(VALU_DEP_3)
	v_dual_fmac_f32 v63, v74, v79 :: v_dual_fmac_f32 v64, v48, v81
	v_fmac_f32_e32 v66, v49, v81
	v_dual_fmac_f32 v68, 0x80000000, v80 :: v_dual_fmac_f32 v69, 0, v79
	v_fmac_f32_e32 v67, v73, v80
	s_delay_alu instid0(VALU_DEP_4) | instskip(SKIP_1) | instid1(VALU_DEP_4)
	v_fmac_f32_e32 v63, 0x80000000, v80
	v_dual_fmac_f32 v65, 0, v81 :: v_dual_fmac_f32 v62, v48, v82
	v_dual_fmac_f32 v69, v74, v80 :: v_dual_fmac_f32 v64, 0x80000000, v82
	v_fmac_f32_e32 v68, v50, v81
	v_dual_fmac_f32 v67, 0, v81 :: v_dual_fmac_f32 v66, 0x80000000, v82
	v_fmac_f32_e32 v63, v51, v81
	s_wait_loadcnt 0x1
	v_dual_fmac_f32 v69, 0, v81 :: v_dual_fmac_f32 v64, v75, v24
	v_dual_fmac_f32 v65, v49, v82 :: v_dual_fmac_f32 v62, 0, v24
	v_fmac_f32_e32 v68, 0x80000000, v82
	v_dual_fmac_f32 v67, v50, v82 :: v_dual_fmac_f32 v66, v76, v24
	v_fmac_f32_e32 v63, 0x80000000, v82
	v_dual_fmac_f32 v69, v51, v82 :: v_dual_fmac_f32 v64, 0x80000000, v25
	v_dual_fmac_f32 v65, 0, v24 :: v_dual_fmac_f32 v62, v75, v25
	v_fmac_f32_e32 v68, v77, v24
	v_dual_fmac_f32 v67, 0, v24 :: v_dual_fmac_f32 v66, 0x80000000, v25
	v_fmac_f32_e32 v63, v78, v24
	s_wait_loadcnt 0x0
	v_dual_fmac_f32 v69, 0, v24 :: v_dual_fmac_f32 v64, v16, v26
	v_dual_fmac_f32 v65, v76, v25 :: v_dual_fmac_f32 v62, 0, v26
	v_fmac_f32_e32 v68, 0x80000000, v25
	v_fmac_f32_e32 v67, v77, v25
	v_dual_fmac_f32 v63, 0x80000000, v25 :: v_dual_fmac_f32 v66, v17, v26
	v_dual_fmac_f32 v69, v78, v25 :: v_dual_fmac_f32 v64, 0x80000000, v27
	;; [unrolled: 1-line block ×3, first 2 shown]
	v_fmac_f32_e32 v68, v18, v26
	s_delay_alu instid0(VALU_DEP_4)
	v_dual_fmac_f32 v67, 0, v26 :: v_dual_fmac_f32 v66, 0x80000000, v27
	v_fmac_f32_e32 v63, v19, v26
	v_fmac_f32_e32 v69, 0, v26
	;; [unrolled: 1-line block ×7, first 2 shown]
	s_wait_alu 0xfffe
	s_and_not1_b32 exec_lo, exec_lo, s6
	s_cbranch_execnz .LBB122_31
; %bb.32:
	s_or_b32 exec_lo, exec_lo, s6
.LBB122_33:
	s_wait_alu 0xfffe
	s_or_b32 exec_lo, exec_lo, s2
.LBB122_34:
	s_wait_alu 0xfffe
	s_or_b32 exec_lo, exec_lo, s3
.LBB122_35:
	v_mbcnt_lo_u32_b32 v0, -1, 0
	s_delay_alu instid0(VALU_DEP_1) | instskip(SKIP_2) | instid1(VALU_DEP_3)
	v_xor_b32_e32 v1, 8, v0
	v_xor_b32_e32 v9, 4, v0
	;; [unrolled: 1-line block ×3, first 2 shown]
	v_cmp_gt_i32_e32 vcc_lo, 32, v1
	s_wait_alu 0xfffd
	v_cndmask_b32_e32 v1, v0, v1, vcc_lo
	v_cmp_gt_i32_e32 vcc_lo, 32, v9
	s_delay_alu instid0(VALU_DEP_2)
	v_lshlrev_b32_e32 v1, 2, v1
	ds_bpermute_b32 v2, v1, v64
	s_wait_dscnt 0x0
	v_add_f32_e32 v2, v64, v2
	ds_bpermute_b32 v4, v1, v66
	ds_bpermute_b32 v6, v1, v68
	;; [unrolled: 1-line block ×3, first 2 shown]
	s_wait_alu 0xfffd
	v_cndmask_b32_e32 v9, v0, v9, vcc_lo
	ds_bpermute_b32 v3, v1, v62
	ds_bpermute_b32 v5, v1, v65
	;; [unrolled: 1-line block ×4, first 2 shown]
	v_cmp_gt_i32_e32 vcc_lo, 32, v17
	s_wait_dscnt 0x6
	s_wait_alu 0xfffd
	v_dual_cndmask_b32 v17, v0, v17 :: v_dual_add_f32 v4, v66, v4
	s_wait_dscnt 0x5
	v_add_f32_e32 v6, v68, v6
	s_wait_dscnt 0x4
	v_dual_add_f32 v8, v63, v8 :: v_dual_lshlrev_b32 v9, 2, v9
	ds_bpermute_b32 v10, v9, v2
	ds_bpermute_b32 v12, v9, v4
	ds_bpermute_b32 v14, v9, v6
	ds_bpermute_b32 v16, v9, v8
	s_wait_dscnt 0x7
	v_add_f32_e32 v3, v62, v3
	s_wait_dscnt 0x6
	v_add_f32_e32 v5, v65, v5
	;; [unrolled: 2-line block ×3, first 2 shown]
	s_wait_dscnt 0x3
	v_dual_add_f32 v1, v69, v1 :: v_dual_add_f32 v2, v2, v10
	ds_bpermute_b32 v13, v9, v5
	s_wait_dscnt 0x3
	v_add_f32_e32 v4, v4, v12
	ds_bpermute_b32 v11, v9, v3
	s_wait_dscnt 0x3
	v_add_f32_e32 v6, v6, v14
	ds_bpermute_b32 v15, v9, v7
	s_wait_dscnt 0x3
	v_add_f32_e32 v8, v8, v16
	ds_bpermute_b32 v9, v9, v1
	v_lshlrev_b32_e32 v17, 2, v17
	s_wait_dscnt 0x2
	v_add_f32_e32 v3, v3, v11
	ds_bpermute_b32 v11, v17, v4
	s_wait_dscnt 0x1
	v_add_f32_e32 v9, v1, v9
	ds_bpermute_b32 v1, v17, v2
	v_add_f32_e32 v7, v7, v15
	ds_bpermute_b32 v15, v17, v8
	;; [unrolled: 2-line block ×3, first 2 shown]
	ds_bpermute_b32 v13, v17, v6
	ds_bpermute_b32 v14, v17, v7
	ds_bpermute_b32 v16, v17, v9
	ds_bpermute_b32 v12, v17, v5
	v_xor_b32_e32 v17, 1, v0
	s_delay_alu instid0(VALU_DEP_1) | instskip(SKIP_4) | instid1(VALU_DEP_2)
	v_cmp_gt_i32_e32 vcc_lo, 32, v17
	s_wait_alu 0xfffd
	v_cndmask_b32_e32 v0, v0, v17, vcc_lo
	v_cmp_eq_u32_e32 vcc_lo, 15, v61
	s_wait_dscnt 0x6
	v_dual_add_f32 v0, v2, v1 :: v_dual_lshlrev_b32 v17, 2, v0
	s_wait_dscnt 0x4
	v_dual_add_f32 v1, v3, v10 :: v_dual_add_f32 v2, v4, v11
	s_wait_dscnt 0x3
	v_add_f32_e32 v4, v6, v13
	s_wait_dscnt 0x0
	v_dual_add_f32 v6, v8, v15 :: v_dual_add_f32 v3, v5, v12
	v_add_f32_e32 v5, v7, v14
	v_add_f32_e32 v7, v9, v16
	ds_bpermute_b32 v8, v17, v0
	ds_bpermute_b32 v9, v17, v1
	;; [unrolled: 1-line block ×8, first 2 shown]
	s_and_b32 exec_lo, exec_lo, vcc_lo
	s_cbranch_execz .LBB122_8
; %bb.36:
	s_load_b64 s[2:3], s[0:1], 0x50
	s_wait_dscnt 0x7
	v_add_f32_e32 v8, v0, v8
	s_wait_dscnt 0x4
	v_dual_add_f32 v0, v1, v9 :: v_dual_add_f32 v1, v3, v11
	s_wait_dscnt 0x2
	v_dual_add_f32 v9, v2, v10 :: v_dual_add_f32 v2, v5, v13
	;; [unrolled: 2-line block ×3, first 2 shown]
	v_add_f32_e32 v11, v6, v14
	v_mul_f32_e64 v4, v0, -v55
	v_mul_f32_e32 v5, v54, v0
	v_mul_f32_e64 v6, v1, -v55
	v_mul_f32_e32 v7, v54, v1
	;; [unrolled: 2-line block ×4, first 2 shown]
	v_cmp_eq_f32_e32 vcc_lo, 0, v52
	v_cmp_eq_f32_e64 s0, 0, v53
	v_fmac_f32_e32 v4, v54, v8
	v_dual_fmac_f32 v5, v55, v8 :: v_dual_fmac_f32 v6, v54, v9
	v_dual_fmac_f32 v7, v55, v9 :: v_dual_lshlrev_b32 v8, 2, v56
	v_dual_fmac_f32 v0, v54, v10 :: v_dual_fmac_f32 v3, v55, v11
	v_dual_fmac_f32 v1, v55, v10 :: v_dual_fmac_f32 v2, v54, v11
	s_and_b32 s0, vcc_lo, s0
	s_wait_alu 0xfffe
	s_and_saveexec_b32 s1, s0
	s_wait_alu 0xfffe
	s_xor_b32 s0, exec_lo, s1
	s_cbranch_execz .LBB122_38
; %bb.37:
	v_ashrrev_i32_e32 v9, 31, v8
                                        ; implicit-def: $vgpr52_vgpr53
	s_delay_alu instid0(VALU_DEP_1) | instskip(SKIP_1) | instid1(VALU_DEP_1)
	v_lshlrev_b64_e32 v[8:9], 3, v[8:9]
	s_wait_kmcnt 0x0
	v_add_co_u32 v8, vcc_lo, s2, v8
	s_wait_alu 0xfffd
	s_delay_alu instid0(VALU_DEP_2)
	v_add_co_ci_u32_e64 v9, null, s3, v9, vcc_lo
	s_clause 0x1
	global_store_b128 v[8:9], v[4:7], off
	global_store_b128 v[8:9], v[0:3], off offset:16
                                        ; implicit-def: $vgpr4
                                        ; implicit-def: $vgpr8
                                        ; implicit-def: $vgpr0
.LBB122_38:
	s_wait_alu 0xfffe
	s_and_not1_saveexec_b32 s0, s0
	s_cbranch_execz .LBB122_8
; %bb.39:
	v_ashrrev_i32_e32 v9, 31, v8
	s_delay_alu instid0(VALU_DEP_1) | instskip(SKIP_1) | instid1(VALU_DEP_1)
	v_lshlrev_b64_e32 v[8:9], 3, v[8:9]
	s_wait_kmcnt 0x0
	v_add_co_u32 v16, vcc_lo, s2, v8
	s_wait_alu 0xfffd
	s_delay_alu instid0(VALU_DEP_2)
	v_add_co_ci_u32_e64 v17, null, s3, v9, vcc_lo
	s_clause 0x1
	global_load_b128 v[8:11], v[16:17], off
	global_load_b128 v[12:15], v[16:17], off offset:16
	s_wait_loadcnt 0x1
	v_dual_fmac_f32 v4, v52, v8 :: v_dual_fmac_f32 v7, v53, v10
	v_dual_fmac_f32 v5, v53, v8 :: v_dual_fmac_f32 v6, v52, v10
	s_wait_loadcnt 0x0
	v_dual_fmac_f32 v0, v52, v12 :: v_dual_fmac_f32 v3, v53, v14
	v_dual_fmac_f32 v1, v53, v12 :: v_dual_fmac_f32 v2, v52, v14
	v_fma_f32 v4, -v53, v9, v4
	v_fmac_f32_e32 v5, v52, v9
	v_fma_f32 v6, -v53, v11, v6
	v_fmac_f32_e32 v7, v52, v11
	;; [unrolled: 2-line block ×4, first 2 shown]
	s_clause 0x1
	global_store_b128 v[16:17], v[4:7], off
	global_store_b128 v[16:17], v[0:3], off offset:16
	s_nop 0
	s_sendmsg sendmsg(MSG_DEALLOC_VGPRS)
	s_endpgm
	.section	.rodata,"a",@progbits
	.p2align	6, 0x0
	.amdhsa_kernel _ZN9rocsparseL18bsrxmvn_4x4_kernelILj128ELj16E21rocsparse_complex_numIfEiifS2_S2_EEvT3_20rocsparse_direction_NS_24const_host_device_scalarIT1_EES3_PKS3_PKT2_SC_S9_PKT4_PKT5_S7_PT6_21rocsparse_index_base_b
		.amdhsa_group_segment_fixed_size 0
		.amdhsa_private_segment_fixed_size 0
		.amdhsa_kernarg_size 96
		.amdhsa_user_sgpr_count 2
		.amdhsa_user_sgpr_dispatch_ptr 0
		.amdhsa_user_sgpr_queue_ptr 0
		.amdhsa_user_sgpr_kernarg_segment_ptr 1
		.amdhsa_user_sgpr_dispatch_id 0
		.amdhsa_user_sgpr_private_segment_size 0
		.amdhsa_wavefront_size32 1
		.amdhsa_uses_dynamic_stack 0
		.amdhsa_enable_private_segment 0
		.amdhsa_system_sgpr_workgroup_id_x 1
		.amdhsa_system_sgpr_workgroup_id_y 0
		.amdhsa_system_sgpr_workgroup_id_z 0
		.amdhsa_system_sgpr_workgroup_info 0
		.amdhsa_system_vgpr_workitem_id 0
		.amdhsa_next_free_vgpr 105
		.amdhsa_next_free_sgpr 14
		.amdhsa_reserve_vcc 1
		.amdhsa_float_round_mode_32 0
		.amdhsa_float_round_mode_16_64 0
		.amdhsa_float_denorm_mode_32 3
		.amdhsa_float_denorm_mode_16_64 3
		.amdhsa_fp16_overflow 0
		.amdhsa_workgroup_processor_mode 1
		.amdhsa_memory_ordered 1
		.amdhsa_forward_progress 1
		.amdhsa_inst_pref_size 59
		.amdhsa_round_robin_scheduling 0
		.amdhsa_exception_fp_ieee_invalid_op 0
		.amdhsa_exception_fp_denorm_src 0
		.amdhsa_exception_fp_ieee_div_zero 0
		.amdhsa_exception_fp_ieee_overflow 0
		.amdhsa_exception_fp_ieee_underflow 0
		.amdhsa_exception_fp_ieee_inexact 0
		.amdhsa_exception_int_div_zero 0
	.end_amdhsa_kernel
	.section	.text._ZN9rocsparseL18bsrxmvn_4x4_kernelILj128ELj16E21rocsparse_complex_numIfEiifS2_S2_EEvT3_20rocsparse_direction_NS_24const_host_device_scalarIT1_EES3_PKS3_PKT2_SC_S9_PKT4_PKT5_S7_PT6_21rocsparse_index_base_b,"axG",@progbits,_ZN9rocsparseL18bsrxmvn_4x4_kernelILj128ELj16E21rocsparse_complex_numIfEiifS2_S2_EEvT3_20rocsparse_direction_NS_24const_host_device_scalarIT1_EES3_PKS3_PKT2_SC_S9_PKT4_PKT5_S7_PT6_21rocsparse_index_base_b,comdat
.Lfunc_end122:
	.size	_ZN9rocsparseL18bsrxmvn_4x4_kernelILj128ELj16E21rocsparse_complex_numIfEiifS2_S2_EEvT3_20rocsparse_direction_NS_24const_host_device_scalarIT1_EES3_PKS3_PKT2_SC_S9_PKT4_PKT5_S7_PT6_21rocsparse_index_base_b, .Lfunc_end122-_ZN9rocsparseL18bsrxmvn_4x4_kernelILj128ELj16E21rocsparse_complex_numIfEiifS2_S2_EEvT3_20rocsparse_direction_NS_24const_host_device_scalarIT1_EES3_PKS3_PKT2_SC_S9_PKT4_PKT5_S7_PT6_21rocsparse_index_base_b
                                        ; -- End function
	.set _ZN9rocsparseL18bsrxmvn_4x4_kernelILj128ELj16E21rocsparse_complex_numIfEiifS2_S2_EEvT3_20rocsparse_direction_NS_24const_host_device_scalarIT1_EES3_PKS3_PKT2_SC_S9_PKT4_PKT5_S7_PT6_21rocsparse_index_base_b.num_vgpr, 105
	.set _ZN9rocsparseL18bsrxmvn_4x4_kernelILj128ELj16E21rocsparse_complex_numIfEiifS2_S2_EEvT3_20rocsparse_direction_NS_24const_host_device_scalarIT1_EES3_PKS3_PKT2_SC_S9_PKT4_PKT5_S7_PT6_21rocsparse_index_base_b.num_agpr, 0
	.set _ZN9rocsparseL18bsrxmvn_4x4_kernelILj128ELj16E21rocsparse_complex_numIfEiifS2_S2_EEvT3_20rocsparse_direction_NS_24const_host_device_scalarIT1_EES3_PKS3_PKT2_SC_S9_PKT4_PKT5_S7_PT6_21rocsparse_index_base_b.numbered_sgpr, 14
	.set _ZN9rocsparseL18bsrxmvn_4x4_kernelILj128ELj16E21rocsparse_complex_numIfEiifS2_S2_EEvT3_20rocsparse_direction_NS_24const_host_device_scalarIT1_EES3_PKS3_PKT2_SC_S9_PKT4_PKT5_S7_PT6_21rocsparse_index_base_b.num_named_barrier, 0
	.set _ZN9rocsparseL18bsrxmvn_4x4_kernelILj128ELj16E21rocsparse_complex_numIfEiifS2_S2_EEvT3_20rocsparse_direction_NS_24const_host_device_scalarIT1_EES3_PKS3_PKT2_SC_S9_PKT4_PKT5_S7_PT6_21rocsparse_index_base_b.private_seg_size, 0
	.set _ZN9rocsparseL18bsrxmvn_4x4_kernelILj128ELj16E21rocsparse_complex_numIfEiifS2_S2_EEvT3_20rocsparse_direction_NS_24const_host_device_scalarIT1_EES3_PKS3_PKT2_SC_S9_PKT4_PKT5_S7_PT6_21rocsparse_index_base_b.uses_vcc, 1
	.set _ZN9rocsparseL18bsrxmvn_4x4_kernelILj128ELj16E21rocsparse_complex_numIfEiifS2_S2_EEvT3_20rocsparse_direction_NS_24const_host_device_scalarIT1_EES3_PKS3_PKT2_SC_S9_PKT4_PKT5_S7_PT6_21rocsparse_index_base_b.uses_flat_scratch, 0
	.set _ZN9rocsparseL18bsrxmvn_4x4_kernelILj128ELj16E21rocsparse_complex_numIfEiifS2_S2_EEvT3_20rocsparse_direction_NS_24const_host_device_scalarIT1_EES3_PKS3_PKT2_SC_S9_PKT4_PKT5_S7_PT6_21rocsparse_index_base_b.has_dyn_sized_stack, 0
	.set _ZN9rocsparseL18bsrxmvn_4x4_kernelILj128ELj16E21rocsparse_complex_numIfEiifS2_S2_EEvT3_20rocsparse_direction_NS_24const_host_device_scalarIT1_EES3_PKS3_PKT2_SC_S9_PKT4_PKT5_S7_PT6_21rocsparse_index_base_b.has_recursion, 0
	.set _ZN9rocsparseL18bsrxmvn_4x4_kernelILj128ELj16E21rocsparse_complex_numIfEiifS2_S2_EEvT3_20rocsparse_direction_NS_24const_host_device_scalarIT1_EES3_PKS3_PKT2_SC_S9_PKT4_PKT5_S7_PT6_21rocsparse_index_base_b.has_indirect_call, 0
	.section	.AMDGPU.csdata,"",@progbits
; Kernel info:
; codeLenInByte = 7512
; TotalNumSgprs: 16
; NumVgprs: 105
; ScratchSize: 0
; MemoryBound: 0
; FloatMode: 240
; IeeeMode: 1
; LDSByteSize: 0 bytes/workgroup (compile time only)
; SGPRBlocks: 0
; VGPRBlocks: 13
; NumSGPRsForWavesPerEU: 16
; NumVGPRsForWavesPerEU: 105
; Occupancy: 12
; WaveLimiterHint : 1
; COMPUTE_PGM_RSRC2:SCRATCH_EN: 0
; COMPUTE_PGM_RSRC2:USER_SGPR: 2
; COMPUTE_PGM_RSRC2:TRAP_HANDLER: 0
; COMPUTE_PGM_RSRC2:TGID_X_EN: 1
; COMPUTE_PGM_RSRC2:TGID_Y_EN: 0
; COMPUTE_PGM_RSRC2:TGID_Z_EN: 0
; COMPUTE_PGM_RSRC2:TIDIG_COMP_CNT: 0
	.section	.text._ZN9rocsparseL18bsrxmvn_4x4_kernelILj128ELj32E21rocsparse_complex_numIfEiifS2_S2_EEvT3_20rocsparse_direction_NS_24const_host_device_scalarIT1_EES3_PKS3_PKT2_SC_S9_PKT4_PKT5_S7_PT6_21rocsparse_index_base_b,"axG",@progbits,_ZN9rocsparseL18bsrxmvn_4x4_kernelILj128ELj32E21rocsparse_complex_numIfEiifS2_S2_EEvT3_20rocsparse_direction_NS_24const_host_device_scalarIT1_EES3_PKS3_PKT2_SC_S9_PKT4_PKT5_S7_PT6_21rocsparse_index_base_b,comdat
	.globl	_ZN9rocsparseL18bsrxmvn_4x4_kernelILj128ELj32E21rocsparse_complex_numIfEiifS2_S2_EEvT3_20rocsparse_direction_NS_24const_host_device_scalarIT1_EES3_PKS3_PKT2_SC_S9_PKT4_PKT5_S7_PT6_21rocsparse_index_base_b ; -- Begin function _ZN9rocsparseL18bsrxmvn_4x4_kernelILj128ELj32E21rocsparse_complex_numIfEiifS2_S2_EEvT3_20rocsparse_direction_NS_24const_host_device_scalarIT1_EES3_PKS3_PKT2_SC_S9_PKT4_PKT5_S7_PT6_21rocsparse_index_base_b
	.p2align	8
	.type	_ZN9rocsparseL18bsrxmvn_4x4_kernelILj128ELj32E21rocsparse_complex_numIfEiifS2_S2_EEvT3_20rocsparse_direction_NS_24const_host_device_scalarIT1_EES3_PKS3_PKT2_SC_S9_PKT4_PKT5_S7_PT6_21rocsparse_index_base_b,@function
_ZN9rocsparseL18bsrxmvn_4x4_kernelILj128ELj32E21rocsparse_complex_numIfEiifS2_S2_EEvT3_20rocsparse_direction_NS_24const_host_device_scalarIT1_EES3_PKS3_PKT2_SC_S9_PKT4_PKT5_S7_PT6_21rocsparse_index_base_b: ; @_ZN9rocsparseL18bsrxmvn_4x4_kernelILj128ELj32E21rocsparse_complex_numIfEiifS2_S2_EEvT3_20rocsparse_direction_NS_24const_host_device_scalarIT1_EES3_PKS3_PKT2_SC_S9_PKT4_PKT5_S7_PT6_21rocsparse_index_base_b
; %bb.0:
	s_clause 0x2
	s_load_b64 s[12:13], s[0:1], 0x58
	s_load_b64 s[2:3], s[0:1], 0x8
	;; [unrolled: 1-line block ×3, first 2 shown]
	s_add_nc_u64 s[6:7], s[0:1], 8
	s_wait_kmcnt 0x0
	s_bitcmp1_b32 s13, 0
	s_cselect_b32 s2, s6, s2
	s_cselect_b32 s3, s7, s3
	s_delay_alu instid0(SALU_CYCLE_1)
	v_dual_mov_b32 v1, s2 :: v_dual_mov_b32 v2, s3
	s_add_nc_u64 s[2:3], s[0:1], 0x48
	s_wait_alu 0xfffe
	s_cselect_b32 s2, s2, s4
	s_cselect_b32 s3, s3, s5
	flat_load_b64 v[54:55], v[1:2]
	s_wait_alu 0xfffe
	v_dual_mov_b32 v1, s2 :: v_dual_mov_b32 v2, s3
	flat_load_b64 v[52:53], v[1:2]
	s_wait_loadcnt_dscnt 0x101
	v_cmp_eq_f32_e32 vcc_lo, 0, v54
	v_cmp_eq_f32_e64 s2, 0, v55
	s_and_b32 s4, vcc_lo, s2
	s_mov_b32 s2, -1
	s_and_saveexec_b32 s3, s4
	s_cbranch_execz .LBB123_2
; %bb.1:
	s_wait_loadcnt_dscnt 0x0
	v_cmp_neq_f32_e32 vcc_lo, 1.0, v52
	v_cmp_neq_f32_e64 s2, 0, v53
	s_wait_alu 0xfffe
	s_or_b32 s2, vcc_lo, s2
	s_wait_alu 0xfffe
	s_or_not1_b32 s2, s2, exec_lo
.LBB123_2:
	s_wait_alu 0xfffe
	s_or_b32 exec_lo, exec_lo, s3
	s_and_saveexec_b32 s3, s2
	s_cbranch_execz .LBB123_8
; %bb.3:
	s_clause 0x1
	s_load_b64 s[4:5], s[0:1], 0x18
	s_load_b64 s[2:3], s[0:1], 0x0
	v_lshrrev_b32_e32 v1, 5, v0
	s_delay_alu instid0(VALU_DEP_1)
	v_lshl_or_b32 v56, ttmp9, 2, v1
	s_wait_kmcnt 0x0
	s_cmp_lg_u64 s[4:5], 0
	s_cbranch_scc0 .LBB123_9
; %bb.4:
	s_load_b32 s6, s[0:1], 0x10
	s_mov_b32 s7, 0
                                        ; implicit-def: $vgpr1
	s_wait_kmcnt 0x0
	v_cmp_gt_i32_e32 vcc_lo, s6, v56
	s_mov_b32 s6, 0
	s_and_saveexec_b32 s8, vcc_lo
	s_delay_alu instid0(SALU_CYCLE_1)
	s_xor_b32 s8, exec_lo, s8
	s_cbranch_execz .LBB123_6
; %bb.5:
	v_ashrrev_i32_e32 v57, 31, v56
	s_mov_b32 s6, exec_lo
	s_delay_alu instid0(VALU_DEP_1) | instskip(NEXT) | instid1(VALU_DEP_1)
	v_lshlrev_b64_e32 v[1:2], 2, v[56:57]
	v_add_co_u32 v1, vcc_lo, s4, v1
	s_delay_alu instid0(VALU_DEP_1)
	v_add_co_ci_u32_e64 v2, null, s5, v2, vcc_lo
	global_load_b32 v1, v[1:2], off
	s_wait_loadcnt 0x0
	v_subrev_nc_u32_e32 v1, s12, v1
.LBB123_6:
	s_or_b32 exec_lo, exec_lo, s8
	s_delay_alu instid0(SALU_CYCLE_1)
	s_and_b32 vcc_lo, exec_lo, s7
	s_wait_alu 0xfffe
	s_cbranch_vccz .LBB123_10
.LBB123_7:
	v_cmp_gt_i32_e32 vcc_lo, s2, v56
	s_and_not1_b32 s2, s6, exec_lo
	s_and_b32 s4, vcc_lo, exec_lo
	s_wait_alu 0xfffe
	s_or_b32 s6, s2, s4
	s_wait_alu 0xfffe
	s_and_b32 exec_lo, exec_lo, s6
	s_cbranch_execnz .LBB123_11
.LBB123_8:
	s_nop 0
	s_sendmsg sendmsg(MSG_DEALLOC_VGPRS)
	s_endpgm
.LBB123_9:
	s_mov_b32 s6, 0
                                        ; implicit-def: $vgpr1
	s_cbranch_execnz .LBB123_7
.LBB123_10:
	v_mov_b32_e32 v56, v1
	s_and_b32 exec_lo, exec_lo, s6
	s_cbranch_execz .LBB123_8
.LBB123_11:
	s_load_b256 s[4:11], s[0:1], 0x20
	s_delay_alu instid0(VALU_DEP_1) | instskip(SKIP_1) | instid1(VALU_DEP_2)
	v_ashrrev_i32_e32 v57, 31, v56
	v_and_b32_e32 v61, 31, v0
	v_lshlrev_b64_e32 v[1:2], 2, v[56:57]
	s_wait_kmcnt 0x0
	s_delay_alu instid0(VALU_DEP_1) | instskip(SKIP_1) | instid1(VALU_DEP_2)
	v_add_co_u32 v3, vcc_lo, s4, v1
	s_wait_alu 0xfffd
	v_add_co_ci_u32_e64 v4, null, s5, v2, vcc_lo
	v_add_co_u32 v1, vcc_lo, s6, v1
	s_wait_alu 0xfffd
	v_add_co_ci_u32_e64 v2, null, s7, v2, vcc_lo
	global_load_b32 v36, v[3:4], off
	v_add_co_u32 v3, vcc_lo, v3, 4
	s_wait_alu 0xfffd
	v_add_co_ci_u32_e64 v4, null, 0, v4, vcc_lo
	s_cmp_eq_u64 s[6:7], 0
	s_load_b64 s[4:5], s[0:1], 0x40
	s_cselect_b32 vcc_lo, -1, 0
	s_cmp_eq_u32 s3, 1
	s_wait_alu 0xfffe
	v_dual_cndmask_b32 v2, v2, v4 :: v_dual_cndmask_b32 v1, v1, v3
	global_load_b32 v2, v[1:2], off
	s_wait_loadcnt 0x1
	v_subrev_nc_u32_e32 v0, s12, v36
	s_delay_alu instid0(VALU_DEP_1) | instskip(NEXT) | instid1(VALU_DEP_1)
	v_add_nc_u32_e32 v57, v0, v61
	v_ashrrev_i32_e32 v58, 31, v57
	s_wait_loadcnt 0x0
	v_subrev_nc_u32_e32 v70, s12, v2
	s_delay_alu instid0(VALU_DEP_2) | instskip(NEXT) | instid1(VALU_DEP_2)
	v_lshlrev_b64_e32 v[0:1], 6, v[57:58]
	v_cmp_lt_i32_e64 s2, v57, v70
	s_delay_alu instid0(VALU_DEP_2) | instskip(SKIP_1) | instid1(VALU_DEP_3)
	v_add_co_u32 v59, vcc_lo, s10, v0
	s_wait_alu 0xfffd
	v_add_co_ci_u32_e64 v60, null, s11, v1, vcc_lo
	s_cbranch_scc1 .LBB123_23
; %bb.12:
	v_dual_mov_b32 v62, 0 :: v_dual_mov_b32 v65, 0
	v_dual_mov_b32 v64, 0 :: v_dual_mov_b32 v67, 0
	;; [unrolled: 1-line block ×4, first 2 shown]
	s_and_saveexec_b32 s3, s2
	s_cbranch_execz .LBB123_22
; %bb.13:
	v_dual_mov_b32 v63, 0 :: v_dual_add_nc_u32 v0, v36, v61
	v_not_b32_e32 v1, v36
	v_mov_b32_e32 v32, v59
	v_dual_mov_b32 v68, 0 :: v_dual_mov_b32 v67, 0
	s_delay_alu instid0(VALU_DEP_4) | instskip(SKIP_2) | instid1(VALU_DEP_3)
	v_subrev_nc_u32_e32 v0, s12, v0
	v_dual_mov_b32 v65, 0 :: v_dual_mov_b32 v64, 0
	v_dual_mov_b32 v62, 0 :: v_dual_mov_b32 v33, v60
	v_dual_mov_b32 v69, 0 :: v_dual_add_nc_u32 v0, 32, v0
	v_mov_b32_e32 v34, v57
	s_mov_b32 s6, exec_lo
	s_delay_alu instid0(VALU_DEP_2) | instskip(NEXT) | instid1(VALU_DEP_1)
	v_max_i32_e32 v0, v0, v70
	v_add3_u32 v0, s12, v0, v1
	s_delay_alu instid0(VALU_DEP_1) | instskip(NEXT) | instid1(VALU_DEP_1)
	v_sub_nc_u32_e32 v0, v0, v61
	v_dual_mov_b32 v66, 0 :: v_dual_and_b32 v1, 0x60, v0
	s_delay_alu instid0(VALU_DEP_1)
	v_cmpx_ne_u32_e32 0x60, v1
	s_cbranch_execz .LBB123_17
; %bb.14:
	v_lshrrev_b32_e32 v1, 5, v0
	v_mov_b32_e32 v62, 0
	v_dual_mov_b32 v32, v59 :: v_dual_mov_b32 v65, 0
	v_dual_mov_b32 v34, v57 :: v_dual_mov_b32 v33, v60
	s_delay_alu instid0(VALU_DEP_4) | instskip(SKIP_2) | instid1(VALU_DEP_3)
	v_dual_mov_b32 v64, 0 :: v_dual_add_nc_u32 v1, 1, v1
	v_dual_mov_b32 v66, 0 :: v_dual_mov_b32 v67, 0
	v_dual_mov_b32 v68, 0 :: v_dual_mov_b32 v69, 0
	v_and_b32_e32 v1, 3, v1
	v_mov_b32_e32 v63, 0
	s_mov_b32 s7, 0
	s_delay_alu instid0(VALU_DEP_2)
	v_sub_nc_u32_e32 v1, 0, v1
.LBB123_15:                             ; =>This Inner Loop Header: Depth=1
	v_ashrrev_i32_e32 v35, 31, v34
	s_delay_alu instid0(VALU_DEP_2) | instskip(SKIP_2) | instid1(VALU_DEP_2)
	v_add_co_u32 v1, s10, v1, 1
	s_wait_alu 0xfffe
	s_or_b32 s7, s10, s7
	v_lshlrev_b64_e32 v[2:3], 2, v[34:35]
	s_delay_alu instid0(VALU_DEP_1) | instskip(SKIP_1) | instid1(VALU_DEP_2)
	v_add_co_u32 v2, vcc_lo, s8, v2
	s_wait_alu 0xfffd
	v_add_co_ci_u32_e64 v3, null, s9, v3, vcc_lo
	global_load_b32 v18, v[2:3], off
	s_clause 0x3
	global_load_b128 v[2:5], v[32:33], off offset:48
	global_load_b128 v[6:9], v[32:33], off offset:32
	;; [unrolled: 1-line block ×3, first 2 shown]
	global_load_b128 v[14:17], v[32:33], off
	s_wait_loadcnt 0x4
	v_subrev_nc_u32_e32 v18, s12, v18
	s_delay_alu instid0(VALU_DEP_1) | instskip(NEXT) | instid1(VALU_DEP_1)
	v_lshlrev_b32_e32 v18, 2, v18
	v_ashrrev_i32_e32 v19, 31, v18
	s_delay_alu instid0(VALU_DEP_1) | instskip(SKIP_1) | instid1(VALU_DEP_1)
	v_lshlrev_b64_e32 v[18:19], 3, v[18:19]
	s_wait_kmcnt 0x0
	v_add_co_u32 v22, vcc_lo, s4, v18
	s_wait_alu 0xfffd
	s_delay_alu instid0(VALU_DEP_2)
	v_add_co_ci_u32_e64 v23, null, s5, v19, vcc_lo
	v_add_co_u32 v32, vcc_lo, 0x800, v32
	s_wait_alu 0xfffd
	v_add_co_ci_u32_e64 v33, null, 0, v33, vcc_lo
	s_clause 0x1
	global_load_b128 v[18:21], v[22:23], off
	global_load_b128 v[22:25], v[22:23], off offset:16
	s_wait_loadcnt 0x1
	v_fmac_f32_e32 v63, v2, v18
	v_fmac_f32_e32 v64, v14, v18
	;; [unrolled: 1-line block ×3, first 2 shown]
	s_delay_alu instid0(VALU_DEP_3) | instskip(NEXT) | instid1(VALU_DEP_3)
	v_dual_fmac_f32 v62, 0, v18 :: v_dual_fmac_f32 v63, 0x80000000, v19
	v_dual_fmac_f32 v65, 0, v18 :: v_dual_fmac_f32 v64, 0x80000000, v19
	s_delay_alu instid0(VALU_DEP_3) | instskip(NEXT) | instid1(VALU_DEP_3)
	v_fmac_f32_e32 v69, v2, v19
	v_dual_fmac_f32 v67, 0, v18 :: v_dual_fmac_f32 v62, v14, v19
	s_delay_alu instid0(VALU_DEP_3) | instskip(SKIP_1) | instid1(VALU_DEP_3)
	v_fmac_f32_e32 v65, v10, v19
	v_fmac_f32_e32 v66, v10, v18
	v_dual_fmac_f32 v67, v6, v19 :: v_dual_add_nc_u32 v34, 32, v34
	v_fmac_f32_e32 v63, v3, v20
	s_delay_alu instid0(VALU_DEP_3) | instskip(SKIP_1) | instid1(VALU_DEP_4)
	v_dual_fmac_f32 v65, 0, v20 :: v_dual_fmac_f32 v66, 0x80000000, v19
	v_fmac_f32_e32 v62, 0, v20
	v_dual_fmac_f32 v68, v6, v18 :: v_dual_fmac_f32 v67, 0, v20
	s_delay_alu instid0(VALU_DEP_4) | instskip(NEXT) | instid1(VALU_DEP_4)
	v_dual_fmac_f32 v64, v15, v20 :: v_dual_fmac_f32 v63, 0x80000000, v21
	v_fmac_f32_e32 v65, v11, v21
	v_fmac_f32_e32 v66, v11, v20
	v_dual_fmac_f32 v69, 0, v20 :: v_dual_fmac_f32 v62, v15, v21
	v_fmac_f32_e32 v68, 0x80000000, v19
	v_fmac_f32_e32 v64, 0x80000000, v21
	;; [unrolled: 1-line block ×3, first 2 shown]
	s_wait_loadcnt 0x0
	v_dual_fmac_f32 v69, v3, v21 :: v_dual_fmac_f32 v62, 0, v22
	v_dual_fmac_f32 v65, 0, v22 :: v_dual_fmac_f32 v66, 0x80000000, v21
	v_fmac_f32_e32 v63, v4, v22
	v_fmac_f32_e32 v64, v16, v22
	v_dual_fmac_f32 v68, v7, v20 :: v_dual_fmac_f32 v67, 0, v22
	s_delay_alu instid0(VALU_DEP_3) | instskip(SKIP_1) | instid1(VALU_DEP_3)
	v_dual_fmac_f32 v66, v12, v22 :: v_dual_fmac_f32 v63, 0x80000000, v23
	v_fmac_f32_e32 v62, v16, v23
	v_dual_fmac_f32 v68, 0x80000000, v21 :: v_dual_fmac_f32 v69, 0, v22
	s_delay_alu instid0(VALU_DEP_3) | instskip(NEXT) | instid1(VALU_DEP_3)
	v_fmac_f32_e32 v63, v5, v24
	v_dual_fmac_f32 v67, v8, v23 :: v_dual_fmac_f32 v62, 0, v24
	v_fmac_f32_e32 v64, 0x80000000, v23
	s_delay_alu instid0(VALU_DEP_4) | instskip(NEXT) | instid1(VALU_DEP_3)
	v_fmac_f32_e32 v69, v4, v23
	v_dual_fmac_f32 v66, 0x80000000, v23 :: v_dual_fmac_f32 v67, 0, v24
	s_delay_alu instid0(VALU_DEP_3) | instskip(NEXT) | instid1(VALU_DEP_3)
	v_dual_fmac_f32 v65, v12, v23 :: v_dual_fmac_f32 v64, v17, v24
	v_dual_fmac_f32 v68, v8, v22 :: v_dual_fmac_f32 v69, 0, v24
	s_delay_alu instid0(VALU_DEP_3) | instskip(NEXT) | instid1(VALU_DEP_3)
	v_fmac_f32_e32 v66, v13, v24
	v_dual_fmac_f32 v65, 0, v24 :: v_dual_fmac_f32 v64, 0x80000000, v25
	s_delay_alu instid0(VALU_DEP_3) | instskip(SKIP_1) | instid1(VALU_DEP_4)
	v_fmac_f32_e32 v68, 0x80000000, v23
	v_fmac_f32_e32 v62, v17, v25
	;; [unrolled: 1-line block ×3, first 2 shown]
	s_delay_alu instid0(VALU_DEP_4) | instskip(SKIP_3) | instid1(VALU_DEP_2)
	v_fmac_f32_e32 v65, v13, v25
	v_fmac_f32_e32 v67, v9, v25
	v_dual_fmac_f32 v68, v9, v24 :: v_dual_fmac_f32 v63, 0x80000000, v25
	v_fmac_f32_e32 v69, v5, v25
	v_fmac_f32_e32 v68, 0x80000000, v25
	s_wait_alu 0xfffe
	s_and_not1_b32 exec_lo, exec_lo, s7
	s_cbranch_execnz .LBB123_15
; %bb.16:
	s_or_b32 exec_lo, exec_lo, s7
.LBB123_17:
	s_wait_alu 0xfffe
	s_or_b32 exec_lo, exec_lo, s6
	s_delay_alu instid0(SALU_CYCLE_1)
	s_mov_b32 s6, exec_lo
	v_cmpx_lt_u32_e32 0x5f, v0
	s_cbranch_execz .LBB123_21
; %bb.18:
	s_mov_b32 s7, 0
.LBB123_19:                             ; =>This Inner Loop Header: Depth=1
	v_ashrrev_i32_e32 v35, 31, v34
	s_clause 0xf
	global_load_b128 v[37:40], v[32:33], off offset:48
	global_load_b128 v[41:44], v[32:33], off offset:32
	;; [unrolled: 1-line block ×3, first 2 shown]
	global_load_b128 v[71:74], v[32:33], off
	global_load_b128 v[75:78], v[32:33], off offset:2096
	global_load_b128 v[79:82], v[32:33], off offset:2080
	;; [unrolled: 1-line block ×12, first 2 shown]
	v_lshlrev_b64_e32 v[49:50], 2, v[34:35]
	v_add_nc_u32_e32 v34, 0x80, v34
	s_delay_alu instid0(VALU_DEP_2) | instskip(SKIP_1) | instid1(VALU_DEP_3)
	v_add_co_u32 v49, vcc_lo, s8, v49
	s_wait_alu 0xfffd
	v_add_co_ci_u32_e64 v50, null, s9, v50, vcc_lo
	s_clause 0x3
	global_load_b32 v35, v[49:50], off
	global_load_b32 v51, v[49:50], off offset:128
	global_load_b32 v58, v[49:50], off offset:256
	;; [unrolled: 1-line block ×3, first 2 shown]
	s_wait_loadcnt 0x3
	v_subrev_nc_u32_e32 v35, s12, v35
	s_wait_loadcnt 0x2
	v_subrev_nc_u32_e32 v50, s12, v51
	s_wait_loadcnt 0x1
	v_subrev_nc_u32_e32 v51, s12, v58
	s_wait_loadcnt 0x0
	v_subrev_nc_u32_e32 v58, s12, v49
	v_lshlrev_b32_e32 v49, 2, v35
	v_lshlrev_b32_e32 v91, 2, v50
	;; [unrolled: 1-line block ×3, first 2 shown]
	s_delay_alu instid0(VALU_DEP_4) | instskip(NEXT) | instid1(VALU_DEP_4)
	v_lshlrev_b32_e32 v95, 2, v58
	v_ashrrev_i32_e32 v50, 31, v49
	s_delay_alu instid0(VALU_DEP_4) | instskip(NEXT) | instid1(VALU_DEP_4)
	v_ashrrev_i32_e32 v92, 31, v91
	v_ashrrev_i32_e32 v94, 31, v93
	s_delay_alu instid0(VALU_DEP_4) | instskip(NEXT) | instid1(VALU_DEP_4)
	v_ashrrev_i32_e32 v96, 31, v95
	v_lshlrev_b64_e32 v[49:50], 3, v[49:50]
	s_delay_alu instid0(VALU_DEP_4) | instskip(NEXT) | instid1(VALU_DEP_4)
	v_lshlrev_b64_e32 v[91:92], 3, v[91:92]
	v_lshlrev_b64_e32 v[93:94], 3, v[93:94]
	s_delay_alu instid0(VALU_DEP_4) | instskip(SKIP_1) | instid1(VALU_DEP_4)
	v_lshlrev_b64_e32 v[95:96], 3, v[95:96]
	s_wait_kmcnt 0x0
	v_add_co_u32 v49, vcc_lo, s4, v49
	s_wait_alu 0xfffd
	v_add_co_ci_u32_e64 v50, null, s5, v50, vcc_lo
	v_add_co_u32 v99, vcc_lo, s4, v91
	s_wait_alu 0xfffd
	v_add_co_ci_u32_e64 v100, null, s5, v92, vcc_lo
	;; [unrolled: 3-line block ×4, first 2 shown]
	s_clause 0x1
	global_load_b128 v[91:94], v[49:50], off
	global_load_b128 v[95:98], v[49:50], off offset:16
	v_add_co_u32 v32, vcc_lo, 0x2000, v32
	s_wait_alu 0xfffd
	v_add_co_ci_u32_e64 v33, null, 0, v33, vcc_lo
	v_cmp_ge_i32_e32 vcc_lo, v34, v70
	s_wait_alu 0xfffe
	s_or_b32 s7, vcc_lo, s7
	s_wait_loadcnt 0x1
	v_fmac_f32_e32 v68, v41, v91
	v_fmac_f32_e32 v65, 0, v91
	;; [unrolled: 1-line block ×3, first 2 shown]
	s_delay_alu instid0(VALU_DEP_3) | instskip(NEXT) | instid1(VALU_DEP_3)
	v_fmac_f32_e32 v68, 0x80000000, v92
	v_dual_fmac_f32 v62, 0, v91 :: v_dual_fmac_f32 v65, v45, v92
	s_delay_alu instid0(VALU_DEP_3) | instskip(NEXT) | instid1(VALU_DEP_3)
	v_dual_fmac_f32 v64, 0x80000000, v92 :: v_dual_fmac_f32 v67, 0, v91
	v_fmac_f32_e32 v68, v42, v93
	s_delay_alu instid0(VALU_DEP_3) | instskip(NEXT) | instid1(VALU_DEP_3)
	v_dual_fmac_f32 v62, v71, v92 :: v_dual_fmac_f32 v63, v37, v91
	v_dual_fmac_f32 v64, v72, v93 :: v_dual_fmac_f32 v67, v41, v92
	v_fmac_f32_e32 v65, 0, v93
	s_delay_alu instid0(VALU_DEP_3) | instskip(NEXT) | instid1(VALU_DEP_4)
	v_fmac_f32_e32 v62, 0, v93
	v_dual_fmac_f32 v66, v45, v91 :: v_dual_fmac_f32 v63, 0x80000000, v92
	s_delay_alu instid0(VALU_DEP_4) | instskip(NEXT) | instid1(VALU_DEP_3)
	v_dual_fmac_f32 v67, 0, v93 :: v_dual_fmac_f32 v64, 0x80000000, v94
	v_fmac_f32_e32 v62, v72, v94
	s_delay_alu instid0(VALU_DEP_3)
	v_dual_fmac_f32 v66, 0x80000000, v92 :: v_dual_fmac_f32 v69, 0, v91
	v_fmac_f32_e32 v65, v46, v94
	v_fmac_f32_e32 v68, 0x80000000, v94
	s_wait_loadcnt 0x0
	v_dual_fmac_f32 v67, v42, v94 :: v_dual_fmac_f32 v64, v73, v95
	v_dual_fmac_f32 v66, v46, v93 :: v_dual_fmac_f32 v69, v37, v92
	;; [unrolled: 1-line block ×3, first 2 shown]
	s_delay_alu instid0(VALU_DEP_3) | instskip(NEXT) | instid1(VALU_DEP_3)
	v_fmac_f32_e32 v64, 0x80000000, v96
	v_dual_fmac_f32 v66, 0x80000000, v94 :: v_dual_fmac_f32 v69, 0, v93
	s_delay_alu instid0(VALU_DEP_3) | instskip(NEXT) | instid1(VALU_DEP_3)
	v_dual_fmac_f32 v63, 0x80000000, v94 :: v_dual_fmac_f32 v62, v73, v96
	v_dual_fmac_f32 v65, 0, v95 :: v_dual_fmac_f32 v64, v74, v97
	s_delay_alu instid0(VALU_DEP_3) | instskip(SKIP_4) | instid1(VALU_DEP_3)
	v_fmac_f32_e32 v69, v38, v94
	global_load_b128 v[91:94], v[99:100], off
	v_dual_fmac_f32 v62, 0, v97 :: v_dual_fmac_f32 v65, v47, v96
	v_fmac_f32_e32 v67, 0, v95
	v_fmac_f32_e32 v63, v39, v95
	v_dual_fmac_f32 v69, 0, v95 :: v_dual_fmac_f32 v62, v74, v98
	s_delay_alu instid0(VALU_DEP_4)
	v_fmac_f32_e32 v65, 0, v97
	global_load_b128 v[71:74], v[99:100], off offset:16
	v_fmac_f32_e32 v66, v47, v95
	v_fmac_f32_e32 v67, v43, v96
	v_dual_fmac_f32 v68, v43, v95 :: v_dual_fmac_f32 v65, v48, v98
	v_dual_fmac_f32 v69, v39, v96 :: v_dual_fmac_f32 v64, 0x80000000, v98
	s_delay_alu instid0(VALU_DEP_3) | instskip(NEXT) | instid1(VALU_DEP_3)
	v_dual_fmac_f32 v66, 0x80000000, v96 :: v_dual_fmac_f32 v67, 0, v97
	v_fmac_f32_e32 v68, 0x80000000, v96
	s_delay_alu instid0(VALU_DEP_2)
	v_fmac_f32_e32 v66, v48, v97
	s_clause 0x1
	global_load_b128 v[45:48], v[101:102], off
	global_load_b128 v[99:102], v[101:102], off offset:16
	v_fmac_f32_e32 v67, v44, v98
	v_fmac_f32_e32 v68, v44, v97
	global_load_b128 v[41:44], v[103:104], off
	v_dual_fmac_f32 v63, 0x80000000, v96 :: v_dual_fmac_f32 v66, 0x80000000, v98
	v_dual_fmac_f32 v69, 0, v97 :: v_dual_fmac_f32 v68, 0x80000000, v98
	s_delay_alu instid0(VALU_DEP_2) | instskip(NEXT) | instid1(VALU_DEP_2)
	v_fmac_f32_e32 v63, v40, v97
	v_fmac_f32_e32 v69, v40, v98
	global_load_b128 v[37:40], v[103:104], off offset:16
	s_wait_loadcnt 0x5
	v_dual_fmac_f32 v64, v87, v91 :: v_dual_fmac_f32 v63, 0x80000000, v98
	v_fmac_f32_e32 v66, v83, v91
	v_fmac_f32_e32 v62, 0, v91
	s_delay_alu instid0(VALU_DEP_3) | instskip(NEXT) | instid1(VALU_DEP_3)
	v_dual_fmac_f32 v65, 0, v91 :: v_dual_fmac_f32 v64, 0x80000000, v92
	v_dual_fmac_f32 v63, v75, v91 :: v_dual_fmac_f32 v66, 0x80000000, v92
	v_fmac_f32_e32 v68, v79, v91
	s_delay_alu instid0(VALU_DEP_4) | instskip(NEXT) | instid1(VALU_DEP_3)
	v_dual_fmac_f32 v67, 0, v91 :: v_dual_fmac_f32 v62, v87, v92
	v_fmac_f32_e32 v63, 0x80000000, v92
	s_delay_alu instid0(VALU_DEP_3) | instskip(SKIP_1) | instid1(VALU_DEP_4)
	v_dual_fmac_f32 v69, 0, v91 :: v_dual_fmac_f32 v68, 0x80000000, v92
	v_dual_fmac_f32 v65, v83, v92 :: v_dual_fmac_f32 v64, v88, v93
	;; [unrolled: 1-line block ×3, first 2 shown]
	s_delay_alu instid0(VALU_DEP_3) | instskip(SKIP_1) | instid1(VALU_DEP_4)
	v_dual_fmac_f32 v69, v75, v92 :: v_dual_fmac_f32 v66, v84, v93
	v_fmac_f32_e32 v63, v76, v93
	v_dual_fmac_f32 v65, 0, v93 :: v_dual_fmac_f32 v64, 0x80000000, v94
	s_delay_alu instid0(VALU_DEP_4) | instskip(NEXT) | instid1(VALU_DEP_4)
	v_dual_fmac_f32 v67, 0, v93 :: v_dual_fmac_f32 v62, v88, v94
	v_fmac_f32_e32 v66, 0x80000000, v94
	s_delay_alu instid0(VALU_DEP_4) | instskip(SKIP_3) | instid1(VALU_DEP_3)
	v_dual_fmac_f32 v68, v80, v93 :: v_dual_fmac_f32 v63, 0x80000000, v94
	v_fmac_f32_e32 v69, 0, v93
	s_wait_loadcnt 0x4
	v_dual_fmac_f32 v65, v84, v94 :: v_dual_fmac_f32 v64, v89, v71
	v_fmac_f32_e32 v68, 0x80000000, v94
	v_dual_fmac_f32 v67, v80, v94 :: v_dual_fmac_f32 v62, 0, v71
	v_dual_fmac_f32 v69, v76, v94 :: v_dual_fmac_f32 v66, v85, v71
	v_fmac_f32_e32 v63, v77, v71
	v_dual_fmac_f32 v65, 0, v71 :: v_dual_fmac_f32 v64, 0x80000000, v72
	s_delay_alu instid0(VALU_DEP_4) | instskip(NEXT) | instid1(VALU_DEP_4)
	v_dual_fmac_f32 v67, 0, v71 :: v_dual_fmac_f32 v62, v89, v72
	v_fmac_f32_e32 v66, 0x80000000, v72
	s_delay_alu instid0(VALU_DEP_4) | instskip(SKIP_2) | instid1(VALU_DEP_3)
	v_dual_fmac_f32 v68, v81, v71 :: v_dual_fmac_f32 v63, 0x80000000, v72
	v_fmac_f32_e32 v69, 0, v71
	v_dual_fmac_f32 v65, v85, v72 :: v_dual_fmac_f32 v64, v90, v73
	v_fmac_f32_e32 v68, 0x80000000, v72
	v_dual_fmac_f32 v67, v81, v72 :: v_dual_fmac_f32 v62, 0, v73
	s_delay_alu instid0(VALU_DEP_4) | instskip(SKIP_2) | instid1(VALU_DEP_4)
	v_dual_fmac_f32 v69, v77, v72 :: v_dual_fmac_f32 v66, v86, v73
	v_fmac_f32_e32 v63, v78, v73
	v_dual_fmac_f32 v65, 0, v73 :: v_dual_fmac_f32 v64, 0x80000000, v74
	v_dual_fmac_f32 v67, 0, v73 :: v_dual_fmac_f32 v62, v90, v74
	s_delay_alu instid0(VALU_DEP_4) | instskip(NEXT) | instid1(VALU_DEP_4)
	v_fmac_f32_e32 v66, 0x80000000, v74
	v_dual_fmac_f32 v68, v82, v73 :: v_dual_fmac_f32 v63, 0x80000000, v74
	v_fmac_f32_e32 v69, 0, v73
	s_wait_loadcnt 0x3
	v_dual_fmac_f32 v65, v86, v74 :: v_dual_fmac_f32 v64, v28, v45
	s_delay_alu instid0(VALU_DEP_3) | instskip(SKIP_4) | instid1(VALU_DEP_4)
	v_fmac_f32_e32 v68, 0x80000000, v74
	v_dual_fmac_f32 v67, v82, v74 :: v_dual_fmac_f32 v62, 0, v45
	v_dual_fmac_f32 v69, v78, v74 :: v_dual_fmac_f32 v66, v24, v45
	v_fmac_f32_e32 v63, v16, v45
	v_dual_fmac_f32 v65, 0, v45 :: v_dual_fmac_f32 v64, 0x80000000, v46
	v_dual_fmac_f32 v67, 0, v45 :: v_dual_fmac_f32 v62, v28, v46
	s_delay_alu instid0(VALU_DEP_4) | instskip(NEXT) | instid1(VALU_DEP_4)
	v_fmac_f32_e32 v66, 0x80000000, v46
	v_dual_fmac_f32 v68, v20, v45 :: v_dual_fmac_f32 v63, 0x80000000, v46
	v_fmac_f32_e32 v69, 0, v45
	v_dual_fmac_f32 v65, v24, v46 :: v_dual_fmac_f32 v64, v29, v47
	s_delay_alu instid0(VALU_DEP_3) | instskip(SKIP_1) | instid1(VALU_DEP_4)
	v_fmac_f32_e32 v68, 0x80000000, v46
	v_dual_fmac_f32 v67, v20, v46 :: v_dual_fmac_f32 v62, 0, v47
	v_dual_fmac_f32 v69, v16, v46 :: v_dual_fmac_f32 v66, v25, v47
	v_fmac_f32_e32 v63, v17, v47
	v_dual_fmac_f32 v65, 0, v47 :: v_dual_fmac_f32 v64, 0x80000000, v48
	s_delay_alu instid0(VALU_DEP_4) | instskip(NEXT) | instid1(VALU_DEP_4)
	v_dual_fmac_f32 v67, 0, v47 :: v_dual_fmac_f32 v62, v29, v48
	v_fmac_f32_e32 v66, 0x80000000, v48
	s_delay_alu instid0(VALU_DEP_4) | instskip(SKIP_3) | instid1(VALU_DEP_3)
	v_dual_fmac_f32 v68, v21, v47 :: v_dual_fmac_f32 v63, 0x80000000, v48
	v_fmac_f32_e32 v69, 0, v47
	s_wait_loadcnt 0x2
	v_dual_fmac_f32 v65, v25, v48 :: v_dual_fmac_f32 v64, v30, v99
	v_fmac_f32_e32 v68, 0x80000000, v48
	v_dual_fmac_f32 v67, v21, v48 :: v_dual_fmac_f32 v62, 0, v99
	v_dual_fmac_f32 v69, v17, v48 :: v_dual_fmac_f32 v66, v26, v99
	v_fmac_f32_e32 v63, v18, v99
	v_dual_fmac_f32 v65, 0, v99 :: v_dual_fmac_f32 v64, 0x80000000, v100
	s_delay_alu instid0(VALU_DEP_4) | instskip(NEXT) | instid1(VALU_DEP_4)
	v_dual_fmac_f32 v67, 0, v99 :: v_dual_fmac_f32 v62, v30, v100
	v_fmac_f32_e32 v66, 0x80000000, v100
	s_delay_alu instid0(VALU_DEP_4) | instskip(SKIP_2) | instid1(VALU_DEP_3)
	v_dual_fmac_f32 v68, v22, v99 :: v_dual_fmac_f32 v63, 0x80000000, v100
	v_fmac_f32_e32 v69, 0, v99
	v_dual_fmac_f32 v65, v26, v100 :: v_dual_fmac_f32 v64, v31, v101
	v_fmac_f32_e32 v68, 0x80000000, v100
	v_dual_fmac_f32 v67, v22, v100 :: v_dual_fmac_f32 v62, 0, v101
	s_delay_alu instid0(VALU_DEP_4) | instskip(SKIP_2) | instid1(VALU_DEP_4)
	v_dual_fmac_f32 v69, v18, v100 :: v_dual_fmac_f32 v66, v27, v101
	v_fmac_f32_e32 v63, v19, v101
	v_dual_fmac_f32 v65, 0, v101 :: v_dual_fmac_f32 v64, 0x80000000, v102
	v_dual_fmac_f32 v67, 0, v101 :: v_dual_fmac_f32 v62, v31, v102
	s_delay_alu instid0(VALU_DEP_4) | instskip(NEXT) | instid1(VALU_DEP_4)
	v_fmac_f32_e32 v66, 0x80000000, v102
	v_dual_fmac_f32 v68, v23, v101 :: v_dual_fmac_f32 v63, 0x80000000, v102
	v_fmac_f32_e32 v69, 0, v101
	s_wait_loadcnt 0x1
	v_dual_fmac_f32 v65, v27, v102 :: v_dual_fmac_f32 v64, v12, v41
	s_delay_alu instid0(VALU_DEP_3) | instskip(SKIP_4) | instid1(VALU_DEP_4)
	v_fmac_f32_e32 v68, 0x80000000, v102
	v_dual_fmac_f32 v67, v23, v102 :: v_dual_fmac_f32 v62, 0, v41
	v_dual_fmac_f32 v69, v19, v102 :: v_dual_fmac_f32 v66, v8, v41
	v_fmac_f32_e32 v63, v0, v41
	v_dual_fmac_f32 v65, 0, v41 :: v_dual_fmac_f32 v64, 0x80000000, v42
	v_dual_fmac_f32 v67, 0, v41 :: v_dual_fmac_f32 v62, v12, v42
	s_delay_alu instid0(VALU_DEP_4) | instskip(NEXT) | instid1(VALU_DEP_4)
	v_fmac_f32_e32 v66, 0x80000000, v42
	v_dual_fmac_f32 v68, v4, v41 :: v_dual_fmac_f32 v63, 0x80000000, v42
	v_fmac_f32_e32 v69, 0, v41
	v_dual_fmac_f32 v65, v8, v42 :: v_dual_fmac_f32 v64, v13, v43
	s_delay_alu instid0(VALU_DEP_3) | instskip(SKIP_1) | instid1(VALU_DEP_4)
	v_fmac_f32_e32 v68, 0x80000000, v42
	v_dual_fmac_f32 v67, v4, v42 :: v_dual_fmac_f32 v62, 0, v43
	v_dual_fmac_f32 v69, v0, v42 :: v_dual_fmac_f32 v66, v9, v43
	v_fmac_f32_e32 v63, v1, v43
	v_dual_fmac_f32 v65, 0, v43 :: v_dual_fmac_f32 v64, 0x80000000, v44
	s_delay_alu instid0(VALU_DEP_4) | instskip(NEXT) | instid1(VALU_DEP_4)
	v_dual_fmac_f32 v67, 0, v43 :: v_dual_fmac_f32 v62, v13, v44
	v_fmac_f32_e32 v66, 0x80000000, v44
	s_delay_alu instid0(VALU_DEP_4) | instskip(SKIP_3) | instid1(VALU_DEP_3)
	v_dual_fmac_f32 v68, v5, v43 :: v_dual_fmac_f32 v63, 0x80000000, v44
	v_fmac_f32_e32 v69, 0, v43
	s_wait_loadcnt 0x0
	v_dual_fmac_f32 v65, v9, v44 :: v_dual_fmac_f32 v64, v14, v37
	v_fmac_f32_e32 v68, 0x80000000, v44
	v_dual_fmac_f32 v67, v5, v44 :: v_dual_fmac_f32 v62, 0, v37
	v_dual_fmac_f32 v69, v1, v44 :: v_dual_fmac_f32 v66, v10, v37
	v_fmac_f32_e32 v63, v2, v37
	v_dual_fmac_f32 v65, 0, v37 :: v_dual_fmac_f32 v64, 0x80000000, v38
	s_delay_alu instid0(VALU_DEP_4) | instskip(NEXT) | instid1(VALU_DEP_4)
	v_dual_fmac_f32 v67, 0, v37 :: v_dual_fmac_f32 v62, v14, v38
	v_fmac_f32_e32 v66, 0x80000000, v38
	s_delay_alu instid0(VALU_DEP_4) | instskip(SKIP_2) | instid1(VALU_DEP_3)
	v_dual_fmac_f32 v68, v6, v37 :: v_dual_fmac_f32 v63, 0x80000000, v38
	v_fmac_f32_e32 v69, 0, v37
	v_dual_fmac_f32 v65, v10, v38 :: v_dual_fmac_f32 v64, v15, v39
	v_fmac_f32_e32 v68, 0x80000000, v38
	v_dual_fmac_f32 v67, v6, v38 :: v_dual_fmac_f32 v62, 0, v39
	s_delay_alu instid0(VALU_DEP_4) | instskip(SKIP_2) | instid1(VALU_DEP_4)
	v_dual_fmac_f32 v69, v2, v38 :: v_dual_fmac_f32 v66, v11, v39
	v_fmac_f32_e32 v63, v3, v39
	v_dual_fmac_f32 v65, 0, v39 :: v_dual_fmac_f32 v64, 0x80000000, v40
	v_dual_fmac_f32 v67, 0, v39 :: v_dual_fmac_f32 v62, v15, v40
	s_delay_alu instid0(VALU_DEP_4) | instskip(NEXT) | instid1(VALU_DEP_4)
	v_fmac_f32_e32 v66, 0x80000000, v40
	v_dual_fmac_f32 v68, v7, v39 :: v_dual_fmac_f32 v63, 0x80000000, v40
	v_fmac_f32_e32 v69, 0, v39
	v_fmac_f32_e32 v65, v11, v40
	;; [unrolled: 1-line block ×3, first 2 shown]
	s_delay_alu instid0(VALU_DEP_4) | instskip(NEXT) | instid1(VALU_DEP_4)
	v_fmac_f32_e32 v68, 0x80000000, v40
	v_fmac_f32_e32 v69, v3, v40
	s_wait_alu 0xfffe
	s_and_not1_b32 exec_lo, exec_lo, s7
	s_cbranch_execnz .LBB123_19
; %bb.20:
	s_or_b32 exec_lo, exec_lo, s7
.LBB123_21:
	s_wait_alu 0xfffe
	s_or_b32 exec_lo, exec_lo, s6
.LBB123_22:
	s_wait_alu 0xfffe
	s_or_b32 exec_lo, exec_lo, s3
	s_cbranch_execz .LBB123_24
	s_branch .LBB123_35
.LBB123_23:
                                        ; implicit-def: $vgpr62
                                        ; implicit-def: $vgpr64
                                        ; implicit-def: $vgpr65
                                        ; implicit-def: $vgpr66
                                        ; implicit-def: $vgpr67
                                        ; implicit-def: $vgpr68
                                        ; implicit-def: $vgpr69
                                        ; implicit-def: $vgpr63
.LBB123_24:
	v_dual_mov_b32 v62, 0 :: v_dual_mov_b32 v65, 0
	v_dual_mov_b32 v64, 0 :: v_dual_mov_b32 v67, 0
	;; [unrolled: 1-line block ×4, first 2 shown]
	s_and_saveexec_b32 s3, s2
	s_cbranch_execz .LBB123_34
; %bb.25:
	v_dual_mov_b32 v63, 0 :: v_dual_add_nc_u32 v0, v36, v61
	v_not_b32_e32 v1, v36
	v_dual_mov_b32 v67, 0 :: v_dual_mov_b32 v66, 0
	s_delay_alu instid0(VALU_DEP_3) | instskip(SKIP_3) | instid1(VALU_DEP_3)
	v_subrev_nc_u32_e32 v0, s12, v0
	v_dual_mov_b32 v65, 0 :: v_dual_mov_b32 v64, 0
	v_mov_b32_e32 v62, 0
	s_mov_b32 s2, exec_lo
	v_dual_mov_b32 v69, 0 :: v_dual_add_nc_u32 v0, 32, v0
	s_delay_alu instid0(VALU_DEP_1) | instskip(NEXT) | instid1(VALU_DEP_1)
	v_max_i32_e32 v0, v0, v70
	v_add3_u32 v0, s12, v0, v1
	s_delay_alu instid0(VALU_DEP_1) | instskip(NEXT) | instid1(VALU_DEP_1)
	v_sub_nc_u32_e32 v0, v0, v61
	v_dual_mov_b32 v68, 0 :: v_dual_and_b32 v1, 0x60, v0
	s_delay_alu instid0(VALU_DEP_1)
	v_cmpx_ne_u32_e32 0x60, v1
	s_cbranch_execz .LBB123_29
; %bb.26:
	v_lshrrev_b32_e32 v1, 5, v0
	v_dual_mov_b32 v64, 0 :: v_dual_mov_b32 v65, 0
	v_dual_mov_b32 v67, 0 :: v_dual_mov_b32 v68, 0
	s_delay_alu instid0(VALU_DEP_3) | instskip(SKIP_3) | instid1(VALU_DEP_3)
	v_dual_mov_b32 v62, 0 :: v_dual_add_nc_u32 v1, 1, v1
	v_mov_b32_e32 v69, 0
	v_mov_b32_e32 v63, 0
	s_mov_b32 s6, 0
	v_dual_mov_b32 v66, 0 :: v_dual_and_b32 v1, 3, v1
	s_delay_alu instid0(VALU_DEP_1)
	v_sub_nc_u32_e32 v1, 0, v1
.LBB123_27:                             ; =>This Inner Loop Header: Depth=1
	v_ashrrev_i32_e32 v58, 31, v57
	s_delay_alu instid0(VALU_DEP_2) | instskip(SKIP_2) | instid1(VALU_DEP_2)
	v_add_co_u32 v1, s7, v1, 1
	s_wait_alu 0xfffe
	s_or_b32 s6, s7, s6
	v_lshlrev_b64_e32 v[2:3], 2, v[57:58]
	s_delay_alu instid0(VALU_DEP_1) | instskip(SKIP_1) | instid1(VALU_DEP_2)
	v_add_co_u32 v2, vcc_lo, s8, v2
	s_wait_alu 0xfffd
	v_add_co_ci_u32_e64 v3, null, s9, v3, vcc_lo
	global_load_b32 v10, v[2:3], off
	s_clause 0x1
	global_load_b128 v[2:5], v[59:60], off offset:16
	global_load_b128 v[6:9], v[59:60], off
	s_wait_loadcnt 0x2
	v_subrev_nc_u32_e32 v10, s12, v10
	s_delay_alu instid0(VALU_DEP_1) | instskip(NEXT) | instid1(VALU_DEP_1)
	v_lshlrev_b32_e32 v10, 2, v10
	v_ashrrev_i32_e32 v11, 31, v10
	s_delay_alu instid0(VALU_DEP_1) | instskip(SKIP_1) | instid1(VALU_DEP_1)
	v_lshlrev_b64_e32 v[10:11], 3, v[10:11]
	s_wait_kmcnt 0x0
	v_add_co_u32 v14, vcc_lo, s4, v10
	s_wait_alu 0xfffd
	s_delay_alu instid0(VALU_DEP_2)
	v_add_co_ci_u32_e64 v15, null, s5, v11, vcc_lo
	s_clause 0x1
	global_load_b128 v[10:13], v[14:15], off
	global_load_b128 v[14:17], v[14:15], off offset:16
	s_clause 0x1
	global_load_b128 v[18:21], v[59:60], off offset:32
	global_load_b128 v[22:25], v[59:60], off offset:48
	v_add_nc_u32_e32 v57, 32, v57
	v_add_co_u32 v59, vcc_lo, 0x800, v59
	s_wait_alu 0xfffd
	v_add_co_ci_u32_e64 v60, null, 0, v60, vcc_lo
	s_wait_loadcnt 0x3
	v_fmac_f32_e32 v64, v6, v10
	v_fmac_f32_e32 v65, 0, v10
	v_fmac_f32_e32 v67, 0, v10
	v_fmac_f32_e32 v62, 0, v10
	v_fmac_f32_e32 v63, v9, v10
	v_fmac_f32_e32 v66, v7, v10
	v_fmac_f32_e32 v69, 0, v10
	v_fmac_f32_e32 v68, v8, v10
	v_fmac_f32_e32 v64, 0x80000000, v11
	v_fmac_f32_e32 v65, v7, v11
	v_fmac_f32_e32 v67, v8, v11
	v_fmac_f32_e32 v62, v6, v11
	v_fmac_f32_e32 v63, 0x80000000, v11
	v_fmac_f32_e32 v66, 0x80000000, v11
	v_fmac_f32_e32 v69, v9, v11
	v_dual_fmac_f32 v68, 0x80000000, v11 :: v_dual_fmac_f32 v65, 0, v12
	v_fmac_f32_e32 v64, v2, v12
	v_fmac_f32_e32 v67, 0, v12
	;; [unrolled: 1-line block ×6, first 2 shown]
	v_dual_fmac_f32 v68, v4, v12 :: v_dual_fmac_f32 v65, v3, v13
	v_fmac_f32_e32 v64, 0x80000000, v13
	v_fmac_f32_e32 v67, v4, v13
	v_fmac_f32_e32 v62, v2, v13
	v_fmac_f32_e32 v63, 0x80000000, v13
	v_fmac_f32_e32 v66, 0x80000000, v13
	v_fmac_f32_e32 v69, v5, v13
	s_wait_loadcnt 0x2
	v_dual_fmac_f32 v68, 0x80000000, v13 :: v_dual_fmac_f32 v65, 0, v14
	s_wait_loadcnt 0x1
	v_fmac_f32_e32 v64, v18, v14
	v_fmac_f32_e32 v67, 0, v14
	;; [unrolled: 1-line block ×6, first 2 shown]
	v_dual_fmac_f32 v68, v20, v14 :: v_dual_fmac_f32 v65, v19, v15
	v_fmac_f32_e32 v64, 0x80000000, v15
	v_fmac_f32_e32 v67, v20, v15
	v_fmac_f32_e32 v62, v18, v15
	v_fmac_f32_e32 v63, 0x80000000, v15
	v_fmac_f32_e32 v66, 0x80000000, v15
	v_fmac_f32_e32 v69, v21, v15
	v_dual_fmac_f32 v68, 0x80000000, v15 :: v_dual_fmac_f32 v65, 0, v16
	s_wait_loadcnt 0x0
	v_fmac_f32_e32 v64, v22, v16
	v_fmac_f32_e32 v67, 0, v16
	;; [unrolled: 1-line block ×6, first 2 shown]
	v_dual_fmac_f32 v68, v24, v16 :: v_dual_fmac_f32 v65, v23, v17
	v_fmac_f32_e32 v64, 0x80000000, v17
	v_fmac_f32_e32 v67, v24, v17
	;; [unrolled: 1-line block ×7, first 2 shown]
	s_wait_alu 0xfffe
	s_and_not1_b32 exec_lo, exec_lo, s6
	s_cbranch_execnz .LBB123_27
; %bb.28:
	s_or_b32 exec_lo, exec_lo, s6
.LBB123_29:
	s_wait_alu 0xfffe
	s_or_b32 exec_lo, exec_lo, s2
	s_delay_alu instid0(SALU_CYCLE_1)
	s_mov_b32 s2, exec_lo
	v_cmpx_lt_u32_e32 0x5f, v0
	s_cbranch_execz .LBB123_33
; %bb.30:
	s_mov_b32 s6, 0
.LBB123_31:                             ; =>This Inner Loop Header: Depth=1
	v_ashrrev_i32_e32 v58, 31, v57
	s_clause 0xe
	global_load_b128 v[16:19], v[59:60], off offset:48
	global_load_b128 v[24:27], v[59:60], off offset:32
	;; [unrolled: 1-line block ×3, first 2 shown]
	global_load_b128 v[40:43], v[59:60], off
	global_load_b128 v[0:3], v[59:60], off offset:2096
	global_load_b128 v[4:7], v[59:60], off offset:2080
	;; [unrolled: 1-line block ×11, first 2 shown]
	v_lshlrev_b64_e32 v[79:80], 2, v[57:58]
	s_delay_alu instid0(VALU_DEP_1) | instskip(SKIP_1) | instid1(VALU_DEP_2)
	v_add_co_u32 v79, vcc_lo, s8, v79
	s_wait_alu 0xfffd
	v_add_co_ci_u32_e64 v80, null, s9, v80, vcc_lo
	s_clause 0x3
	global_load_b32 v58, v[79:80], off
	global_load_b32 v81, v[79:80], off offset:128
	global_load_b32 v82, v[79:80], off offset:256
	;; [unrolled: 1-line block ×3, first 2 shown]
	s_wait_loadcnt 0x3
	v_subrev_nc_u32_e32 v58, s12, v58
	s_wait_loadcnt 0x2
	v_subrev_nc_u32_e32 v80, s12, v81
	;; [unrolled: 2-line block ×4, first 2 shown]
	v_lshlrev_b32_e32 v79, 2, v58
	v_lshlrev_b32_e32 v81, 2, v80
	;; [unrolled: 1-line block ×3, first 2 shown]
	s_delay_alu instid0(VALU_DEP_4) | instskip(NEXT) | instid1(VALU_DEP_4)
	v_lshlrev_b32_e32 v85, 2, v84
	v_ashrrev_i32_e32 v80, 31, v79
	s_delay_alu instid0(VALU_DEP_4) | instskip(NEXT) | instid1(VALU_DEP_4)
	v_ashrrev_i32_e32 v82, 31, v81
	v_ashrrev_i32_e32 v84, 31, v83
	s_delay_alu instid0(VALU_DEP_4) | instskip(NEXT) | instid1(VALU_DEP_4)
	v_ashrrev_i32_e32 v86, 31, v85
	v_lshlrev_b64_e32 v[79:80], 3, v[79:80]
	s_delay_alu instid0(VALU_DEP_4) | instskip(NEXT) | instid1(VALU_DEP_4)
	v_lshlrev_b64_e32 v[81:82], 3, v[81:82]
	v_lshlrev_b64_e32 v[83:84], 3, v[83:84]
	s_delay_alu instid0(VALU_DEP_4) | instskip(SKIP_1) | instid1(VALU_DEP_4)
	v_lshlrev_b64_e32 v[85:86], 3, v[85:86]
	s_wait_kmcnt 0x0
	v_add_co_u32 v87, vcc_lo, s4, v79
	s_wait_alu 0xfffd
	v_add_co_ci_u32_e64 v88, null, s5, v80, vcc_lo
	v_add_co_u32 v91, vcc_lo, s4, v81
	s_wait_alu 0xfffd
	v_add_co_ci_u32_e64 v92, null, s5, v82, vcc_lo
	;; [unrolled: 3-line block ×4, first 2 shown]
	s_clause 0x2
	global_load_b128 v[79:82], v[87:88], off
	global_load_b128 v[83:86], v[87:88], off offset:16
	global_load_b128 v[87:90], v[91:92], off
	s_wait_loadcnt 0x2
	v_fmac_f32_e32 v64, v40, v79
	v_fmac_f32_e32 v65, 0, v79
	;; [unrolled: 1-line block ×4, first 2 shown]
	s_delay_alu instid0(VALU_DEP_4) | instskip(NEXT) | instid1(VALU_DEP_4)
	v_dual_fmac_f32 v67, 0, v79 :: v_dual_fmac_f32 v64, 0x80000000, v80
	v_dual_fmac_f32 v68, v42, v79 :: v_dual_fmac_f32 v65, v41, v80
	v_fmac_f32_e32 v69, 0, v79
	s_delay_alu instid0(VALU_DEP_3)
	v_dual_fmac_f32 v63, v43, v79 :: v_dual_fmac_f32 v64, v32, v81
	v_fmac_f32_e32 v62, v40, v80
	v_fmac_f32_e32 v66, 0x80000000, v80
	;; [unrolled: 1-line block ×5, first 2 shown]
	global_load_b128 v[40:43], v[91:92], off offset:16
	v_dual_fmac_f32 v63, 0x80000000, v80 :: v_dual_fmac_f32 v62, 0, v81
	v_fmac_f32_e32 v66, v33, v81
	v_fmac_f32_e32 v65, 0, v81
	v_dual_fmac_f32 v67, 0, v81 :: v_dual_fmac_f32 v64, 0x80000000, v82
	s_delay_alu instid0(VALU_DEP_3)
	v_dual_fmac_f32 v69, 0, v81 :: v_dual_fmac_f32 v66, 0x80000000, v82
	v_fmac_f32_e32 v68, v34, v81
	v_dual_fmac_f32 v63, v35, v81 :: v_dual_fmac_f32 v62, v32, v82
	s_wait_loadcnt 0x2
	v_dual_fmac_f32 v65, v33, v82 :: v_dual_fmac_f32 v64, v24, v83
	v_fmac_f32_e32 v67, v34, v82
	v_dual_fmac_f32 v69, v35, v82 :: v_dual_fmac_f32 v66, v25, v83
	s_clause 0x1
	global_load_b128 v[32:35], v[93:94], off
	global_load_b128 v[91:94], v[93:94], off offset:16
	v_fmac_f32_e32 v68, 0x80000000, v82
	v_fmac_f32_e32 v63, 0x80000000, v82
	global_load_b128 v[79:82], v[95:96], off
	v_fmac_f32_e32 v62, 0, v83
	v_fmac_f32_e32 v65, 0, v83
	v_dual_fmac_f32 v67, 0, v83 :: v_dual_fmac_f32 v64, 0x80000000, v84
	v_dual_fmac_f32 v69, 0, v83 :: v_dual_fmac_f32 v66, 0x80000000, v84
	v_fmac_f32_e32 v68, v26, v83
	v_dual_fmac_f32 v63, v27, v83 :: v_dual_fmac_f32 v62, v24, v84
	s_delay_alu instid0(VALU_DEP_4)
	v_dual_fmac_f32 v65, v25, v84 :: v_dual_fmac_f32 v64, v16, v85
	v_fmac_f32_e32 v67, v26, v84
	v_dual_fmac_f32 v69, v27, v84 :: v_dual_fmac_f32 v66, v17, v85
	global_load_b128 v[24:27], v[95:96], off offset:16
	v_fmac_f32_e32 v68, 0x80000000, v84
	v_dual_fmac_f32 v63, 0x80000000, v84 :: v_dual_fmac_f32 v62, 0, v85
	v_fmac_f32_e32 v65, 0, v85
	v_dual_fmac_f32 v67, 0, v85 :: v_dual_fmac_f32 v64, 0x80000000, v86
	v_dual_fmac_f32 v69, 0, v85 :: v_dual_fmac_f32 v66, 0x80000000, v86
	v_fmac_f32_e32 v68, v18, v85
	v_dual_fmac_f32 v63, v19, v85 :: v_dual_fmac_f32 v62, v16, v86
	s_wait_loadcnt 0x5
	v_dual_fmac_f32 v65, v17, v86 :: v_dual_fmac_f32 v64, v12, v87
	v_fmac_f32_e32 v67, v18, v86
	v_dual_fmac_f32 v69, v19, v86 :: v_dual_fmac_f32 v66, v13, v87
	global_load_b128 v[16:19], v[59:60], off offset:6192
	v_fmac_f32_e32 v68, 0x80000000, v86
	v_dual_fmac_f32 v63, 0x80000000, v86 :: v_dual_fmac_f32 v64, 0x80000000, v88
	v_fmac_f32_e32 v62, 0, v87
	v_fmac_f32_e32 v65, 0, v87
	;; [unrolled: 1-line block ×3, first 2 shown]
	v_dual_fmac_f32 v67, 0, v87 :: v_dual_fmac_f32 v66, 0x80000000, v88
	s_delay_alu instid0(VALU_DEP_4) | instskip(NEXT) | instid1(VALU_DEP_4)
	v_fmac_f32_e32 v62, v12, v88
	v_dual_fmac_f32 v65, v13, v88 :: v_dual_fmac_f32 v64, v8, v89
	s_delay_alu instid0(VALU_DEP_4) | instskip(NEXT) | instid1(VALU_DEP_4)
	v_fmac_f32_e32 v69, v15, v88
	;; [unrolled: 3-line block ×3, first 2 shown]
	v_dual_fmac_f32 v65, 0, v89 :: v_dual_fmac_f32 v64, 0x80000000, v90
	s_delay_alu instid0(VALU_DEP_4) | instskip(SKIP_1) | instid1(VALU_DEP_4)
	v_fmac_f32_e32 v69, 0, v89
	v_dual_fmac_f32 v68, v14, v87 :: v_dual_add_nc_u32 v57, 0x80, v57
	v_fmac_f32_e32 v62, v8, v90
	s_delay_alu instid0(VALU_DEP_4) | instskip(SKIP_4) | instid1(VALU_DEP_4)
	v_fmac_f32_e32 v65, v9, v90
	v_fmac_f32_e32 v63, v15, v87
	v_dual_fmac_f32 v67, 0, v89 :: v_dual_fmac_f32 v66, 0x80000000, v90
	v_fmac_f32_e32 v68, 0x80000000, v88
	v_add_co_u32 v59, vcc_lo, 0x2000, v59
	v_fmac_f32_e32 v63, 0x80000000, v88
	s_delay_alu instid0(VALU_DEP_4) | instskip(NEXT) | instid1(VALU_DEP_4)
	v_fmac_f32_e32 v67, v10, v90
	v_fmac_f32_e32 v68, v10, v89
	s_wait_alu 0xfffd
	v_add_co_ci_u32_e64 v60, null, 0, v60, vcc_lo
	v_fmac_f32_e32 v63, v11, v89
	v_cmp_ge_i32_e32 vcc_lo, v57, v70
	v_fmac_f32_e32 v68, 0x80000000, v90
	s_delay_alu instid0(VALU_DEP_3)
	v_fmac_f32_e32 v63, 0x80000000, v90
	s_wait_alu 0xfffe
	s_or_b32 s6, vcc_lo, s6
	s_wait_loadcnt 0x5
	v_dual_fmac_f32 v64, v4, v40 :: v_dual_fmac_f32 v69, v11, v90
	v_fmac_f32_e32 v62, 0, v40
	v_fmac_f32_e32 v65, 0, v40
	;; [unrolled: 1-line block ×3, first 2 shown]
	s_delay_alu instid0(VALU_DEP_4) | instskip(NEXT) | instid1(VALU_DEP_4)
	v_dual_fmac_f32 v64, 0x80000000, v41 :: v_dual_fmac_f32 v69, 0, v40
	v_fmac_f32_e32 v62, v4, v41
	s_delay_alu instid0(VALU_DEP_4) | instskip(NEXT) | instid1(VALU_DEP_4)
	v_fmac_f32_e32 v65, v5, v41
	v_dual_fmac_f32 v67, 0, v40 :: v_dual_fmac_f32 v66, 0x80000000, v41
	s_delay_alu instid0(VALU_DEP_4) | instskip(NEXT) | instid1(VALU_DEP_4)
	v_dual_fmac_f32 v64, v0, v42 :: v_dual_fmac_f32 v69, v7, v41
	v_fmac_f32_e32 v62, 0, v42
	s_delay_alu instid0(VALU_DEP_4) | instskip(NEXT) | instid1(VALU_DEP_4)
	v_fmac_f32_e32 v65, 0, v42
	v_dual_fmac_f32 v67, v6, v41 :: v_dual_fmac_f32 v66, v1, v42
	s_delay_alu instid0(VALU_DEP_4) | instskip(NEXT) | instid1(VALU_DEP_4)
	v_dual_fmac_f32 v64, 0x80000000, v43 :: v_dual_fmac_f32 v69, 0, v42
	v_fmac_f32_e32 v62, v0, v43
	s_delay_alu instid0(VALU_DEP_4) | instskip(SKIP_1) | instid1(VALU_DEP_3)
	v_dual_fmac_f32 v65, v1, v43 :: v_dual_fmac_f32 v68, v6, v40
	s_wait_loadcnt 0x4
	v_fmac_f32_e32 v64, v44, v32
	v_fmac_f32_e32 v63, v7, v40
	v_dual_fmac_f32 v67, 0, v42 :: v_dual_fmac_f32 v66, 0x80000000, v43
	s_delay_alu instid0(VALU_DEP_3)
	v_dual_fmac_f32 v69, v3, v43 :: v_dual_fmac_f32 v64, 0x80000000, v33
	v_fmac_f32_e32 v62, 0, v32
	v_dual_fmac_f32 v65, 0, v32 :: v_dual_fmac_f32 v68, 0x80000000, v41
	v_fmac_f32_e32 v63, 0x80000000, v41
	v_dual_fmac_f32 v67, v2, v43 :: v_dual_fmac_f32 v66, v45, v32
	v_dual_fmac_f32 v69, 0, v32 :: v_dual_fmac_f32 v64, v36, v34
	v_fmac_f32_e32 v62, v44, v33
	v_dual_fmac_f32 v65, v45, v33 :: v_dual_fmac_f32 v68, v2, v42
	v_fmac_f32_e32 v63, v3, v42
	v_dual_fmac_f32 v67, 0, v32 :: v_dual_fmac_f32 v66, 0x80000000, v33
	v_dual_fmac_f32 v69, v47, v33 :: v_dual_fmac_f32 v64, 0x80000000, v35
	v_fmac_f32_e32 v62, 0, v34
	v_dual_fmac_f32 v65, 0, v34 :: v_dual_fmac_f32 v68, 0x80000000, v43
	v_fmac_f32_e32 v63, 0x80000000, v43
	v_dual_fmac_f32 v67, v46, v33 :: v_dual_fmac_f32 v66, v37, v34
	s_wait_loadcnt 0x3
	v_dual_fmac_f32 v69, 0, v34 :: v_dual_fmac_f32 v64, v28, v91
	v_fmac_f32_e32 v62, v36, v35
	v_dual_fmac_f32 v65, v37, v35 :: v_dual_fmac_f32 v68, v46, v32
	v_fmac_f32_e32 v63, v47, v32
	v_dual_fmac_f32 v67, 0, v34 :: v_dual_fmac_f32 v66, 0x80000000, v35
	s_delay_alu instid0(VALU_DEP_3) | instskip(NEXT) | instid1(VALU_DEP_4)
	v_dual_fmac_f32 v64, 0x80000000, v92 :: v_dual_fmac_f32 v65, 0, v91
	v_fmac_f32_e32 v68, 0x80000000, v33
	s_delay_alu instid0(VALU_DEP_4) | instskip(NEXT) | instid1(VALU_DEP_3)
	v_fmac_f32_e32 v63, 0x80000000, v33
	v_fmac_f32_e32 v64, v20, v93
	s_delay_alu instid0(VALU_DEP_4) | instskip(SKIP_2) | instid1(VALU_DEP_3)
	v_dual_fmac_f32 v62, 0, v91 :: v_dual_fmac_f32 v65, v29, v92
	v_fmac_f32_e32 v67, v38, v35
	v_fmac_f32_e32 v68, v38, v34
	v_dual_fmac_f32 v63, v39, v34 :: v_dual_fmac_f32 v62, v28, v92
	s_delay_alu instid0(VALU_DEP_3) | instskip(NEXT) | instid1(VALU_DEP_3)
	v_dual_fmac_f32 v64, 0x80000000, v94 :: v_dual_fmac_f32 v67, 0, v91
	v_fmac_f32_e32 v68, 0x80000000, v35
	s_delay_alu instid0(VALU_DEP_3) | instskip(NEXT) | instid1(VALU_DEP_3)
	v_fmac_f32_e32 v62, 0, v93
	v_dual_fmac_f32 v66, v29, v91 :: v_dual_fmac_f32 v67, v30, v92
	v_fmac_f32_e32 v63, 0x80000000, v35
	s_delay_alu instid0(VALU_DEP_3) | instskip(NEXT) | instid1(VALU_DEP_3)
	v_dual_fmac_f32 v65, 0, v93 :: v_dual_fmac_f32 v62, v20, v94
	v_fmac_f32_e32 v66, 0x80000000, v92
	s_wait_loadcnt 0x2
	v_fmac_f32_e32 v64, v71, v79
	v_fmac_f32_e32 v63, v31, v91
	v_dual_fmac_f32 v65, v21, v94 :: v_dual_fmac_f32 v62, 0, v79
	v_fmac_f32_e32 v66, v21, v93
	s_delay_alu instid0(VALU_DEP_3) | instskip(SKIP_1) | instid1(VALU_DEP_3)
	v_dual_fmac_f32 v68, v30, v91 :: v_dual_fmac_f32 v63, 0x80000000, v92
	v_fmac_f32_e32 v69, v39, v35
	v_dual_fmac_f32 v67, 0, v93 :: v_dual_fmac_f32 v66, 0x80000000, v94
	s_delay_alu instid0(VALU_DEP_3) | instskip(NEXT) | instid1(VALU_DEP_3)
	v_dual_fmac_f32 v68, 0x80000000, v92 :: v_dual_fmac_f32 v65, 0, v79
	v_dual_fmac_f32 v62, v71, v80 :: v_dual_fmac_f32 v69, 0, v91
	s_delay_alu instid0(VALU_DEP_3) | instskip(NEXT) | instid1(VALU_DEP_3)
	v_dual_fmac_f32 v67, v22, v94 :: v_dual_fmac_f32 v66, v72, v79
	v_fmac_f32_e32 v68, v22, v93
	v_fmac_f32_e32 v63, v23, v93
	s_delay_alu instid0(VALU_DEP_4) | instskip(NEXT) | instid1(VALU_DEP_4)
	v_fmac_f32_e32 v69, v31, v92
	v_dual_fmac_f32 v67, 0, v79 :: v_dual_fmac_f32 v66, 0x80000000, v80
	s_delay_alu instid0(VALU_DEP_4) | instskip(NEXT) | instid1(VALU_DEP_4)
	v_fmac_f32_e32 v68, 0x80000000, v94
	v_fmac_f32_e32 v63, 0x80000000, v94
	s_delay_alu instid0(VALU_DEP_4) | instskip(SKIP_1) | instid1(VALU_DEP_2)
	v_dual_fmac_f32 v69, 0, v93 :: v_dual_fmac_f32 v64, 0x80000000, v80
	v_dual_fmac_f32 v65, v72, v80 :: v_dual_fmac_f32 v62, 0, v81
	v_dual_fmac_f32 v68, v73, v79 :: v_dual_fmac_f32 v69, v23, v94
	s_delay_alu instid0(VALU_DEP_3) | instskip(SKIP_1) | instid1(VALU_DEP_3)
	v_dual_fmac_f32 v63, v74, v79 :: v_dual_fmac_f32 v64, v48, v81
	v_fmac_f32_e32 v66, v49, v81
	v_dual_fmac_f32 v68, 0x80000000, v80 :: v_dual_fmac_f32 v69, 0, v79
	v_fmac_f32_e32 v67, v73, v80
	s_delay_alu instid0(VALU_DEP_4) | instskip(SKIP_1) | instid1(VALU_DEP_4)
	v_fmac_f32_e32 v63, 0x80000000, v80
	v_dual_fmac_f32 v65, 0, v81 :: v_dual_fmac_f32 v62, v48, v82
	v_dual_fmac_f32 v69, v74, v80 :: v_dual_fmac_f32 v64, 0x80000000, v82
	v_fmac_f32_e32 v68, v50, v81
	v_dual_fmac_f32 v67, 0, v81 :: v_dual_fmac_f32 v66, 0x80000000, v82
	v_fmac_f32_e32 v63, v51, v81
	s_wait_loadcnt 0x1
	v_dual_fmac_f32 v69, 0, v81 :: v_dual_fmac_f32 v64, v75, v24
	v_dual_fmac_f32 v65, v49, v82 :: v_dual_fmac_f32 v62, 0, v24
	v_fmac_f32_e32 v68, 0x80000000, v82
	v_dual_fmac_f32 v67, v50, v82 :: v_dual_fmac_f32 v66, v76, v24
	v_fmac_f32_e32 v63, 0x80000000, v82
	v_dual_fmac_f32 v69, v51, v82 :: v_dual_fmac_f32 v64, 0x80000000, v25
	v_dual_fmac_f32 v65, 0, v24 :: v_dual_fmac_f32 v62, v75, v25
	v_fmac_f32_e32 v68, v77, v24
	v_dual_fmac_f32 v67, 0, v24 :: v_dual_fmac_f32 v66, 0x80000000, v25
	v_fmac_f32_e32 v63, v78, v24
	s_wait_loadcnt 0x0
	v_dual_fmac_f32 v69, 0, v24 :: v_dual_fmac_f32 v64, v16, v26
	v_dual_fmac_f32 v65, v76, v25 :: v_dual_fmac_f32 v62, 0, v26
	v_fmac_f32_e32 v68, 0x80000000, v25
	v_fmac_f32_e32 v67, v77, v25
	v_dual_fmac_f32 v63, 0x80000000, v25 :: v_dual_fmac_f32 v66, v17, v26
	v_dual_fmac_f32 v69, v78, v25 :: v_dual_fmac_f32 v64, 0x80000000, v27
	;; [unrolled: 1-line block ×3, first 2 shown]
	v_fmac_f32_e32 v68, v18, v26
	s_delay_alu instid0(VALU_DEP_4)
	v_dual_fmac_f32 v67, 0, v26 :: v_dual_fmac_f32 v66, 0x80000000, v27
	v_fmac_f32_e32 v63, v19, v26
	v_fmac_f32_e32 v69, 0, v26
	;; [unrolled: 1-line block ×7, first 2 shown]
	s_wait_alu 0xfffe
	s_and_not1_b32 exec_lo, exec_lo, s6
	s_cbranch_execnz .LBB123_31
; %bb.32:
	s_or_b32 exec_lo, exec_lo, s6
.LBB123_33:
	s_wait_alu 0xfffe
	s_or_b32 exec_lo, exec_lo, s2
.LBB123_34:
	s_wait_alu 0xfffe
	s_or_b32 exec_lo, exec_lo, s3
.LBB123_35:
	v_mbcnt_lo_u32_b32 v0, -1, 0
	s_delay_alu instid0(VALU_DEP_1) | instskip(SKIP_2) | instid1(VALU_DEP_3)
	v_xor_b32_e32 v1, 16, v0
	v_xor_b32_e32 v9, 8, v0
	;; [unrolled: 1-line block ×3, first 2 shown]
	v_cmp_gt_i32_e32 vcc_lo, 32, v1
	s_wait_alu 0xfffd
	v_cndmask_b32_e32 v1, v0, v1, vcc_lo
	v_cmp_gt_i32_e32 vcc_lo, 32, v9
	s_delay_alu instid0(VALU_DEP_2)
	v_lshlrev_b32_e32 v1, 2, v1
	ds_bpermute_b32 v2, v1, v64
	s_wait_dscnt 0x0
	v_add_f32_e32 v2, v64, v2
	ds_bpermute_b32 v4, v1, v66
	ds_bpermute_b32 v8, v1, v63
	ds_bpermute_b32 v6, v1, v68
	s_wait_alu 0xfffd
	v_cndmask_b32_e32 v9, v0, v9, vcc_lo
	ds_bpermute_b32 v3, v1, v62
	ds_bpermute_b32 v5, v1, v65
	;; [unrolled: 1-line block ×4, first 2 shown]
	v_cmp_gt_i32_e32 vcc_lo, 32, v17
	s_wait_dscnt 0x6
	s_wait_alu 0xfffd
	v_dual_cndmask_b32 v17, v0, v17 :: v_dual_add_f32 v4, v66, v4
	s_wait_dscnt 0x5
	v_dual_add_f32 v8, v63, v8 :: v_dual_lshlrev_b32 v9, 2, v9
	s_wait_dscnt 0x4
	v_add_f32_e32 v6, v68, v6
	ds_bpermute_b32 v12, v9, v4
	s_wait_dscnt 0x4
	v_add_f32_e32 v3, v62, v3
	ds_bpermute_b32 v10, v9, v2
	ds_bpermute_b32 v14, v9, v6
	ds_bpermute_b32 v16, v9, v8
	s_wait_dscnt 0x6
	v_add_f32_e32 v5, v65, v5
	s_wait_dscnt 0x5
	v_add_f32_e32 v7, v67, v7
	s_wait_dscnt 0x3
	v_dual_add_f32 v1, v69, v1 :: v_dual_add_f32 v4, v4, v12
	ds_bpermute_b32 v11, v9, v3
	s_wait_dscnt 0x3
	v_dual_add_f32 v2, v2, v10 :: v_dual_lshlrev_b32 v17, 2, v17
	ds_bpermute_b32 v13, v9, v5
	s_wait_dscnt 0x3
	v_add_f32_e32 v6, v6, v14
	ds_bpermute_b32 v15, v9, v7
	s_wait_dscnt 0x3
	v_add_f32_e32 v8, v8, v16
	;; [unrolled: 3-line block ×4, first 2 shown]
	s_wait_dscnt 0x0
	v_dual_add_f32 v4, v4, v11 :: v_dual_add_f32 v1, v1, v9
	ds_bpermute_b32 v9, v17, v2
	ds_bpermute_b32 v15, v17, v8
	v_add_f32_e32 v5, v5, v13
	ds_bpermute_b32 v13, v17, v6
	ds_bpermute_b32 v16, v17, v1
	s_wait_dscnt 0x3
	v_add_f32_e32 v2, v2, v9
	ds_bpermute_b32 v10, v17, v3
	s_wait_dscnt 0x3
	v_add_f32_e32 v8, v8, v15
	;; [unrolled: 3-line block ×3, first 2 shown]
	ds_bpermute_b32 v14, v17, v7
	v_xor_b32_e32 v17, 2, v0
	s_wait_dscnt 0x3
	v_add_f32_e32 v9, v1, v16
	s_delay_alu instid0(VALU_DEP_2) | instskip(SKIP_2) | instid1(VALU_DEP_1)
	v_cmp_gt_i32_e32 vcc_lo, 32, v17
	s_wait_alu 0xfffd
	v_cndmask_b32_e32 v17, v0, v17, vcc_lo
	v_lshlrev_b32_e32 v17, 2, v17
	s_wait_dscnt 0x2
	v_add_f32_e32 v3, v3, v10
	ds_bpermute_b32 v1, v17, v2
	s_wait_dscnt 0x2
	v_add_f32_e32 v5, v5, v12
	ds_bpermute_b32 v13, v17, v6
	;; [unrolled: 3-line block ×3, first 2 shown]
	ds_bpermute_b32 v11, v17, v4
	ds_bpermute_b32 v12, v17, v5
	;; [unrolled: 1-line block ×5, first 2 shown]
	v_xor_b32_e32 v17, 1, v0
	s_delay_alu instid0(VALU_DEP_1) | instskip(SKIP_4) | instid1(VALU_DEP_2)
	v_cmp_gt_i32_e32 vcc_lo, 32, v17
	s_wait_alu 0xfffd
	v_cndmask_b32_e32 v0, v0, v17, vcc_lo
	v_cmp_eq_u32_e32 vcc_lo, 31, v61
	s_wait_dscnt 0x7
	v_dual_add_f32 v0, v2, v1 :: v_dual_lshlrev_b32 v17, 2, v0
	s_wait_dscnt 0x4
	v_dual_add_f32 v1, v3, v10 :: v_dual_add_f32 v2, v4, v11
	s_wait_dscnt 0x3
	v_dual_add_f32 v3, v5, v12 :: v_dual_add_f32 v4, v6, v13
	;; [unrolled: 2-line block ×3, first 2 shown]
	s_wait_dscnt 0x0
	v_add_f32_e32 v7, v9, v16
	ds_bpermute_b32 v8, v17, v0
	ds_bpermute_b32 v9, v17, v1
	ds_bpermute_b32 v10, v17, v2
	ds_bpermute_b32 v11, v17, v3
	ds_bpermute_b32 v12, v17, v4
	ds_bpermute_b32 v13, v17, v5
	ds_bpermute_b32 v14, v17, v6
	ds_bpermute_b32 v15, v17, v7
	s_and_b32 exec_lo, exec_lo, vcc_lo
	s_cbranch_execz .LBB123_8
; %bb.36:
	s_load_b64 s[2:3], s[0:1], 0x50
	s_wait_dscnt 0x7
	v_add_f32_e32 v8, v0, v8
	s_wait_dscnt 0x4
	v_dual_add_f32 v0, v1, v9 :: v_dual_add_f32 v1, v3, v11
	s_wait_dscnt 0x2
	v_dual_add_f32 v9, v2, v10 :: v_dual_add_f32 v2, v5, v13
	;; [unrolled: 2-line block ×3, first 2 shown]
	v_add_f32_e32 v11, v6, v14
	v_mul_f32_e64 v4, v0, -v55
	v_mul_f32_e32 v5, v54, v0
	v_mul_f32_e64 v6, v1, -v55
	v_mul_f32_e32 v7, v54, v1
	;; [unrolled: 2-line block ×4, first 2 shown]
	v_cmp_eq_f32_e32 vcc_lo, 0, v52
	v_cmp_eq_f32_e64 s0, 0, v53
	v_fmac_f32_e32 v4, v54, v8
	v_dual_fmac_f32 v5, v55, v8 :: v_dual_fmac_f32 v6, v54, v9
	v_dual_fmac_f32 v7, v55, v9 :: v_dual_lshlrev_b32 v8, 2, v56
	v_dual_fmac_f32 v0, v54, v10 :: v_dual_fmac_f32 v3, v55, v11
	v_dual_fmac_f32 v1, v55, v10 :: v_dual_fmac_f32 v2, v54, v11
	s_and_b32 s0, vcc_lo, s0
	s_wait_alu 0xfffe
	s_and_saveexec_b32 s1, s0
	s_wait_alu 0xfffe
	s_xor_b32 s0, exec_lo, s1
	s_cbranch_execz .LBB123_38
; %bb.37:
	v_ashrrev_i32_e32 v9, 31, v8
                                        ; implicit-def: $vgpr52_vgpr53
	s_delay_alu instid0(VALU_DEP_1) | instskip(SKIP_1) | instid1(VALU_DEP_1)
	v_lshlrev_b64_e32 v[8:9], 3, v[8:9]
	s_wait_kmcnt 0x0
	v_add_co_u32 v8, vcc_lo, s2, v8
	s_wait_alu 0xfffd
	s_delay_alu instid0(VALU_DEP_2)
	v_add_co_ci_u32_e64 v9, null, s3, v9, vcc_lo
	s_clause 0x1
	global_store_b128 v[8:9], v[4:7], off
	global_store_b128 v[8:9], v[0:3], off offset:16
                                        ; implicit-def: $vgpr4
                                        ; implicit-def: $vgpr8
                                        ; implicit-def: $vgpr0
.LBB123_38:
	s_wait_alu 0xfffe
	s_and_not1_saveexec_b32 s0, s0
	s_cbranch_execz .LBB123_8
; %bb.39:
	v_ashrrev_i32_e32 v9, 31, v8
	s_delay_alu instid0(VALU_DEP_1) | instskip(SKIP_1) | instid1(VALU_DEP_1)
	v_lshlrev_b64_e32 v[8:9], 3, v[8:9]
	s_wait_kmcnt 0x0
	v_add_co_u32 v16, vcc_lo, s2, v8
	s_wait_alu 0xfffd
	s_delay_alu instid0(VALU_DEP_2)
	v_add_co_ci_u32_e64 v17, null, s3, v9, vcc_lo
	s_clause 0x1
	global_load_b128 v[8:11], v[16:17], off
	global_load_b128 v[12:15], v[16:17], off offset:16
	s_wait_loadcnt 0x1
	v_dual_fmac_f32 v4, v52, v8 :: v_dual_fmac_f32 v7, v53, v10
	v_dual_fmac_f32 v5, v53, v8 :: v_dual_fmac_f32 v6, v52, v10
	s_wait_loadcnt 0x0
	v_dual_fmac_f32 v0, v52, v12 :: v_dual_fmac_f32 v3, v53, v14
	v_dual_fmac_f32 v1, v53, v12 :: v_dual_fmac_f32 v2, v52, v14
	v_fma_f32 v4, -v53, v9, v4
	v_fmac_f32_e32 v5, v52, v9
	v_fma_f32 v6, -v53, v11, v6
	v_fmac_f32_e32 v7, v52, v11
	;; [unrolled: 2-line block ×4, first 2 shown]
	s_clause 0x1
	global_store_b128 v[16:17], v[4:7], off
	global_store_b128 v[16:17], v[0:3], off offset:16
	s_nop 0
	s_sendmsg sendmsg(MSG_DEALLOC_VGPRS)
	s_endpgm
	.section	.rodata,"a",@progbits
	.p2align	6, 0x0
	.amdhsa_kernel _ZN9rocsparseL18bsrxmvn_4x4_kernelILj128ELj32E21rocsparse_complex_numIfEiifS2_S2_EEvT3_20rocsparse_direction_NS_24const_host_device_scalarIT1_EES3_PKS3_PKT2_SC_S9_PKT4_PKT5_S7_PT6_21rocsparse_index_base_b
		.amdhsa_group_segment_fixed_size 0
		.amdhsa_private_segment_fixed_size 0
		.amdhsa_kernarg_size 96
		.amdhsa_user_sgpr_count 2
		.amdhsa_user_sgpr_dispatch_ptr 0
		.amdhsa_user_sgpr_queue_ptr 0
		.amdhsa_user_sgpr_kernarg_segment_ptr 1
		.amdhsa_user_sgpr_dispatch_id 0
		.amdhsa_user_sgpr_private_segment_size 0
		.amdhsa_wavefront_size32 1
		.amdhsa_uses_dynamic_stack 0
		.amdhsa_enable_private_segment 0
		.amdhsa_system_sgpr_workgroup_id_x 1
		.amdhsa_system_sgpr_workgroup_id_y 0
		.amdhsa_system_sgpr_workgroup_id_z 0
		.amdhsa_system_sgpr_workgroup_info 0
		.amdhsa_system_vgpr_workitem_id 0
		.amdhsa_next_free_vgpr 105
		.amdhsa_next_free_sgpr 14
		.amdhsa_reserve_vcc 1
		.amdhsa_float_round_mode_32 0
		.amdhsa_float_round_mode_16_64 0
		.amdhsa_float_denorm_mode_32 3
		.amdhsa_float_denorm_mode_16_64 3
		.amdhsa_fp16_overflow 0
		.amdhsa_workgroup_processor_mode 1
		.amdhsa_memory_ordered 1
		.amdhsa_forward_progress 1
		.amdhsa_inst_pref_size 61
		.amdhsa_round_robin_scheduling 0
		.amdhsa_exception_fp_ieee_invalid_op 0
		.amdhsa_exception_fp_denorm_src 0
		.amdhsa_exception_fp_ieee_div_zero 0
		.amdhsa_exception_fp_ieee_overflow 0
		.amdhsa_exception_fp_ieee_underflow 0
		.amdhsa_exception_fp_ieee_inexact 0
		.amdhsa_exception_int_div_zero 0
	.end_amdhsa_kernel
	.section	.text._ZN9rocsparseL18bsrxmvn_4x4_kernelILj128ELj32E21rocsparse_complex_numIfEiifS2_S2_EEvT3_20rocsparse_direction_NS_24const_host_device_scalarIT1_EES3_PKS3_PKT2_SC_S9_PKT4_PKT5_S7_PT6_21rocsparse_index_base_b,"axG",@progbits,_ZN9rocsparseL18bsrxmvn_4x4_kernelILj128ELj32E21rocsparse_complex_numIfEiifS2_S2_EEvT3_20rocsparse_direction_NS_24const_host_device_scalarIT1_EES3_PKS3_PKT2_SC_S9_PKT4_PKT5_S7_PT6_21rocsparse_index_base_b,comdat
.Lfunc_end123:
	.size	_ZN9rocsparseL18bsrxmvn_4x4_kernelILj128ELj32E21rocsparse_complex_numIfEiifS2_S2_EEvT3_20rocsparse_direction_NS_24const_host_device_scalarIT1_EES3_PKS3_PKT2_SC_S9_PKT4_PKT5_S7_PT6_21rocsparse_index_base_b, .Lfunc_end123-_ZN9rocsparseL18bsrxmvn_4x4_kernelILj128ELj32E21rocsparse_complex_numIfEiifS2_S2_EEvT3_20rocsparse_direction_NS_24const_host_device_scalarIT1_EES3_PKS3_PKT2_SC_S9_PKT4_PKT5_S7_PT6_21rocsparse_index_base_b
                                        ; -- End function
	.set _ZN9rocsparseL18bsrxmvn_4x4_kernelILj128ELj32E21rocsparse_complex_numIfEiifS2_S2_EEvT3_20rocsparse_direction_NS_24const_host_device_scalarIT1_EES3_PKS3_PKT2_SC_S9_PKT4_PKT5_S7_PT6_21rocsparse_index_base_b.num_vgpr, 105
	.set _ZN9rocsparseL18bsrxmvn_4x4_kernelILj128ELj32E21rocsparse_complex_numIfEiifS2_S2_EEvT3_20rocsparse_direction_NS_24const_host_device_scalarIT1_EES3_PKS3_PKT2_SC_S9_PKT4_PKT5_S7_PT6_21rocsparse_index_base_b.num_agpr, 0
	.set _ZN9rocsparseL18bsrxmvn_4x4_kernelILj128ELj32E21rocsparse_complex_numIfEiifS2_S2_EEvT3_20rocsparse_direction_NS_24const_host_device_scalarIT1_EES3_PKS3_PKT2_SC_S9_PKT4_PKT5_S7_PT6_21rocsparse_index_base_b.numbered_sgpr, 14
	.set _ZN9rocsparseL18bsrxmvn_4x4_kernelILj128ELj32E21rocsparse_complex_numIfEiifS2_S2_EEvT3_20rocsparse_direction_NS_24const_host_device_scalarIT1_EES3_PKS3_PKT2_SC_S9_PKT4_PKT5_S7_PT6_21rocsparse_index_base_b.num_named_barrier, 0
	.set _ZN9rocsparseL18bsrxmvn_4x4_kernelILj128ELj32E21rocsparse_complex_numIfEiifS2_S2_EEvT3_20rocsparse_direction_NS_24const_host_device_scalarIT1_EES3_PKS3_PKT2_SC_S9_PKT4_PKT5_S7_PT6_21rocsparse_index_base_b.private_seg_size, 0
	.set _ZN9rocsparseL18bsrxmvn_4x4_kernelILj128ELj32E21rocsparse_complex_numIfEiifS2_S2_EEvT3_20rocsparse_direction_NS_24const_host_device_scalarIT1_EES3_PKS3_PKT2_SC_S9_PKT4_PKT5_S7_PT6_21rocsparse_index_base_b.uses_vcc, 1
	.set _ZN9rocsparseL18bsrxmvn_4x4_kernelILj128ELj32E21rocsparse_complex_numIfEiifS2_S2_EEvT3_20rocsparse_direction_NS_24const_host_device_scalarIT1_EES3_PKS3_PKT2_SC_S9_PKT4_PKT5_S7_PT6_21rocsparse_index_base_b.uses_flat_scratch, 0
	.set _ZN9rocsparseL18bsrxmvn_4x4_kernelILj128ELj32E21rocsparse_complex_numIfEiifS2_S2_EEvT3_20rocsparse_direction_NS_24const_host_device_scalarIT1_EES3_PKS3_PKT2_SC_S9_PKT4_PKT5_S7_PT6_21rocsparse_index_base_b.has_dyn_sized_stack, 0
	.set _ZN9rocsparseL18bsrxmvn_4x4_kernelILj128ELj32E21rocsparse_complex_numIfEiifS2_S2_EEvT3_20rocsparse_direction_NS_24const_host_device_scalarIT1_EES3_PKS3_PKT2_SC_S9_PKT4_PKT5_S7_PT6_21rocsparse_index_base_b.has_recursion, 0
	.set _ZN9rocsparseL18bsrxmvn_4x4_kernelILj128ELj32E21rocsparse_complex_numIfEiifS2_S2_EEvT3_20rocsparse_direction_NS_24const_host_device_scalarIT1_EES3_PKS3_PKT2_SC_S9_PKT4_PKT5_S7_PT6_21rocsparse_index_base_b.has_indirect_call, 0
	.section	.AMDGPU.csdata,"",@progbits
; Kernel info:
; codeLenInByte = 7700
; TotalNumSgprs: 16
; NumVgprs: 105
; ScratchSize: 0
; MemoryBound: 0
; FloatMode: 240
; IeeeMode: 1
; LDSByteSize: 0 bytes/workgroup (compile time only)
; SGPRBlocks: 0
; VGPRBlocks: 13
; NumSGPRsForWavesPerEU: 16
; NumVGPRsForWavesPerEU: 105
; Occupancy: 12
; WaveLimiterHint : 1
; COMPUTE_PGM_RSRC2:SCRATCH_EN: 0
; COMPUTE_PGM_RSRC2:USER_SGPR: 2
; COMPUTE_PGM_RSRC2:TRAP_HANDLER: 0
; COMPUTE_PGM_RSRC2:TGID_X_EN: 1
; COMPUTE_PGM_RSRC2:TGID_Y_EN: 0
; COMPUTE_PGM_RSRC2:TGID_Z_EN: 0
; COMPUTE_PGM_RSRC2:TIDIG_COMP_CNT: 0
	.section	.text._ZN9rocsparseL18bsrxmvn_4x4_kernelILj128ELj64E21rocsparse_complex_numIfEiifS2_S2_EEvT3_20rocsparse_direction_NS_24const_host_device_scalarIT1_EES3_PKS3_PKT2_SC_S9_PKT4_PKT5_S7_PT6_21rocsparse_index_base_b,"axG",@progbits,_ZN9rocsparseL18bsrxmvn_4x4_kernelILj128ELj64E21rocsparse_complex_numIfEiifS2_S2_EEvT3_20rocsparse_direction_NS_24const_host_device_scalarIT1_EES3_PKS3_PKT2_SC_S9_PKT4_PKT5_S7_PT6_21rocsparse_index_base_b,comdat
	.globl	_ZN9rocsparseL18bsrxmvn_4x4_kernelILj128ELj64E21rocsparse_complex_numIfEiifS2_S2_EEvT3_20rocsparse_direction_NS_24const_host_device_scalarIT1_EES3_PKS3_PKT2_SC_S9_PKT4_PKT5_S7_PT6_21rocsparse_index_base_b ; -- Begin function _ZN9rocsparseL18bsrxmvn_4x4_kernelILj128ELj64E21rocsparse_complex_numIfEiifS2_S2_EEvT3_20rocsparse_direction_NS_24const_host_device_scalarIT1_EES3_PKS3_PKT2_SC_S9_PKT4_PKT5_S7_PT6_21rocsparse_index_base_b
	.p2align	8
	.type	_ZN9rocsparseL18bsrxmvn_4x4_kernelILj128ELj64E21rocsparse_complex_numIfEiifS2_S2_EEvT3_20rocsparse_direction_NS_24const_host_device_scalarIT1_EES3_PKS3_PKT2_SC_S9_PKT4_PKT5_S7_PT6_21rocsparse_index_base_b,@function
_ZN9rocsparseL18bsrxmvn_4x4_kernelILj128ELj64E21rocsparse_complex_numIfEiifS2_S2_EEvT3_20rocsparse_direction_NS_24const_host_device_scalarIT1_EES3_PKS3_PKT2_SC_S9_PKT4_PKT5_S7_PT6_21rocsparse_index_base_b: ; @_ZN9rocsparseL18bsrxmvn_4x4_kernelILj128ELj64E21rocsparse_complex_numIfEiifS2_S2_EEvT3_20rocsparse_direction_NS_24const_host_device_scalarIT1_EES3_PKS3_PKT2_SC_S9_PKT4_PKT5_S7_PT6_21rocsparse_index_base_b
; %bb.0:
	s_clause 0x2
	s_load_b64 s[12:13], s[0:1], 0x58
	s_load_b64 s[2:3], s[0:1], 0x8
	;; [unrolled: 1-line block ×3, first 2 shown]
	s_add_nc_u64 s[6:7], s[0:1], 8
	s_wait_kmcnt 0x0
	s_bitcmp1_b32 s13, 0
	s_cselect_b32 s2, s6, s2
	s_cselect_b32 s3, s7, s3
	s_delay_alu instid0(SALU_CYCLE_1)
	v_dual_mov_b32 v1, s2 :: v_dual_mov_b32 v2, s3
	s_add_nc_u64 s[2:3], s[0:1], 0x48
	s_wait_alu 0xfffe
	s_cselect_b32 s2, s2, s4
	s_cselect_b32 s3, s3, s5
	flat_load_b64 v[54:55], v[1:2]
	s_wait_alu 0xfffe
	v_dual_mov_b32 v1, s2 :: v_dual_mov_b32 v2, s3
	flat_load_b64 v[52:53], v[1:2]
	s_wait_loadcnt_dscnt 0x101
	v_cmp_eq_f32_e32 vcc_lo, 0, v54
	v_cmp_eq_f32_e64 s2, 0, v55
	s_and_b32 s4, vcc_lo, s2
	s_mov_b32 s2, -1
	s_and_saveexec_b32 s3, s4
	s_cbranch_execz .LBB124_2
; %bb.1:
	s_wait_loadcnt_dscnt 0x0
	v_cmp_neq_f32_e32 vcc_lo, 1.0, v52
	v_cmp_neq_f32_e64 s2, 0, v53
	s_wait_alu 0xfffe
	s_or_b32 s2, vcc_lo, s2
	s_wait_alu 0xfffe
	s_or_not1_b32 s2, s2, exec_lo
.LBB124_2:
	s_wait_alu 0xfffe
	s_or_b32 exec_lo, exec_lo, s3
	s_and_saveexec_b32 s3, s2
	s_cbranch_execz .LBB124_8
; %bb.3:
	s_clause 0x1
	s_load_b64 s[4:5], s[0:1], 0x18
	s_load_b64 s[2:3], s[0:1], 0x0
	v_lshrrev_b32_e32 v1, 6, v0
	s_delay_alu instid0(VALU_DEP_1)
	v_lshl_or_b32 v56, ttmp9, 1, v1
	s_wait_kmcnt 0x0
	s_cmp_lg_u64 s[4:5], 0
	s_cbranch_scc0 .LBB124_9
; %bb.4:
	s_load_b32 s6, s[0:1], 0x10
	s_mov_b32 s7, 0
                                        ; implicit-def: $vgpr1
	s_wait_kmcnt 0x0
	v_cmp_gt_i32_e32 vcc_lo, s6, v56
	s_mov_b32 s6, 0
	s_and_saveexec_b32 s8, vcc_lo
	s_delay_alu instid0(SALU_CYCLE_1)
	s_xor_b32 s8, exec_lo, s8
	s_cbranch_execz .LBB124_6
; %bb.5:
	v_ashrrev_i32_e32 v57, 31, v56
	s_mov_b32 s6, exec_lo
	s_delay_alu instid0(VALU_DEP_1) | instskip(NEXT) | instid1(VALU_DEP_1)
	v_lshlrev_b64_e32 v[1:2], 2, v[56:57]
	v_add_co_u32 v1, vcc_lo, s4, v1
	s_delay_alu instid0(VALU_DEP_1)
	v_add_co_ci_u32_e64 v2, null, s5, v2, vcc_lo
	global_load_b32 v1, v[1:2], off
	s_wait_loadcnt 0x0
	v_subrev_nc_u32_e32 v1, s12, v1
.LBB124_6:
	s_or_b32 exec_lo, exec_lo, s8
	s_delay_alu instid0(SALU_CYCLE_1)
	s_and_b32 vcc_lo, exec_lo, s7
	s_wait_alu 0xfffe
	s_cbranch_vccz .LBB124_10
.LBB124_7:
	v_cmp_gt_i32_e32 vcc_lo, s2, v56
	s_and_not1_b32 s2, s6, exec_lo
	s_and_b32 s4, vcc_lo, exec_lo
	s_wait_alu 0xfffe
	s_or_b32 s6, s2, s4
	s_wait_alu 0xfffe
	s_and_b32 exec_lo, exec_lo, s6
	s_cbranch_execnz .LBB124_11
.LBB124_8:
	s_nop 0
	s_sendmsg sendmsg(MSG_DEALLOC_VGPRS)
	s_endpgm
.LBB124_9:
	s_mov_b32 s6, 0
                                        ; implicit-def: $vgpr1
	s_cbranch_execnz .LBB124_7
.LBB124_10:
	v_mov_b32_e32 v56, v1
	s_and_b32 exec_lo, exec_lo, s6
	s_cbranch_execz .LBB124_8
.LBB124_11:
	s_load_b256 s[4:11], s[0:1], 0x20
	s_delay_alu instid0(VALU_DEP_1) | instskip(SKIP_1) | instid1(VALU_DEP_2)
	v_ashrrev_i32_e32 v57, 31, v56
	v_and_b32_e32 v61, 63, v0
	v_lshlrev_b64_e32 v[1:2], 2, v[56:57]
	s_wait_kmcnt 0x0
	s_delay_alu instid0(VALU_DEP_1) | instskip(SKIP_1) | instid1(VALU_DEP_2)
	v_add_co_u32 v3, vcc_lo, s4, v1
	s_wait_alu 0xfffd
	v_add_co_ci_u32_e64 v4, null, s5, v2, vcc_lo
	v_add_co_u32 v1, vcc_lo, s6, v1
	s_wait_alu 0xfffd
	v_add_co_ci_u32_e64 v2, null, s7, v2, vcc_lo
	global_load_b32 v36, v[3:4], off
	v_add_co_u32 v3, vcc_lo, v3, 4
	s_wait_alu 0xfffd
	v_add_co_ci_u32_e64 v4, null, 0, v4, vcc_lo
	s_cmp_eq_u64 s[6:7], 0
	s_load_b64 s[4:5], s[0:1], 0x40
	s_cselect_b32 vcc_lo, -1, 0
	s_cmp_eq_u32 s3, 1
	s_wait_alu 0xfffe
	v_dual_cndmask_b32 v2, v2, v4 :: v_dual_cndmask_b32 v1, v1, v3
	global_load_b32 v2, v[1:2], off
	s_wait_loadcnt 0x1
	v_subrev_nc_u32_e32 v0, s12, v36
	s_delay_alu instid0(VALU_DEP_1) | instskip(NEXT) | instid1(VALU_DEP_1)
	v_add_nc_u32_e32 v57, v0, v61
	v_ashrrev_i32_e32 v58, 31, v57
	s_wait_loadcnt 0x0
	v_subrev_nc_u32_e32 v70, s12, v2
	s_delay_alu instid0(VALU_DEP_2) | instskip(NEXT) | instid1(VALU_DEP_2)
	v_lshlrev_b64_e32 v[0:1], 6, v[57:58]
	v_cmp_lt_i32_e64 s2, v57, v70
	s_delay_alu instid0(VALU_DEP_2) | instskip(SKIP_1) | instid1(VALU_DEP_3)
	v_add_co_u32 v59, vcc_lo, s10, v0
	s_wait_alu 0xfffd
	v_add_co_ci_u32_e64 v60, null, s11, v1, vcc_lo
	s_cbranch_scc1 .LBB124_23
; %bb.12:
	v_dual_mov_b32 v62, 0 :: v_dual_mov_b32 v65, 0
	v_dual_mov_b32 v64, 0 :: v_dual_mov_b32 v67, 0
	;; [unrolled: 1-line block ×4, first 2 shown]
	s_and_saveexec_b32 s3, s2
	s_cbranch_execz .LBB124_22
; %bb.13:
	v_dual_mov_b32 v63, 0 :: v_dual_add_nc_u32 v0, v36, v61
	v_not_b32_e32 v1, v36
	v_mov_b32_e32 v32, v59
	v_dual_mov_b32 v68, 0 :: v_dual_mov_b32 v67, 0
	s_delay_alu instid0(VALU_DEP_4) | instskip(SKIP_2) | instid1(VALU_DEP_3)
	v_subrev_nc_u32_e32 v0, s12, v0
	v_dual_mov_b32 v65, 0 :: v_dual_mov_b32 v64, 0
	v_dual_mov_b32 v62, 0 :: v_dual_mov_b32 v33, v60
	v_dual_mov_b32 v69, 0 :: v_dual_add_nc_u32 v0, 64, v0
	v_mov_b32_e32 v34, v57
	s_mov_b32 s6, exec_lo
	s_delay_alu instid0(VALU_DEP_2) | instskip(NEXT) | instid1(VALU_DEP_1)
	v_max_i32_e32 v0, v0, v70
	v_add3_u32 v0, s12, v0, v1
	s_delay_alu instid0(VALU_DEP_1) | instskip(NEXT) | instid1(VALU_DEP_1)
	v_sub_nc_u32_e32 v0, v0, v61
	v_dual_mov_b32 v66, 0 :: v_dual_and_b32 v1, 0xc0, v0
	s_delay_alu instid0(VALU_DEP_1)
	v_cmpx_ne_u32_e32 0xc0, v1
	s_cbranch_execz .LBB124_17
; %bb.14:
	v_lshrrev_b32_e32 v1, 6, v0
	v_mov_b32_e32 v62, 0
	v_dual_mov_b32 v32, v59 :: v_dual_mov_b32 v65, 0
	v_dual_mov_b32 v34, v57 :: v_dual_mov_b32 v33, v60
	s_delay_alu instid0(VALU_DEP_4) | instskip(SKIP_2) | instid1(VALU_DEP_3)
	v_dual_mov_b32 v64, 0 :: v_dual_add_nc_u32 v1, 1, v1
	v_dual_mov_b32 v66, 0 :: v_dual_mov_b32 v67, 0
	v_dual_mov_b32 v68, 0 :: v_dual_mov_b32 v69, 0
	v_and_b32_e32 v1, 3, v1
	v_mov_b32_e32 v63, 0
	s_mov_b32 s7, 0
	s_delay_alu instid0(VALU_DEP_2)
	v_sub_nc_u32_e32 v1, 0, v1
.LBB124_15:                             ; =>This Inner Loop Header: Depth=1
	v_ashrrev_i32_e32 v35, 31, v34
	s_delay_alu instid0(VALU_DEP_2) | instskip(SKIP_2) | instid1(VALU_DEP_2)
	v_add_co_u32 v1, s10, v1, 1
	s_wait_alu 0xfffe
	s_or_b32 s7, s10, s7
	v_lshlrev_b64_e32 v[2:3], 2, v[34:35]
	s_delay_alu instid0(VALU_DEP_1) | instskip(SKIP_1) | instid1(VALU_DEP_2)
	v_add_co_u32 v2, vcc_lo, s8, v2
	s_wait_alu 0xfffd
	v_add_co_ci_u32_e64 v3, null, s9, v3, vcc_lo
	global_load_b32 v18, v[2:3], off
	s_clause 0x3
	global_load_b128 v[2:5], v[32:33], off offset:48
	global_load_b128 v[6:9], v[32:33], off offset:32
	;; [unrolled: 1-line block ×3, first 2 shown]
	global_load_b128 v[14:17], v[32:33], off
	s_wait_loadcnt 0x4
	v_subrev_nc_u32_e32 v18, s12, v18
	s_delay_alu instid0(VALU_DEP_1) | instskip(NEXT) | instid1(VALU_DEP_1)
	v_lshlrev_b32_e32 v18, 2, v18
	v_ashrrev_i32_e32 v19, 31, v18
	s_delay_alu instid0(VALU_DEP_1) | instskip(SKIP_1) | instid1(VALU_DEP_1)
	v_lshlrev_b64_e32 v[18:19], 3, v[18:19]
	s_wait_kmcnt 0x0
	v_add_co_u32 v22, vcc_lo, s4, v18
	s_wait_alu 0xfffd
	s_delay_alu instid0(VALU_DEP_2)
	v_add_co_ci_u32_e64 v23, null, s5, v19, vcc_lo
	v_add_co_u32 v32, vcc_lo, 0x1000, v32
	s_wait_alu 0xfffd
	v_add_co_ci_u32_e64 v33, null, 0, v33, vcc_lo
	s_clause 0x1
	global_load_b128 v[18:21], v[22:23], off
	global_load_b128 v[22:25], v[22:23], off offset:16
	s_wait_loadcnt 0x1
	v_fmac_f32_e32 v63, v2, v18
	v_fmac_f32_e32 v64, v14, v18
	;; [unrolled: 1-line block ×3, first 2 shown]
	s_delay_alu instid0(VALU_DEP_3) | instskip(NEXT) | instid1(VALU_DEP_3)
	v_dual_fmac_f32 v62, 0, v18 :: v_dual_fmac_f32 v63, 0x80000000, v19
	v_dual_fmac_f32 v65, 0, v18 :: v_dual_fmac_f32 v64, 0x80000000, v19
	s_delay_alu instid0(VALU_DEP_3) | instskip(NEXT) | instid1(VALU_DEP_3)
	v_fmac_f32_e32 v69, v2, v19
	v_dual_fmac_f32 v67, 0, v18 :: v_dual_fmac_f32 v62, v14, v19
	s_delay_alu instid0(VALU_DEP_3) | instskip(SKIP_1) | instid1(VALU_DEP_3)
	v_fmac_f32_e32 v65, v10, v19
	v_fmac_f32_e32 v66, v10, v18
	v_dual_fmac_f32 v67, v6, v19 :: v_dual_add_nc_u32 v34, 64, v34
	v_fmac_f32_e32 v63, v3, v20
	s_delay_alu instid0(VALU_DEP_3) | instskip(SKIP_1) | instid1(VALU_DEP_4)
	v_dual_fmac_f32 v65, 0, v20 :: v_dual_fmac_f32 v66, 0x80000000, v19
	v_fmac_f32_e32 v62, 0, v20
	v_dual_fmac_f32 v68, v6, v18 :: v_dual_fmac_f32 v67, 0, v20
	s_delay_alu instid0(VALU_DEP_4) | instskip(NEXT) | instid1(VALU_DEP_4)
	v_dual_fmac_f32 v64, v15, v20 :: v_dual_fmac_f32 v63, 0x80000000, v21
	v_fmac_f32_e32 v65, v11, v21
	v_fmac_f32_e32 v66, v11, v20
	v_dual_fmac_f32 v69, 0, v20 :: v_dual_fmac_f32 v62, v15, v21
	v_fmac_f32_e32 v68, 0x80000000, v19
	v_fmac_f32_e32 v64, 0x80000000, v21
	;; [unrolled: 1-line block ×3, first 2 shown]
	s_wait_loadcnt 0x0
	v_dual_fmac_f32 v69, v3, v21 :: v_dual_fmac_f32 v62, 0, v22
	v_dual_fmac_f32 v65, 0, v22 :: v_dual_fmac_f32 v66, 0x80000000, v21
	v_fmac_f32_e32 v63, v4, v22
	v_fmac_f32_e32 v64, v16, v22
	v_dual_fmac_f32 v68, v7, v20 :: v_dual_fmac_f32 v67, 0, v22
	s_delay_alu instid0(VALU_DEP_3) | instskip(SKIP_1) | instid1(VALU_DEP_3)
	v_dual_fmac_f32 v66, v12, v22 :: v_dual_fmac_f32 v63, 0x80000000, v23
	v_fmac_f32_e32 v62, v16, v23
	v_dual_fmac_f32 v68, 0x80000000, v21 :: v_dual_fmac_f32 v69, 0, v22
	s_delay_alu instid0(VALU_DEP_3) | instskip(NEXT) | instid1(VALU_DEP_3)
	v_fmac_f32_e32 v63, v5, v24
	v_dual_fmac_f32 v67, v8, v23 :: v_dual_fmac_f32 v62, 0, v24
	v_fmac_f32_e32 v64, 0x80000000, v23
	s_delay_alu instid0(VALU_DEP_4) | instskip(NEXT) | instid1(VALU_DEP_3)
	v_fmac_f32_e32 v69, v4, v23
	v_dual_fmac_f32 v66, 0x80000000, v23 :: v_dual_fmac_f32 v67, 0, v24
	s_delay_alu instid0(VALU_DEP_3) | instskip(NEXT) | instid1(VALU_DEP_3)
	v_dual_fmac_f32 v65, v12, v23 :: v_dual_fmac_f32 v64, v17, v24
	v_dual_fmac_f32 v68, v8, v22 :: v_dual_fmac_f32 v69, 0, v24
	s_delay_alu instid0(VALU_DEP_3) | instskip(NEXT) | instid1(VALU_DEP_3)
	v_fmac_f32_e32 v66, v13, v24
	v_dual_fmac_f32 v65, 0, v24 :: v_dual_fmac_f32 v64, 0x80000000, v25
	s_delay_alu instid0(VALU_DEP_3) | instskip(SKIP_1) | instid1(VALU_DEP_4)
	v_fmac_f32_e32 v68, 0x80000000, v23
	v_fmac_f32_e32 v62, v17, v25
	;; [unrolled: 1-line block ×3, first 2 shown]
	s_delay_alu instid0(VALU_DEP_4) | instskip(SKIP_3) | instid1(VALU_DEP_2)
	v_fmac_f32_e32 v65, v13, v25
	v_fmac_f32_e32 v67, v9, v25
	v_dual_fmac_f32 v68, v9, v24 :: v_dual_fmac_f32 v63, 0x80000000, v25
	v_fmac_f32_e32 v69, v5, v25
	v_fmac_f32_e32 v68, 0x80000000, v25
	s_wait_alu 0xfffe
	s_and_not1_b32 exec_lo, exec_lo, s7
	s_cbranch_execnz .LBB124_15
; %bb.16:
	s_or_b32 exec_lo, exec_lo, s7
.LBB124_17:
	s_wait_alu 0xfffe
	s_or_b32 exec_lo, exec_lo, s6
	s_delay_alu instid0(SALU_CYCLE_1)
	s_mov_b32 s6, exec_lo
	v_cmpx_lt_u32_e32 0xbf, v0
	s_cbranch_execz .LBB124_21
; %bb.18:
	s_mov_b32 s7, 0
.LBB124_19:                             ; =>This Inner Loop Header: Depth=1
	v_ashrrev_i32_e32 v35, 31, v34
	s_clause 0xf
	global_load_b128 v[37:40], v[32:33], off offset:48
	global_load_b128 v[41:44], v[32:33], off offset:32
	;; [unrolled: 1-line block ×3, first 2 shown]
	global_load_b128 v[71:74], v[32:33], off
	global_load_b128 v[75:78], v[32:33], off offset:4144
	global_load_b128 v[79:82], v[32:33], off offset:4128
	;; [unrolled: 1-line block ×12, first 2 shown]
	v_lshlrev_b64_e32 v[49:50], 2, v[34:35]
	v_add_nc_u32_e32 v34, 0x100, v34
	s_delay_alu instid0(VALU_DEP_2) | instskip(SKIP_1) | instid1(VALU_DEP_3)
	v_add_co_u32 v49, vcc_lo, s8, v49
	s_wait_alu 0xfffd
	v_add_co_ci_u32_e64 v50, null, s9, v50, vcc_lo
	s_clause 0x3
	global_load_b32 v35, v[49:50], off
	global_load_b32 v51, v[49:50], off offset:256
	global_load_b32 v58, v[49:50], off offset:512
	;; [unrolled: 1-line block ×3, first 2 shown]
	s_wait_loadcnt 0x3
	v_subrev_nc_u32_e32 v35, s12, v35
	s_wait_loadcnt 0x2
	v_subrev_nc_u32_e32 v50, s12, v51
	;; [unrolled: 2-line block ×4, first 2 shown]
	v_lshlrev_b32_e32 v49, 2, v35
	v_lshlrev_b32_e32 v91, 2, v50
	;; [unrolled: 1-line block ×3, first 2 shown]
	s_delay_alu instid0(VALU_DEP_4) | instskip(NEXT) | instid1(VALU_DEP_4)
	v_lshlrev_b32_e32 v95, 2, v58
	v_ashrrev_i32_e32 v50, 31, v49
	s_delay_alu instid0(VALU_DEP_4) | instskip(NEXT) | instid1(VALU_DEP_4)
	v_ashrrev_i32_e32 v92, 31, v91
	v_ashrrev_i32_e32 v94, 31, v93
	s_delay_alu instid0(VALU_DEP_4) | instskip(NEXT) | instid1(VALU_DEP_4)
	v_ashrrev_i32_e32 v96, 31, v95
	v_lshlrev_b64_e32 v[49:50], 3, v[49:50]
	s_delay_alu instid0(VALU_DEP_4) | instskip(NEXT) | instid1(VALU_DEP_4)
	v_lshlrev_b64_e32 v[91:92], 3, v[91:92]
	v_lshlrev_b64_e32 v[93:94], 3, v[93:94]
	s_delay_alu instid0(VALU_DEP_4) | instskip(SKIP_1) | instid1(VALU_DEP_4)
	v_lshlrev_b64_e32 v[95:96], 3, v[95:96]
	s_wait_kmcnt 0x0
	v_add_co_u32 v49, vcc_lo, s4, v49
	s_wait_alu 0xfffd
	v_add_co_ci_u32_e64 v50, null, s5, v50, vcc_lo
	v_add_co_u32 v99, vcc_lo, s4, v91
	s_wait_alu 0xfffd
	v_add_co_ci_u32_e64 v100, null, s5, v92, vcc_lo
	;; [unrolled: 3-line block ×4, first 2 shown]
	s_clause 0x1
	global_load_b128 v[91:94], v[49:50], off
	global_load_b128 v[95:98], v[49:50], off offset:16
	v_add_co_u32 v32, vcc_lo, 0x4000, v32
	s_wait_alu 0xfffd
	v_add_co_ci_u32_e64 v33, null, 0, v33, vcc_lo
	v_cmp_ge_i32_e32 vcc_lo, v34, v70
	s_wait_alu 0xfffe
	s_or_b32 s7, vcc_lo, s7
	s_wait_loadcnt 0x1
	v_fmac_f32_e32 v68, v41, v91
	v_fmac_f32_e32 v65, 0, v91
	;; [unrolled: 1-line block ×3, first 2 shown]
	s_delay_alu instid0(VALU_DEP_3) | instskip(NEXT) | instid1(VALU_DEP_3)
	v_fmac_f32_e32 v68, 0x80000000, v92
	v_dual_fmac_f32 v62, 0, v91 :: v_dual_fmac_f32 v65, v45, v92
	s_delay_alu instid0(VALU_DEP_3) | instskip(NEXT) | instid1(VALU_DEP_3)
	v_dual_fmac_f32 v64, 0x80000000, v92 :: v_dual_fmac_f32 v67, 0, v91
	v_fmac_f32_e32 v68, v42, v93
	s_delay_alu instid0(VALU_DEP_3) | instskip(NEXT) | instid1(VALU_DEP_3)
	v_dual_fmac_f32 v62, v71, v92 :: v_dual_fmac_f32 v63, v37, v91
	v_dual_fmac_f32 v64, v72, v93 :: v_dual_fmac_f32 v67, v41, v92
	v_fmac_f32_e32 v65, 0, v93
	s_delay_alu instid0(VALU_DEP_3) | instskip(NEXT) | instid1(VALU_DEP_4)
	v_fmac_f32_e32 v62, 0, v93
	v_dual_fmac_f32 v66, v45, v91 :: v_dual_fmac_f32 v63, 0x80000000, v92
	s_delay_alu instid0(VALU_DEP_4) | instskip(NEXT) | instid1(VALU_DEP_3)
	v_dual_fmac_f32 v67, 0, v93 :: v_dual_fmac_f32 v64, 0x80000000, v94
	v_fmac_f32_e32 v62, v72, v94
	s_delay_alu instid0(VALU_DEP_3)
	v_dual_fmac_f32 v66, 0x80000000, v92 :: v_dual_fmac_f32 v69, 0, v91
	v_fmac_f32_e32 v65, v46, v94
	v_fmac_f32_e32 v68, 0x80000000, v94
	s_wait_loadcnt 0x0
	v_dual_fmac_f32 v67, v42, v94 :: v_dual_fmac_f32 v64, v73, v95
	v_dual_fmac_f32 v66, v46, v93 :: v_dual_fmac_f32 v69, v37, v92
	;; [unrolled: 1-line block ×3, first 2 shown]
	s_delay_alu instid0(VALU_DEP_3) | instskip(NEXT) | instid1(VALU_DEP_3)
	v_fmac_f32_e32 v64, 0x80000000, v96
	v_dual_fmac_f32 v66, 0x80000000, v94 :: v_dual_fmac_f32 v69, 0, v93
	s_delay_alu instid0(VALU_DEP_3) | instskip(NEXT) | instid1(VALU_DEP_3)
	v_dual_fmac_f32 v63, 0x80000000, v94 :: v_dual_fmac_f32 v62, v73, v96
	v_dual_fmac_f32 v65, 0, v95 :: v_dual_fmac_f32 v64, v74, v97
	s_delay_alu instid0(VALU_DEP_3) | instskip(SKIP_4) | instid1(VALU_DEP_3)
	v_fmac_f32_e32 v69, v38, v94
	global_load_b128 v[91:94], v[99:100], off
	v_dual_fmac_f32 v62, 0, v97 :: v_dual_fmac_f32 v65, v47, v96
	v_fmac_f32_e32 v67, 0, v95
	v_fmac_f32_e32 v63, v39, v95
	v_dual_fmac_f32 v69, 0, v95 :: v_dual_fmac_f32 v62, v74, v98
	s_delay_alu instid0(VALU_DEP_4)
	v_fmac_f32_e32 v65, 0, v97
	global_load_b128 v[71:74], v[99:100], off offset:16
	v_fmac_f32_e32 v66, v47, v95
	v_fmac_f32_e32 v67, v43, v96
	v_dual_fmac_f32 v68, v43, v95 :: v_dual_fmac_f32 v65, v48, v98
	v_dual_fmac_f32 v69, v39, v96 :: v_dual_fmac_f32 v64, 0x80000000, v98
	s_delay_alu instid0(VALU_DEP_3) | instskip(NEXT) | instid1(VALU_DEP_3)
	v_dual_fmac_f32 v66, 0x80000000, v96 :: v_dual_fmac_f32 v67, 0, v97
	v_fmac_f32_e32 v68, 0x80000000, v96
	s_delay_alu instid0(VALU_DEP_2)
	v_fmac_f32_e32 v66, v48, v97
	s_clause 0x1
	global_load_b128 v[45:48], v[101:102], off
	global_load_b128 v[99:102], v[101:102], off offset:16
	v_fmac_f32_e32 v67, v44, v98
	v_fmac_f32_e32 v68, v44, v97
	global_load_b128 v[41:44], v[103:104], off
	v_dual_fmac_f32 v63, 0x80000000, v96 :: v_dual_fmac_f32 v66, 0x80000000, v98
	v_dual_fmac_f32 v69, 0, v97 :: v_dual_fmac_f32 v68, 0x80000000, v98
	s_delay_alu instid0(VALU_DEP_2) | instskip(NEXT) | instid1(VALU_DEP_2)
	v_fmac_f32_e32 v63, v40, v97
	v_fmac_f32_e32 v69, v40, v98
	global_load_b128 v[37:40], v[103:104], off offset:16
	s_wait_loadcnt 0x5
	v_dual_fmac_f32 v64, v87, v91 :: v_dual_fmac_f32 v63, 0x80000000, v98
	v_fmac_f32_e32 v66, v83, v91
	v_fmac_f32_e32 v62, 0, v91
	s_delay_alu instid0(VALU_DEP_3) | instskip(NEXT) | instid1(VALU_DEP_3)
	v_dual_fmac_f32 v65, 0, v91 :: v_dual_fmac_f32 v64, 0x80000000, v92
	v_dual_fmac_f32 v63, v75, v91 :: v_dual_fmac_f32 v66, 0x80000000, v92
	v_fmac_f32_e32 v68, v79, v91
	s_delay_alu instid0(VALU_DEP_4) | instskip(NEXT) | instid1(VALU_DEP_3)
	v_dual_fmac_f32 v67, 0, v91 :: v_dual_fmac_f32 v62, v87, v92
	v_fmac_f32_e32 v63, 0x80000000, v92
	s_delay_alu instid0(VALU_DEP_3) | instskip(SKIP_1) | instid1(VALU_DEP_4)
	v_dual_fmac_f32 v69, 0, v91 :: v_dual_fmac_f32 v68, 0x80000000, v92
	v_dual_fmac_f32 v65, v83, v92 :: v_dual_fmac_f32 v64, v88, v93
	;; [unrolled: 1-line block ×3, first 2 shown]
	s_delay_alu instid0(VALU_DEP_3) | instskip(SKIP_1) | instid1(VALU_DEP_4)
	v_dual_fmac_f32 v69, v75, v92 :: v_dual_fmac_f32 v66, v84, v93
	v_fmac_f32_e32 v63, v76, v93
	v_dual_fmac_f32 v65, 0, v93 :: v_dual_fmac_f32 v64, 0x80000000, v94
	s_delay_alu instid0(VALU_DEP_4) | instskip(NEXT) | instid1(VALU_DEP_4)
	v_dual_fmac_f32 v67, 0, v93 :: v_dual_fmac_f32 v62, v88, v94
	v_fmac_f32_e32 v66, 0x80000000, v94
	s_delay_alu instid0(VALU_DEP_4) | instskip(SKIP_3) | instid1(VALU_DEP_3)
	v_dual_fmac_f32 v68, v80, v93 :: v_dual_fmac_f32 v63, 0x80000000, v94
	v_fmac_f32_e32 v69, 0, v93
	s_wait_loadcnt 0x4
	v_dual_fmac_f32 v65, v84, v94 :: v_dual_fmac_f32 v64, v89, v71
	v_fmac_f32_e32 v68, 0x80000000, v94
	v_dual_fmac_f32 v67, v80, v94 :: v_dual_fmac_f32 v62, 0, v71
	v_dual_fmac_f32 v69, v76, v94 :: v_dual_fmac_f32 v66, v85, v71
	v_fmac_f32_e32 v63, v77, v71
	v_dual_fmac_f32 v65, 0, v71 :: v_dual_fmac_f32 v64, 0x80000000, v72
	s_delay_alu instid0(VALU_DEP_4) | instskip(NEXT) | instid1(VALU_DEP_4)
	v_dual_fmac_f32 v67, 0, v71 :: v_dual_fmac_f32 v62, v89, v72
	v_fmac_f32_e32 v66, 0x80000000, v72
	s_delay_alu instid0(VALU_DEP_4) | instskip(SKIP_2) | instid1(VALU_DEP_3)
	v_dual_fmac_f32 v68, v81, v71 :: v_dual_fmac_f32 v63, 0x80000000, v72
	v_fmac_f32_e32 v69, 0, v71
	v_dual_fmac_f32 v65, v85, v72 :: v_dual_fmac_f32 v64, v90, v73
	v_fmac_f32_e32 v68, 0x80000000, v72
	v_dual_fmac_f32 v67, v81, v72 :: v_dual_fmac_f32 v62, 0, v73
	s_delay_alu instid0(VALU_DEP_4) | instskip(SKIP_2) | instid1(VALU_DEP_4)
	v_dual_fmac_f32 v69, v77, v72 :: v_dual_fmac_f32 v66, v86, v73
	v_fmac_f32_e32 v63, v78, v73
	v_dual_fmac_f32 v65, 0, v73 :: v_dual_fmac_f32 v64, 0x80000000, v74
	v_dual_fmac_f32 v67, 0, v73 :: v_dual_fmac_f32 v62, v90, v74
	s_delay_alu instid0(VALU_DEP_4) | instskip(NEXT) | instid1(VALU_DEP_4)
	v_fmac_f32_e32 v66, 0x80000000, v74
	v_dual_fmac_f32 v68, v82, v73 :: v_dual_fmac_f32 v63, 0x80000000, v74
	v_fmac_f32_e32 v69, 0, v73
	s_wait_loadcnt 0x3
	v_dual_fmac_f32 v65, v86, v74 :: v_dual_fmac_f32 v64, v28, v45
	s_delay_alu instid0(VALU_DEP_3) | instskip(SKIP_4) | instid1(VALU_DEP_4)
	v_fmac_f32_e32 v68, 0x80000000, v74
	v_dual_fmac_f32 v67, v82, v74 :: v_dual_fmac_f32 v62, 0, v45
	v_dual_fmac_f32 v69, v78, v74 :: v_dual_fmac_f32 v66, v24, v45
	v_fmac_f32_e32 v63, v16, v45
	v_dual_fmac_f32 v65, 0, v45 :: v_dual_fmac_f32 v64, 0x80000000, v46
	v_dual_fmac_f32 v67, 0, v45 :: v_dual_fmac_f32 v62, v28, v46
	s_delay_alu instid0(VALU_DEP_4) | instskip(NEXT) | instid1(VALU_DEP_4)
	v_fmac_f32_e32 v66, 0x80000000, v46
	v_dual_fmac_f32 v68, v20, v45 :: v_dual_fmac_f32 v63, 0x80000000, v46
	v_fmac_f32_e32 v69, 0, v45
	v_dual_fmac_f32 v65, v24, v46 :: v_dual_fmac_f32 v64, v29, v47
	s_delay_alu instid0(VALU_DEP_3) | instskip(SKIP_1) | instid1(VALU_DEP_4)
	v_fmac_f32_e32 v68, 0x80000000, v46
	v_dual_fmac_f32 v67, v20, v46 :: v_dual_fmac_f32 v62, 0, v47
	v_dual_fmac_f32 v69, v16, v46 :: v_dual_fmac_f32 v66, v25, v47
	v_fmac_f32_e32 v63, v17, v47
	v_dual_fmac_f32 v65, 0, v47 :: v_dual_fmac_f32 v64, 0x80000000, v48
	s_delay_alu instid0(VALU_DEP_4) | instskip(NEXT) | instid1(VALU_DEP_4)
	v_dual_fmac_f32 v67, 0, v47 :: v_dual_fmac_f32 v62, v29, v48
	v_fmac_f32_e32 v66, 0x80000000, v48
	s_delay_alu instid0(VALU_DEP_4) | instskip(SKIP_3) | instid1(VALU_DEP_3)
	v_dual_fmac_f32 v68, v21, v47 :: v_dual_fmac_f32 v63, 0x80000000, v48
	v_fmac_f32_e32 v69, 0, v47
	s_wait_loadcnt 0x2
	v_dual_fmac_f32 v65, v25, v48 :: v_dual_fmac_f32 v64, v30, v99
	v_fmac_f32_e32 v68, 0x80000000, v48
	v_dual_fmac_f32 v67, v21, v48 :: v_dual_fmac_f32 v62, 0, v99
	v_dual_fmac_f32 v69, v17, v48 :: v_dual_fmac_f32 v66, v26, v99
	v_fmac_f32_e32 v63, v18, v99
	v_dual_fmac_f32 v65, 0, v99 :: v_dual_fmac_f32 v64, 0x80000000, v100
	s_delay_alu instid0(VALU_DEP_4) | instskip(NEXT) | instid1(VALU_DEP_4)
	v_dual_fmac_f32 v67, 0, v99 :: v_dual_fmac_f32 v62, v30, v100
	v_fmac_f32_e32 v66, 0x80000000, v100
	s_delay_alu instid0(VALU_DEP_4) | instskip(SKIP_2) | instid1(VALU_DEP_3)
	v_dual_fmac_f32 v68, v22, v99 :: v_dual_fmac_f32 v63, 0x80000000, v100
	v_fmac_f32_e32 v69, 0, v99
	v_dual_fmac_f32 v65, v26, v100 :: v_dual_fmac_f32 v64, v31, v101
	v_fmac_f32_e32 v68, 0x80000000, v100
	v_dual_fmac_f32 v67, v22, v100 :: v_dual_fmac_f32 v62, 0, v101
	s_delay_alu instid0(VALU_DEP_4) | instskip(SKIP_2) | instid1(VALU_DEP_4)
	v_dual_fmac_f32 v69, v18, v100 :: v_dual_fmac_f32 v66, v27, v101
	v_fmac_f32_e32 v63, v19, v101
	v_dual_fmac_f32 v65, 0, v101 :: v_dual_fmac_f32 v64, 0x80000000, v102
	v_dual_fmac_f32 v67, 0, v101 :: v_dual_fmac_f32 v62, v31, v102
	s_delay_alu instid0(VALU_DEP_4) | instskip(NEXT) | instid1(VALU_DEP_4)
	v_fmac_f32_e32 v66, 0x80000000, v102
	v_dual_fmac_f32 v68, v23, v101 :: v_dual_fmac_f32 v63, 0x80000000, v102
	v_fmac_f32_e32 v69, 0, v101
	s_wait_loadcnt 0x1
	v_dual_fmac_f32 v65, v27, v102 :: v_dual_fmac_f32 v64, v12, v41
	s_delay_alu instid0(VALU_DEP_3) | instskip(SKIP_4) | instid1(VALU_DEP_4)
	v_fmac_f32_e32 v68, 0x80000000, v102
	v_dual_fmac_f32 v67, v23, v102 :: v_dual_fmac_f32 v62, 0, v41
	v_dual_fmac_f32 v69, v19, v102 :: v_dual_fmac_f32 v66, v8, v41
	v_fmac_f32_e32 v63, v0, v41
	v_dual_fmac_f32 v65, 0, v41 :: v_dual_fmac_f32 v64, 0x80000000, v42
	v_dual_fmac_f32 v67, 0, v41 :: v_dual_fmac_f32 v62, v12, v42
	s_delay_alu instid0(VALU_DEP_4) | instskip(NEXT) | instid1(VALU_DEP_4)
	v_fmac_f32_e32 v66, 0x80000000, v42
	v_dual_fmac_f32 v68, v4, v41 :: v_dual_fmac_f32 v63, 0x80000000, v42
	v_fmac_f32_e32 v69, 0, v41
	v_dual_fmac_f32 v65, v8, v42 :: v_dual_fmac_f32 v64, v13, v43
	s_delay_alu instid0(VALU_DEP_3) | instskip(SKIP_1) | instid1(VALU_DEP_4)
	v_fmac_f32_e32 v68, 0x80000000, v42
	v_dual_fmac_f32 v67, v4, v42 :: v_dual_fmac_f32 v62, 0, v43
	v_dual_fmac_f32 v69, v0, v42 :: v_dual_fmac_f32 v66, v9, v43
	v_fmac_f32_e32 v63, v1, v43
	v_dual_fmac_f32 v65, 0, v43 :: v_dual_fmac_f32 v64, 0x80000000, v44
	s_delay_alu instid0(VALU_DEP_4) | instskip(NEXT) | instid1(VALU_DEP_4)
	v_dual_fmac_f32 v67, 0, v43 :: v_dual_fmac_f32 v62, v13, v44
	v_fmac_f32_e32 v66, 0x80000000, v44
	s_delay_alu instid0(VALU_DEP_4) | instskip(SKIP_3) | instid1(VALU_DEP_3)
	v_dual_fmac_f32 v68, v5, v43 :: v_dual_fmac_f32 v63, 0x80000000, v44
	v_fmac_f32_e32 v69, 0, v43
	s_wait_loadcnt 0x0
	v_dual_fmac_f32 v65, v9, v44 :: v_dual_fmac_f32 v64, v14, v37
	v_fmac_f32_e32 v68, 0x80000000, v44
	v_dual_fmac_f32 v67, v5, v44 :: v_dual_fmac_f32 v62, 0, v37
	v_dual_fmac_f32 v69, v1, v44 :: v_dual_fmac_f32 v66, v10, v37
	v_fmac_f32_e32 v63, v2, v37
	v_dual_fmac_f32 v65, 0, v37 :: v_dual_fmac_f32 v64, 0x80000000, v38
	s_delay_alu instid0(VALU_DEP_4) | instskip(NEXT) | instid1(VALU_DEP_4)
	v_dual_fmac_f32 v67, 0, v37 :: v_dual_fmac_f32 v62, v14, v38
	v_fmac_f32_e32 v66, 0x80000000, v38
	s_delay_alu instid0(VALU_DEP_4) | instskip(SKIP_2) | instid1(VALU_DEP_3)
	v_dual_fmac_f32 v68, v6, v37 :: v_dual_fmac_f32 v63, 0x80000000, v38
	v_fmac_f32_e32 v69, 0, v37
	v_dual_fmac_f32 v65, v10, v38 :: v_dual_fmac_f32 v64, v15, v39
	v_fmac_f32_e32 v68, 0x80000000, v38
	v_dual_fmac_f32 v67, v6, v38 :: v_dual_fmac_f32 v62, 0, v39
	s_delay_alu instid0(VALU_DEP_4) | instskip(SKIP_2) | instid1(VALU_DEP_4)
	v_dual_fmac_f32 v69, v2, v38 :: v_dual_fmac_f32 v66, v11, v39
	v_fmac_f32_e32 v63, v3, v39
	v_dual_fmac_f32 v65, 0, v39 :: v_dual_fmac_f32 v64, 0x80000000, v40
	v_dual_fmac_f32 v67, 0, v39 :: v_dual_fmac_f32 v62, v15, v40
	s_delay_alu instid0(VALU_DEP_4) | instskip(NEXT) | instid1(VALU_DEP_4)
	v_fmac_f32_e32 v66, 0x80000000, v40
	v_dual_fmac_f32 v68, v7, v39 :: v_dual_fmac_f32 v63, 0x80000000, v40
	v_fmac_f32_e32 v69, 0, v39
	v_fmac_f32_e32 v65, v11, v40
	;; [unrolled: 1-line block ×3, first 2 shown]
	s_delay_alu instid0(VALU_DEP_4) | instskip(NEXT) | instid1(VALU_DEP_4)
	v_fmac_f32_e32 v68, 0x80000000, v40
	v_fmac_f32_e32 v69, v3, v40
	s_wait_alu 0xfffe
	s_and_not1_b32 exec_lo, exec_lo, s7
	s_cbranch_execnz .LBB124_19
; %bb.20:
	s_or_b32 exec_lo, exec_lo, s7
.LBB124_21:
	s_wait_alu 0xfffe
	s_or_b32 exec_lo, exec_lo, s6
.LBB124_22:
	s_wait_alu 0xfffe
	s_or_b32 exec_lo, exec_lo, s3
	s_cbranch_execz .LBB124_24
	s_branch .LBB124_35
.LBB124_23:
                                        ; implicit-def: $vgpr62
                                        ; implicit-def: $vgpr64
                                        ; implicit-def: $vgpr65
                                        ; implicit-def: $vgpr66
                                        ; implicit-def: $vgpr67
                                        ; implicit-def: $vgpr68
                                        ; implicit-def: $vgpr69
                                        ; implicit-def: $vgpr63
.LBB124_24:
	v_dual_mov_b32 v62, 0 :: v_dual_mov_b32 v65, 0
	v_dual_mov_b32 v64, 0 :: v_dual_mov_b32 v67, 0
	;; [unrolled: 1-line block ×4, first 2 shown]
	s_and_saveexec_b32 s3, s2
	s_cbranch_execz .LBB124_34
; %bb.25:
	v_dual_mov_b32 v63, 0 :: v_dual_add_nc_u32 v0, v36, v61
	v_not_b32_e32 v1, v36
	v_dual_mov_b32 v67, 0 :: v_dual_mov_b32 v66, 0
	s_delay_alu instid0(VALU_DEP_3) | instskip(SKIP_3) | instid1(VALU_DEP_3)
	v_subrev_nc_u32_e32 v0, s12, v0
	v_dual_mov_b32 v65, 0 :: v_dual_mov_b32 v64, 0
	v_mov_b32_e32 v62, 0
	s_mov_b32 s2, exec_lo
	v_dual_mov_b32 v69, 0 :: v_dual_add_nc_u32 v0, 64, v0
	s_delay_alu instid0(VALU_DEP_1) | instskip(NEXT) | instid1(VALU_DEP_1)
	v_max_i32_e32 v0, v0, v70
	v_add3_u32 v0, s12, v0, v1
	s_delay_alu instid0(VALU_DEP_1) | instskip(NEXT) | instid1(VALU_DEP_1)
	v_sub_nc_u32_e32 v0, v0, v61
	v_dual_mov_b32 v68, 0 :: v_dual_and_b32 v1, 0xc0, v0
	s_delay_alu instid0(VALU_DEP_1)
	v_cmpx_ne_u32_e32 0xc0, v1
	s_cbranch_execz .LBB124_29
; %bb.26:
	v_lshrrev_b32_e32 v1, 6, v0
	v_dual_mov_b32 v64, 0 :: v_dual_mov_b32 v65, 0
	v_dual_mov_b32 v67, 0 :: v_dual_mov_b32 v68, 0
	s_delay_alu instid0(VALU_DEP_3) | instskip(SKIP_3) | instid1(VALU_DEP_3)
	v_dual_mov_b32 v62, 0 :: v_dual_add_nc_u32 v1, 1, v1
	v_mov_b32_e32 v69, 0
	v_mov_b32_e32 v63, 0
	s_mov_b32 s6, 0
	v_dual_mov_b32 v66, 0 :: v_dual_and_b32 v1, 3, v1
	s_delay_alu instid0(VALU_DEP_1)
	v_sub_nc_u32_e32 v1, 0, v1
.LBB124_27:                             ; =>This Inner Loop Header: Depth=1
	v_ashrrev_i32_e32 v58, 31, v57
	s_delay_alu instid0(VALU_DEP_2) | instskip(SKIP_2) | instid1(VALU_DEP_2)
	v_add_co_u32 v1, s7, v1, 1
	s_wait_alu 0xfffe
	s_or_b32 s6, s7, s6
	v_lshlrev_b64_e32 v[2:3], 2, v[57:58]
	s_delay_alu instid0(VALU_DEP_1) | instskip(SKIP_1) | instid1(VALU_DEP_2)
	v_add_co_u32 v2, vcc_lo, s8, v2
	s_wait_alu 0xfffd
	v_add_co_ci_u32_e64 v3, null, s9, v3, vcc_lo
	global_load_b32 v10, v[2:3], off
	s_clause 0x1
	global_load_b128 v[2:5], v[59:60], off offset:16
	global_load_b128 v[6:9], v[59:60], off
	s_wait_loadcnt 0x2
	v_subrev_nc_u32_e32 v10, s12, v10
	s_delay_alu instid0(VALU_DEP_1) | instskip(NEXT) | instid1(VALU_DEP_1)
	v_lshlrev_b32_e32 v10, 2, v10
	v_ashrrev_i32_e32 v11, 31, v10
	s_delay_alu instid0(VALU_DEP_1) | instskip(SKIP_1) | instid1(VALU_DEP_1)
	v_lshlrev_b64_e32 v[10:11], 3, v[10:11]
	s_wait_kmcnt 0x0
	v_add_co_u32 v14, vcc_lo, s4, v10
	s_wait_alu 0xfffd
	s_delay_alu instid0(VALU_DEP_2)
	v_add_co_ci_u32_e64 v15, null, s5, v11, vcc_lo
	s_clause 0x1
	global_load_b128 v[10:13], v[14:15], off
	global_load_b128 v[14:17], v[14:15], off offset:16
	s_clause 0x1
	global_load_b128 v[18:21], v[59:60], off offset:32
	global_load_b128 v[22:25], v[59:60], off offset:48
	v_add_nc_u32_e32 v57, 64, v57
	v_add_co_u32 v59, vcc_lo, 0x1000, v59
	s_wait_alu 0xfffd
	v_add_co_ci_u32_e64 v60, null, 0, v60, vcc_lo
	s_wait_loadcnt 0x3
	v_fmac_f32_e32 v64, v6, v10
	v_fmac_f32_e32 v65, 0, v10
	;; [unrolled: 1-line block ×15, first 2 shown]
	v_dual_fmac_f32 v68, 0x80000000, v11 :: v_dual_fmac_f32 v65, 0, v12
	v_fmac_f32_e32 v64, v2, v12
	v_fmac_f32_e32 v67, 0, v12
	;; [unrolled: 1-line block ×6, first 2 shown]
	v_dual_fmac_f32 v68, v4, v12 :: v_dual_fmac_f32 v65, v3, v13
	v_fmac_f32_e32 v64, 0x80000000, v13
	v_fmac_f32_e32 v67, v4, v13
	;; [unrolled: 1-line block ×6, first 2 shown]
	s_wait_loadcnt 0x2
	v_dual_fmac_f32 v68, 0x80000000, v13 :: v_dual_fmac_f32 v65, 0, v14
	s_wait_loadcnt 0x1
	v_fmac_f32_e32 v64, v18, v14
	v_fmac_f32_e32 v67, 0, v14
	;; [unrolled: 1-line block ×6, first 2 shown]
	v_dual_fmac_f32 v68, v20, v14 :: v_dual_fmac_f32 v65, v19, v15
	v_fmac_f32_e32 v64, 0x80000000, v15
	v_fmac_f32_e32 v67, v20, v15
	;; [unrolled: 1-line block ×6, first 2 shown]
	v_dual_fmac_f32 v68, 0x80000000, v15 :: v_dual_fmac_f32 v65, 0, v16
	s_wait_loadcnt 0x0
	v_fmac_f32_e32 v64, v22, v16
	v_fmac_f32_e32 v67, 0, v16
	;; [unrolled: 1-line block ×6, first 2 shown]
	v_dual_fmac_f32 v68, v24, v16 :: v_dual_fmac_f32 v65, v23, v17
	v_fmac_f32_e32 v64, 0x80000000, v17
	v_fmac_f32_e32 v67, v24, v17
	;; [unrolled: 1-line block ×7, first 2 shown]
	s_wait_alu 0xfffe
	s_and_not1_b32 exec_lo, exec_lo, s6
	s_cbranch_execnz .LBB124_27
; %bb.28:
	s_or_b32 exec_lo, exec_lo, s6
.LBB124_29:
	s_wait_alu 0xfffe
	s_or_b32 exec_lo, exec_lo, s2
	s_delay_alu instid0(SALU_CYCLE_1)
	s_mov_b32 s2, exec_lo
	v_cmpx_lt_u32_e32 0xbf, v0
	s_cbranch_execz .LBB124_33
; %bb.30:
	s_mov_b32 s6, 0
.LBB124_31:                             ; =>This Inner Loop Header: Depth=1
	v_ashrrev_i32_e32 v58, 31, v57
	s_clause 0xe
	global_load_b128 v[16:19], v[59:60], off offset:48
	global_load_b128 v[24:27], v[59:60], off offset:32
	;; [unrolled: 1-line block ×3, first 2 shown]
	global_load_b128 v[40:43], v[59:60], off
	global_load_b128 v[0:3], v[59:60], off offset:4144
	global_load_b128 v[4:7], v[59:60], off offset:4128
	;; [unrolled: 1-line block ×11, first 2 shown]
	v_lshlrev_b64_e32 v[79:80], 2, v[57:58]
	s_delay_alu instid0(VALU_DEP_1) | instskip(SKIP_1) | instid1(VALU_DEP_2)
	v_add_co_u32 v79, vcc_lo, s8, v79
	s_wait_alu 0xfffd
	v_add_co_ci_u32_e64 v80, null, s9, v80, vcc_lo
	s_clause 0x3
	global_load_b32 v58, v[79:80], off
	global_load_b32 v81, v[79:80], off offset:256
	global_load_b32 v82, v[79:80], off offset:512
	;; [unrolled: 1-line block ×3, first 2 shown]
	s_wait_loadcnt 0x3
	v_subrev_nc_u32_e32 v58, s12, v58
	s_wait_loadcnt 0x2
	v_subrev_nc_u32_e32 v80, s12, v81
	;; [unrolled: 2-line block ×4, first 2 shown]
	v_lshlrev_b32_e32 v79, 2, v58
	v_lshlrev_b32_e32 v81, 2, v80
	;; [unrolled: 1-line block ×3, first 2 shown]
	s_delay_alu instid0(VALU_DEP_4) | instskip(NEXT) | instid1(VALU_DEP_4)
	v_lshlrev_b32_e32 v85, 2, v84
	v_ashrrev_i32_e32 v80, 31, v79
	s_delay_alu instid0(VALU_DEP_4) | instskip(NEXT) | instid1(VALU_DEP_4)
	v_ashrrev_i32_e32 v82, 31, v81
	v_ashrrev_i32_e32 v84, 31, v83
	s_delay_alu instid0(VALU_DEP_4) | instskip(NEXT) | instid1(VALU_DEP_4)
	v_ashrrev_i32_e32 v86, 31, v85
	v_lshlrev_b64_e32 v[79:80], 3, v[79:80]
	s_delay_alu instid0(VALU_DEP_4) | instskip(NEXT) | instid1(VALU_DEP_4)
	v_lshlrev_b64_e32 v[81:82], 3, v[81:82]
	v_lshlrev_b64_e32 v[83:84], 3, v[83:84]
	s_delay_alu instid0(VALU_DEP_4) | instskip(SKIP_1) | instid1(VALU_DEP_4)
	v_lshlrev_b64_e32 v[85:86], 3, v[85:86]
	s_wait_kmcnt 0x0
	v_add_co_u32 v87, vcc_lo, s4, v79
	s_wait_alu 0xfffd
	v_add_co_ci_u32_e64 v88, null, s5, v80, vcc_lo
	v_add_co_u32 v91, vcc_lo, s4, v81
	s_wait_alu 0xfffd
	v_add_co_ci_u32_e64 v92, null, s5, v82, vcc_lo
	;; [unrolled: 3-line block ×4, first 2 shown]
	s_clause 0x2
	global_load_b128 v[79:82], v[87:88], off
	global_load_b128 v[83:86], v[87:88], off offset:16
	global_load_b128 v[87:90], v[91:92], off
	s_wait_loadcnt 0x2
	v_fmac_f32_e32 v64, v40, v79
	v_fmac_f32_e32 v65, 0, v79
	;; [unrolled: 1-line block ×4, first 2 shown]
	s_delay_alu instid0(VALU_DEP_4) | instskip(NEXT) | instid1(VALU_DEP_4)
	v_dual_fmac_f32 v67, 0, v79 :: v_dual_fmac_f32 v64, 0x80000000, v80
	v_dual_fmac_f32 v68, v42, v79 :: v_dual_fmac_f32 v65, v41, v80
	v_fmac_f32_e32 v69, 0, v79
	s_delay_alu instid0(VALU_DEP_3)
	v_dual_fmac_f32 v63, v43, v79 :: v_dual_fmac_f32 v64, v32, v81
	v_fmac_f32_e32 v62, v40, v80
	v_fmac_f32_e32 v66, 0x80000000, v80
	;; [unrolled: 1-line block ×5, first 2 shown]
	global_load_b128 v[40:43], v[91:92], off offset:16
	v_dual_fmac_f32 v63, 0x80000000, v80 :: v_dual_fmac_f32 v62, 0, v81
	v_fmac_f32_e32 v66, v33, v81
	v_fmac_f32_e32 v65, 0, v81
	v_dual_fmac_f32 v67, 0, v81 :: v_dual_fmac_f32 v64, 0x80000000, v82
	s_delay_alu instid0(VALU_DEP_3)
	v_dual_fmac_f32 v69, 0, v81 :: v_dual_fmac_f32 v66, 0x80000000, v82
	v_fmac_f32_e32 v68, v34, v81
	v_dual_fmac_f32 v63, v35, v81 :: v_dual_fmac_f32 v62, v32, v82
	s_wait_loadcnt 0x2
	v_dual_fmac_f32 v65, v33, v82 :: v_dual_fmac_f32 v64, v24, v83
	v_fmac_f32_e32 v67, v34, v82
	v_dual_fmac_f32 v69, v35, v82 :: v_dual_fmac_f32 v66, v25, v83
	s_clause 0x1
	global_load_b128 v[32:35], v[93:94], off
	global_load_b128 v[91:94], v[93:94], off offset:16
	v_fmac_f32_e32 v68, 0x80000000, v82
	v_fmac_f32_e32 v63, 0x80000000, v82
	global_load_b128 v[79:82], v[95:96], off
	v_fmac_f32_e32 v62, 0, v83
	v_fmac_f32_e32 v65, 0, v83
	v_dual_fmac_f32 v67, 0, v83 :: v_dual_fmac_f32 v64, 0x80000000, v84
	v_dual_fmac_f32 v69, 0, v83 :: v_dual_fmac_f32 v66, 0x80000000, v84
	v_fmac_f32_e32 v68, v26, v83
	v_dual_fmac_f32 v63, v27, v83 :: v_dual_fmac_f32 v62, v24, v84
	s_delay_alu instid0(VALU_DEP_4)
	v_dual_fmac_f32 v65, v25, v84 :: v_dual_fmac_f32 v64, v16, v85
	v_fmac_f32_e32 v67, v26, v84
	v_dual_fmac_f32 v69, v27, v84 :: v_dual_fmac_f32 v66, v17, v85
	global_load_b128 v[24:27], v[95:96], off offset:16
	v_fmac_f32_e32 v68, 0x80000000, v84
	v_dual_fmac_f32 v63, 0x80000000, v84 :: v_dual_fmac_f32 v62, 0, v85
	v_fmac_f32_e32 v65, 0, v85
	v_dual_fmac_f32 v67, 0, v85 :: v_dual_fmac_f32 v64, 0x80000000, v86
	v_dual_fmac_f32 v69, 0, v85 :: v_dual_fmac_f32 v66, 0x80000000, v86
	v_fmac_f32_e32 v68, v18, v85
	v_dual_fmac_f32 v63, v19, v85 :: v_dual_fmac_f32 v62, v16, v86
	s_wait_loadcnt 0x5
	v_dual_fmac_f32 v65, v17, v86 :: v_dual_fmac_f32 v64, v12, v87
	v_fmac_f32_e32 v67, v18, v86
	v_dual_fmac_f32 v69, v19, v86 :: v_dual_fmac_f32 v66, v13, v87
	global_load_b128 v[16:19], v[59:60], off offset:12336
	v_fmac_f32_e32 v68, 0x80000000, v86
	v_dual_fmac_f32 v63, 0x80000000, v86 :: v_dual_fmac_f32 v64, 0x80000000, v88
	v_fmac_f32_e32 v62, 0, v87
	v_fmac_f32_e32 v65, 0, v87
	;; [unrolled: 1-line block ×3, first 2 shown]
	v_dual_fmac_f32 v67, 0, v87 :: v_dual_fmac_f32 v66, 0x80000000, v88
	s_delay_alu instid0(VALU_DEP_4) | instskip(NEXT) | instid1(VALU_DEP_4)
	v_fmac_f32_e32 v62, v12, v88
	v_dual_fmac_f32 v65, v13, v88 :: v_dual_fmac_f32 v64, v8, v89
	s_delay_alu instid0(VALU_DEP_4) | instskip(NEXT) | instid1(VALU_DEP_4)
	v_fmac_f32_e32 v69, v15, v88
	;; [unrolled: 3-line block ×3, first 2 shown]
	v_dual_fmac_f32 v65, 0, v89 :: v_dual_fmac_f32 v64, 0x80000000, v90
	s_delay_alu instid0(VALU_DEP_4) | instskip(SKIP_1) | instid1(VALU_DEP_4)
	v_fmac_f32_e32 v69, 0, v89
	v_dual_fmac_f32 v68, v14, v87 :: v_dual_add_nc_u32 v57, 0x100, v57
	v_fmac_f32_e32 v62, v8, v90
	s_delay_alu instid0(VALU_DEP_4) | instskip(SKIP_4) | instid1(VALU_DEP_4)
	v_fmac_f32_e32 v65, v9, v90
	v_fmac_f32_e32 v63, v15, v87
	v_dual_fmac_f32 v67, 0, v89 :: v_dual_fmac_f32 v66, 0x80000000, v90
	v_fmac_f32_e32 v68, 0x80000000, v88
	v_add_co_u32 v59, vcc_lo, 0x4000, v59
	v_fmac_f32_e32 v63, 0x80000000, v88
	s_delay_alu instid0(VALU_DEP_4) | instskip(NEXT) | instid1(VALU_DEP_4)
	v_fmac_f32_e32 v67, v10, v90
	v_fmac_f32_e32 v68, v10, v89
	s_wait_alu 0xfffd
	v_add_co_ci_u32_e64 v60, null, 0, v60, vcc_lo
	v_fmac_f32_e32 v63, v11, v89
	v_cmp_ge_i32_e32 vcc_lo, v57, v70
	v_fmac_f32_e32 v68, 0x80000000, v90
	s_delay_alu instid0(VALU_DEP_3)
	v_fmac_f32_e32 v63, 0x80000000, v90
	s_wait_alu 0xfffe
	s_or_b32 s6, vcc_lo, s6
	s_wait_loadcnt 0x5
	v_dual_fmac_f32 v64, v4, v40 :: v_dual_fmac_f32 v69, v11, v90
	v_fmac_f32_e32 v62, 0, v40
	v_fmac_f32_e32 v65, 0, v40
	v_fmac_f32_e32 v66, v5, v40
	s_delay_alu instid0(VALU_DEP_4) | instskip(NEXT) | instid1(VALU_DEP_4)
	v_dual_fmac_f32 v64, 0x80000000, v41 :: v_dual_fmac_f32 v69, 0, v40
	v_fmac_f32_e32 v62, v4, v41
	s_delay_alu instid0(VALU_DEP_4) | instskip(NEXT) | instid1(VALU_DEP_4)
	v_fmac_f32_e32 v65, v5, v41
	v_dual_fmac_f32 v67, 0, v40 :: v_dual_fmac_f32 v66, 0x80000000, v41
	s_delay_alu instid0(VALU_DEP_4) | instskip(NEXT) | instid1(VALU_DEP_4)
	v_dual_fmac_f32 v64, v0, v42 :: v_dual_fmac_f32 v69, v7, v41
	v_fmac_f32_e32 v62, 0, v42
	s_delay_alu instid0(VALU_DEP_4) | instskip(NEXT) | instid1(VALU_DEP_4)
	v_fmac_f32_e32 v65, 0, v42
	v_dual_fmac_f32 v67, v6, v41 :: v_dual_fmac_f32 v66, v1, v42
	s_delay_alu instid0(VALU_DEP_4) | instskip(NEXT) | instid1(VALU_DEP_4)
	v_dual_fmac_f32 v64, 0x80000000, v43 :: v_dual_fmac_f32 v69, 0, v42
	v_fmac_f32_e32 v62, v0, v43
	s_delay_alu instid0(VALU_DEP_4) | instskip(SKIP_1) | instid1(VALU_DEP_3)
	v_dual_fmac_f32 v65, v1, v43 :: v_dual_fmac_f32 v68, v6, v40
	s_wait_loadcnt 0x4
	v_fmac_f32_e32 v64, v44, v32
	v_fmac_f32_e32 v63, v7, v40
	v_dual_fmac_f32 v67, 0, v42 :: v_dual_fmac_f32 v66, 0x80000000, v43
	s_delay_alu instid0(VALU_DEP_3)
	v_dual_fmac_f32 v69, v3, v43 :: v_dual_fmac_f32 v64, 0x80000000, v33
	v_fmac_f32_e32 v62, 0, v32
	v_dual_fmac_f32 v65, 0, v32 :: v_dual_fmac_f32 v68, 0x80000000, v41
	v_fmac_f32_e32 v63, 0x80000000, v41
	v_dual_fmac_f32 v67, v2, v43 :: v_dual_fmac_f32 v66, v45, v32
	v_dual_fmac_f32 v69, 0, v32 :: v_dual_fmac_f32 v64, v36, v34
	v_fmac_f32_e32 v62, v44, v33
	v_dual_fmac_f32 v65, v45, v33 :: v_dual_fmac_f32 v68, v2, v42
	v_fmac_f32_e32 v63, v3, v42
	v_dual_fmac_f32 v67, 0, v32 :: v_dual_fmac_f32 v66, 0x80000000, v33
	;; [unrolled: 5-line block ×3, first 2 shown]
	s_wait_loadcnt 0x3
	v_dual_fmac_f32 v69, 0, v34 :: v_dual_fmac_f32 v64, v28, v91
	v_fmac_f32_e32 v62, v36, v35
	v_dual_fmac_f32 v65, v37, v35 :: v_dual_fmac_f32 v68, v46, v32
	v_fmac_f32_e32 v63, v47, v32
	v_dual_fmac_f32 v67, 0, v34 :: v_dual_fmac_f32 v66, 0x80000000, v35
	s_delay_alu instid0(VALU_DEP_3) | instskip(NEXT) | instid1(VALU_DEP_4)
	v_dual_fmac_f32 v64, 0x80000000, v92 :: v_dual_fmac_f32 v65, 0, v91
	v_fmac_f32_e32 v68, 0x80000000, v33
	s_delay_alu instid0(VALU_DEP_4) | instskip(NEXT) | instid1(VALU_DEP_3)
	v_fmac_f32_e32 v63, 0x80000000, v33
	v_fmac_f32_e32 v64, v20, v93
	s_delay_alu instid0(VALU_DEP_4) | instskip(SKIP_2) | instid1(VALU_DEP_3)
	v_dual_fmac_f32 v62, 0, v91 :: v_dual_fmac_f32 v65, v29, v92
	v_fmac_f32_e32 v67, v38, v35
	v_fmac_f32_e32 v68, v38, v34
	v_dual_fmac_f32 v63, v39, v34 :: v_dual_fmac_f32 v62, v28, v92
	s_delay_alu instid0(VALU_DEP_3) | instskip(NEXT) | instid1(VALU_DEP_3)
	v_dual_fmac_f32 v64, 0x80000000, v94 :: v_dual_fmac_f32 v67, 0, v91
	v_fmac_f32_e32 v68, 0x80000000, v35
	s_delay_alu instid0(VALU_DEP_3) | instskip(NEXT) | instid1(VALU_DEP_3)
	v_fmac_f32_e32 v62, 0, v93
	v_dual_fmac_f32 v66, v29, v91 :: v_dual_fmac_f32 v67, v30, v92
	v_fmac_f32_e32 v63, 0x80000000, v35
	s_delay_alu instid0(VALU_DEP_3) | instskip(NEXT) | instid1(VALU_DEP_3)
	v_dual_fmac_f32 v65, 0, v93 :: v_dual_fmac_f32 v62, v20, v94
	v_fmac_f32_e32 v66, 0x80000000, v92
	s_wait_loadcnt 0x2
	v_fmac_f32_e32 v64, v71, v79
	v_fmac_f32_e32 v63, v31, v91
	v_dual_fmac_f32 v65, v21, v94 :: v_dual_fmac_f32 v62, 0, v79
	v_fmac_f32_e32 v66, v21, v93
	s_delay_alu instid0(VALU_DEP_3) | instskip(SKIP_1) | instid1(VALU_DEP_3)
	v_dual_fmac_f32 v68, v30, v91 :: v_dual_fmac_f32 v63, 0x80000000, v92
	v_fmac_f32_e32 v69, v39, v35
	v_dual_fmac_f32 v67, 0, v93 :: v_dual_fmac_f32 v66, 0x80000000, v94
	s_delay_alu instid0(VALU_DEP_3) | instskip(NEXT) | instid1(VALU_DEP_3)
	v_dual_fmac_f32 v68, 0x80000000, v92 :: v_dual_fmac_f32 v65, 0, v79
	v_dual_fmac_f32 v62, v71, v80 :: v_dual_fmac_f32 v69, 0, v91
	s_delay_alu instid0(VALU_DEP_3) | instskip(NEXT) | instid1(VALU_DEP_3)
	v_dual_fmac_f32 v67, v22, v94 :: v_dual_fmac_f32 v66, v72, v79
	v_fmac_f32_e32 v68, v22, v93
	v_fmac_f32_e32 v63, v23, v93
	s_delay_alu instid0(VALU_DEP_4) | instskip(NEXT) | instid1(VALU_DEP_4)
	v_fmac_f32_e32 v69, v31, v92
	v_dual_fmac_f32 v67, 0, v79 :: v_dual_fmac_f32 v66, 0x80000000, v80
	s_delay_alu instid0(VALU_DEP_4) | instskip(NEXT) | instid1(VALU_DEP_4)
	v_fmac_f32_e32 v68, 0x80000000, v94
	v_fmac_f32_e32 v63, 0x80000000, v94
	s_delay_alu instid0(VALU_DEP_4) | instskip(SKIP_1) | instid1(VALU_DEP_2)
	v_dual_fmac_f32 v69, 0, v93 :: v_dual_fmac_f32 v64, 0x80000000, v80
	v_dual_fmac_f32 v65, v72, v80 :: v_dual_fmac_f32 v62, 0, v81
	;; [unrolled: 1-line block ×3, first 2 shown]
	s_delay_alu instid0(VALU_DEP_3) | instskip(SKIP_1) | instid1(VALU_DEP_3)
	v_dual_fmac_f32 v63, v74, v79 :: v_dual_fmac_f32 v64, v48, v81
	v_fmac_f32_e32 v66, v49, v81
	v_dual_fmac_f32 v68, 0x80000000, v80 :: v_dual_fmac_f32 v69, 0, v79
	v_fmac_f32_e32 v67, v73, v80
	s_delay_alu instid0(VALU_DEP_4) | instskip(SKIP_1) | instid1(VALU_DEP_4)
	v_fmac_f32_e32 v63, 0x80000000, v80
	v_dual_fmac_f32 v65, 0, v81 :: v_dual_fmac_f32 v62, v48, v82
	v_dual_fmac_f32 v69, v74, v80 :: v_dual_fmac_f32 v64, 0x80000000, v82
	v_fmac_f32_e32 v68, v50, v81
	v_dual_fmac_f32 v67, 0, v81 :: v_dual_fmac_f32 v66, 0x80000000, v82
	v_fmac_f32_e32 v63, v51, v81
	s_wait_loadcnt 0x1
	v_dual_fmac_f32 v69, 0, v81 :: v_dual_fmac_f32 v64, v75, v24
	v_dual_fmac_f32 v65, v49, v82 :: v_dual_fmac_f32 v62, 0, v24
	v_fmac_f32_e32 v68, 0x80000000, v82
	v_dual_fmac_f32 v67, v50, v82 :: v_dual_fmac_f32 v66, v76, v24
	v_fmac_f32_e32 v63, 0x80000000, v82
	v_dual_fmac_f32 v69, v51, v82 :: v_dual_fmac_f32 v64, 0x80000000, v25
	v_dual_fmac_f32 v65, 0, v24 :: v_dual_fmac_f32 v62, v75, v25
	v_fmac_f32_e32 v68, v77, v24
	v_dual_fmac_f32 v67, 0, v24 :: v_dual_fmac_f32 v66, 0x80000000, v25
	v_fmac_f32_e32 v63, v78, v24
	s_wait_loadcnt 0x0
	v_dual_fmac_f32 v69, 0, v24 :: v_dual_fmac_f32 v64, v16, v26
	v_dual_fmac_f32 v65, v76, v25 :: v_dual_fmac_f32 v62, 0, v26
	v_fmac_f32_e32 v68, 0x80000000, v25
	v_fmac_f32_e32 v67, v77, v25
	v_dual_fmac_f32 v63, 0x80000000, v25 :: v_dual_fmac_f32 v66, v17, v26
	v_dual_fmac_f32 v69, v78, v25 :: v_dual_fmac_f32 v64, 0x80000000, v27
	;; [unrolled: 1-line block ×3, first 2 shown]
	v_fmac_f32_e32 v68, v18, v26
	s_delay_alu instid0(VALU_DEP_4)
	v_dual_fmac_f32 v67, 0, v26 :: v_dual_fmac_f32 v66, 0x80000000, v27
	v_fmac_f32_e32 v63, v19, v26
	v_fmac_f32_e32 v69, 0, v26
	;; [unrolled: 1-line block ×7, first 2 shown]
	s_wait_alu 0xfffe
	s_and_not1_b32 exec_lo, exec_lo, s6
	s_cbranch_execnz .LBB124_31
; %bb.32:
	s_or_b32 exec_lo, exec_lo, s6
.LBB124_33:
	s_wait_alu 0xfffe
	s_or_b32 exec_lo, exec_lo, s2
.LBB124_34:
	s_wait_alu 0xfffe
	s_or_b32 exec_lo, exec_lo, s3
.LBB124_35:
	v_mbcnt_lo_u32_b32 v0, -1, 0
	s_delay_alu instid0(VALU_DEP_1) | instskip(SKIP_2) | instid1(VALU_DEP_3)
	v_or_b32_e32 v1, 32, v0
	v_xor_b32_e32 v9, 16, v0
	v_xor_b32_e32 v17, 8, v0
	v_cmp_gt_i32_e32 vcc_lo, 32, v1
	s_wait_alu 0xfffd
	v_cndmask_b32_e32 v1, v0, v1, vcc_lo
	v_cmp_gt_i32_e32 vcc_lo, 32, v9
	s_delay_alu instid0(VALU_DEP_2)
	v_lshlrev_b32_e32 v1, 2, v1
	ds_bpermute_b32 v2, v1, v64
	s_wait_dscnt 0x0
	v_add_f32_e32 v2, v64, v2
	ds_bpermute_b32 v4, v1, v66
	ds_bpermute_b32 v8, v1, v63
	;; [unrolled: 1-line block ×3, first 2 shown]
	s_wait_alu 0xfffd
	v_cndmask_b32_e32 v9, v0, v9, vcc_lo
	ds_bpermute_b32 v3, v1, v62
	ds_bpermute_b32 v5, v1, v65
	;; [unrolled: 1-line block ×4, first 2 shown]
	v_cmp_gt_i32_e32 vcc_lo, 32, v17
	s_wait_dscnt 0x6
	s_wait_alu 0xfffd
	v_dual_cndmask_b32 v17, v0, v17 :: v_dual_add_f32 v4, v66, v4
	s_wait_dscnt 0x5
	v_dual_add_f32 v8, v63, v8 :: v_dual_lshlrev_b32 v9, 2, v9
	s_wait_dscnt 0x4
	v_add_f32_e32 v6, v68, v6
	ds_bpermute_b32 v12, v9, v4
	s_wait_dscnt 0x4
	v_add_f32_e32 v3, v62, v3
	ds_bpermute_b32 v10, v9, v2
	ds_bpermute_b32 v14, v9, v6
	;; [unrolled: 1-line block ×3, first 2 shown]
	s_wait_dscnt 0x6
	v_add_f32_e32 v5, v65, v5
	s_wait_dscnt 0x5
	v_add_f32_e32 v7, v67, v7
	s_wait_dscnt 0x3
	v_dual_add_f32 v1, v69, v1 :: v_dual_add_f32 v4, v4, v12
	ds_bpermute_b32 v11, v9, v3
	s_wait_dscnt 0x3
	v_dual_add_f32 v2, v2, v10 :: v_dual_lshlrev_b32 v17, 2, v17
	ds_bpermute_b32 v13, v9, v5
	s_wait_dscnt 0x3
	v_add_f32_e32 v6, v6, v14
	ds_bpermute_b32 v15, v9, v7
	s_wait_dscnt 0x3
	v_add_f32_e32 v8, v8, v16
	ds_bpermute_b32 v9, v9, v1
	s_wait_dscnt 0x3
	v_add_f32_e32 v3, v3, v11
	ds_bpermute_b32 v11, v17, v4
	s_wait_dscnt 0x2
	v_add_f32_e32 v7, v7, v15
	s_wait_dscnt 0x0
	v_dual_add_f32 v4, v4, v11 :: v_dual_add_f32 v1, v1, v9
	ds_bpermute_b32 v9, v17, v2
	ds_bpermute_b32 v15, v17, v8
	v_add_f32_e32 v5, v5, v13
	ds_bpermute_b32 v13, v17, v6
	ds_bpermute_b32 v16, v17, v1
	s_wait_dscnt 0x3
	v_add_f32_e32 v2, v2, v9
	ds_bpermute_b32 v10, v17, v3
	s_wait_dscnt 0x3
	v_add_f32_e32 v8, v8, v15
	;; [unrolled: 3-line block ×3, first 2 shown]
	ds_bpermute_b32 v14, v17, v7
	v_xor_b32_e32 v17, 4, v0
	s_delay_alu instid0(VALU_DEP_1) | instskip(SKIP_2) | instid1(VALU_DEP_1)
	v_cmp_gt_i32_e32 vcc_lo, 32, v17
	s_wait_alu 0xfffd
	v_cndmask_b32_e32 v17, v0, v17, vcc_lo
	v_lshlrev_b32_e32 v17, 2, v17
	s_wait_dscnt 0x0
	v_add_f32_e32 v7, v7, v14
	ds_bpermute_b32 v15, v17, v8
	s_wait_dscnt 0x0
	v_add_f32_e32 v8, v8, v15
	ds_bpermute_b32 v11, v17, v4
	ds_bpermute_b32 v9, v17, v2
	;; [unrolled: 1-line block ×3, first 2 shown]
	v_add_f32_e32 v3, v3, v10
	v_add_f32_e32 v5, v5, v12
	ds_bpermute_b32 v14, v17, v7
	s_wait_dscnt 0x3
	v_dual_add_f32 v4, v4, v11 :: v_dual_add_f32 v1, v1, v16
	s_wait_dscnt 0x2
	v_add_f32_e32 v2, v2, v9
	ds_bpermute_b32 v10, v17, v3
	s_wait_dscnt 0x2
	v_add_f32_e32 v6, v6, v13
	ds_bpermute_b32 v12, v17, v5
	ds_bpermute_b32 v16, v17, v1
	v_xor_b32_e32 v17, 2, v0
	s_wait_dscnt 0x3
	v_add_f32_e32 v7, v7, v14
	s_delay_alu instid0(VALU_DEP_2) | instskip(SKIP_2) | instid1(VALU_DEP_1)
	v_cmp_gt_i32_e32 vcc_lo, 32, v17
	s_wait_alu 0xfffd
	v_cndmask_b32_e32 v17, v0, v17, vcc_lo
	v_lshlrev_b32_e32 v17, 2, v17
	s_wait_dscnt 0x0
	v_add_f32_e32 v9, v1, v16
	ds_bpermute_b32 v1, v17, v2
	v_add_f32_e32 v3, v3, v10
	ds_bpermute_b32 v13, v17, v6
	;; [unrolled: 2-line block ×3, first 2 shown]
	ds_bpermute_b32 v14, v17, v7
	ds_bpermute_b32 v10, v17, v3
	;; [unrolled: 1-line block ×5, first 2 shown]
	v_xor_b32_e32 v17, 1, v0
	s_delay_alu instid0(VALU_DEP_1) | instskip(SKIP_4) | instid1(VALU_DEP_2)
	v_cmp_gt_i32_e32 vcc_lo, 32, v17
	s_wait_alu 0xfffd
	v_cndmask_b32_e32 v0, v0, v17, vcc_lo
	v_cmp_eq_u32_e32 vcc_lo, 63, v61
	s_wait_dscnt 0x7
	v_dual_add_f32 v0, v2, v1 :: v_dual_lshlrev_b32 v17, 2, v0
	s_wait_dscnt 0x3
	v_dual_add_f32 v1, v3, v10 :: v_dual_add_f32 v2, v4, v11
	s_wait_dscnt 0x1
	v_dual_add_f32 v4, v6, v13 :: v_dual_add_f32 v3, v5, v12
	v_dual_add_f32 v5, v7, v14 :: v_dual_add_f32 v6, v8, v15
	s_wait_dscnt 0x0
	v_add_f32_e32 v7, v9, v16
	ds_bpermute_b32 v8, v17, v0
	ds_bpermute_b32 v9, v17, v1
	;; [unrolled: 1-line block ×8, first 2 shown]
	s_and_b32 exec_lo, exec_lo, vcc_lo
	s_cbranch_execz .LBB124_8
; %bb.36:
	s_load_b64 s[2:3], s[0:1], 0x50
	s_wait_dscnt 0x7
	v_add_f32_e32 v8, v0, v8
	s_wait_dscnt 0x4
	v_dual_add_f32 v0, v1, v9 :: v_dual_add_f32 v1, v3, v11
	s_wait_dscnt 0x2
	v_dual_add_f32 v9, v2, v10 :: v_dual_add_f32 v2, v5, v13
	;; [unrolled: 2-line block ×3, first 2 shown]
	v_add_f32_e32 v11, v6, v14
	v_mul_f32_e64 v4, v0, -v55
	v_mul_f32_e32 v5, v54, v0
	v_mul_f32_e64 v6, v1, -v55
	v_mul_f32_e32 v7, v54, v1
	;; [unrolled: 2-line block ×4, first 2 shown]
	v_cmp_eq_f32_e32 vcc_lo, 0, v52
	v_cmp_eq_f32_e64 s0, 0, v53
	v_fmac_f32_e32 v4, v54, v8
	v_dual_fmac_f32 v5, v55, v8 :: v_dual_fmac_f32 v6, v54, v9
	v_dual_fmac_f32 v7, v55, v9 :: v_dual_lshlrev_b32 v8, 2, v56
	v_dual_fmac_f32 v0, v54, v10 :: v_dual_fmac_f32 v3, v55, v11
	v_dual_fmac_f32 v1, v55, v10 :: v_dual_fmac_f32 v2, v54, v11
	s_and_b32 s0, vcc_lo, s0
	s_wait_alu 0xfffe
	s_and_saveexec_b32 s1, s0
	s_wait_alu 0xfffe
	s_xor_b32 s0, exec_lo, s1
	s_cbranch_execz .LBB124_38
; %bb.37:
	v_ashrrev_i32_e32 v9, 31, v8
                                        ; implicit-def: $vgpr52_vgpr53
	s_delay_alu instid0(VALU_DEP_1) | instskip(SKIP_1) | instid1(VALU_DEP_1)
	v_lshlrev_b64_e32 v[8:9], 3, v[8:9]
	s_wait_kmcnt 0x0
	v_add_co_u32 v8, vcc_lo, s2, v8
	s_wait_alu 0xfffd
	s_delay_alu instid0(VALU_DEP_2)
	v_add_co_ci_u32_e64 v9, null, s3, v9, vcc_lo
	s_clause 0x1
	global_store_b128 v[8:9], v[4:7], off
	global_store_b128 v[8:9], v[0:3], off offset:16
                                        ; implicit-def: $vgpr4
                                        ; implicit-def: $vgpr8
                                        ; implicit-def: $vgpr0
.LBB124_38:
	s_wait_alu 0xfffe
	s_and_not1_saveexec_b32 s0, s0
	s_cbranch_execz .LBB124_8
; %bb.39:
	v_ashrrev_i32_e32 v9, 31, v8
	s_delay_alu instid0(VALU_DEP_1) | instskip(SKIP_1) | instid1(VALU_DEP_1)
	v_lshlrev_b64_e32 v[8:9], 3, v[8:9]
	s_wait_kmcnt 0x0
	v_add_co_u32 v16, vcc_lo, s2, v8
	s_wait_alu 0xfffd
	s_delay_alu instid0(VALU_DEP_2)
	v_add_co_ci_u32_e64 v17, null, s3, v9, vcc_lo
	s_clause 0x1
	global_load_b128 v[8:11], v[16:17], off
	global_load_b128 v[12:15], v[16:17], off offset:16
	s_wait_loadcnt 0x1
	v_dual_fmac_f32 v4, v52, v8 :: v_dual_fmac_f32 v7, v53, v10
	v_dual_fmac_f32 v5, v53, v8 :: v_dual_fmac_f32 v6, v52, v10
	s_wait_loadcnt 0x0
	v_dual_fmac_f32 v0, v52, v12 :: v_dual_fmac_f32 v3, v53, v14
	v_dual_fmac_f32 v1, v53, v12 :: v_dual_fmac_f32 v2, v52, v14
	v_fma_f32 v4, -v53, v9, v4
	v_fmac_f32_e32 v5, v52, v9
	v_fma_f32 v6, -v53, v11, v6
	v_fmac_f32_e32 v7, v52, v11
	;; [unrolled: 2-line block ×4, first 2 shown]
	s_clause 0x1
	global_store_b128 v[16:17], v[4:7], off
	global_store_b128 v[16:17], v[0:3], off offset:16
	s_nop 0
	s_sendmsg sendmsg(MSG_DEALLOC_VGPRS)
	s_endpgm
	.section	.rodata,"a",@progbits
	.p2align	6, 0x0
	.amdhsa_kernel _ZN9rocsparseL18bsrxmvn_4x4_kernelILj128ELj64E21rocsparse_complex_numIfEiifS2_S2_EEvT3_20rocsparse_direction_NS_24const_host_device_scalarIT1_EES3_PKS3_PKT2_SC_S9_PKT4_PKT5_S7_PT6_21rocsparse_index_base_b
		.amdhsa_group_segment_fixed_size 0
		.amdhsa_private_segment_fixed_size 0
		.amdhsa_kernarg_size 96
		.amdhsa_user_sgpr_count 2
		.amdhsa_user_sgpr_dispatch_ptr 0
		.amdhsa_user_sgpr_queue_ptr 0
		.amdhsa_user_sgpr_kernarg_segment_ptr 1
		.amdhsa_user_sgpr_dispatch_id 0
		.amdhsa_user_sgpr_private_segment_size 0
		.amdhsa_wavefront_size32 1
		.amdhsa_uses_dynamic_stack 0
		.amdhsa_enable_private_segment 0
		.amdhsa_system_sgpr_workgroup_id_x 1
		.amdhsa_system_sgpr_workgroup_id_y 0
		.amdhsa_system_sgpr_workgroup_id_z 0
		.amdhsa_system_sgpr_workgroup_info 0
		.amdhsa_system_vgpr_workitem_id 0
		.amdhsa_next_free_vgpr 105
		.amdhsa_next_free_sgpr 14
		.amdhsa_reserve_vcc 1
		.amdhsa_float_round_mode_32 0
		.amdhsa_float_round_mode_16_64 0
		.amdhsa_float_denorm_mode_32 3
		.amdhsa_float_denorm_mode_16_64 3
		.amdhsa_fp16_overflow 0
		.amdhsa_workgroup_processor_mode 1
		.amdhsa_memory_ordered 1
		.amdhsa_forward_progress 1
		.amdhsa_inst_pref_size 62
		.amdhsa_round_robin_scheduling 0
		.amdhsa_exception_fp_ieee_invalid_op 0
		.amdhsa_exception_fp_denorm_src 0
		.amdhsa_exception_fp_ieee_div_zero 0
		.amdhsa_exception_fp_ieee_overflow 0
		.amdhsa_exception_fp_ieee_underflow 0
		.amdhsa_exception_fp_ieee_inexact 0
		.amdhsa_exception_int_div_zero 0
	.end_amdhsa_kernel
	.section	.text._ZN9rocsparseL18bsrxmvn_4x4_kernelILj128ELj64E21rocsparse_complex_numIfEiifS2_S2_EEvT3_20rocsparse_direction_NS_24const_host_device_scalarIT1_EES3_PKS3_PKT2_SC_S9_PKT4_PKT5_S7_PT6_21rocsparse_index_base_b,"axG",@progbits,_ZN9rocsparseL18bsrxmvn_4x4_kernelILj128ELj64E21rocsparse_complex_numIfEiifS2_S2_EEvT3_20rocsparse_direction_NS_24const_host_device_scalarIT1_EES3_PKS3_PKT2_SC_S9_PKT4_PKT5_S7_PT6_21rocsparse_index_base_b,comdat
.Lfunc_end124:
	.size	_ZN9rocsparseL18bsrxmvn_4x4_kernelILj128ELj64E21rocsparse_complex_numIfEiifS2_S2_EEvT3_20rocsparse_direction_NS_24const_host_device_scalarIT1_EES3_PKS3_PKT2_SC_S9_PKT4_PKT5_S7_PT6_21rocsparse_index_base_b, .Lfunc_end124-_ZN9rocsparseL18bsrxmvn_4x4_kernelILj128ELj64E21rocsparse_complex_numIfEiifS2_S2_EEvT3_20rocsparse_direction_NS_24const_host_device_scalarIT1_EES3_PKS3_PKT2_SC_S9_PKT4_PKT5_S7_PT6_21rocsparse_index_base_b
                                        ; -- End function
	.set _ZN9rocsparseL18bsrxmvn_4x4_kernelILj128ELj64E21rocsparse_complex_numIfEiifS2_S2_EEvT3_20rocsparse_direction_NS_24const_host_device_scalarIT1_EES3_PKS3_PKT2_SC_S9_PKT4_PKT5_S7_PT6_21rocsparse_index_base_b.num_vgpr, 105
	.set _ZN9rocsparseL18bsrxmvn_4x4_kernelILj128ELj64E21rocsparse_complex_numIfEiifS2_S2_EEvT3_20rocsparse_direction_NS_24const_host_device_scalarIT1_EES3_PKS3_PKT2_SC_S9_PKT4_PKT5_S7_PT6_21rocsparse_index_base_b.num_agpr, 0
	.set _ZN9rocsparseL18bsrxmvn_4x4_kernelILj128ELj64E21rocsparse_complex_numIfEiifS2_S2_EEvT3_20rocsparse_direction_NS_24const_host_device_scalarIT1_EES3_PKS3_PKT2_SC_S9_PKT4_PKT5_S7_PT6_21rocsparse_index_base_b.numbered_sgpr, 14
	.set _ZN9rocsparseL18bsrxmvn_4x4_kernelILj128ELj64E21rocsparse_complex_numIfEiifS2_S2_EEvT3_20rocsparse_direction_NS_24const_host_device_scalarIT1_EES3_PKS3_PKT2_SC_S9_PKT4_PKT5_S7_PT6_21rocsparse_index_base_b.num_named_barrier, 0
	.set _ZN9rocsparseL18bsrxmvn_4x4_kernelILj128ELj64E21rocsparse_complex_numIfEiifS2_S2_EEvT3_20rocsparse_direction_NS_24const_host_device_scalarIT1_EES3_PKS3_PKT2_SC_S9_PKT4_PKT5_S7_PT6_21rocsparse_index_base_b.private_seg_size, 0
	.set _ZN9rocsparseL18bsrxmvn_4x4_kernelILj128ELj64E21rocsparse_complex_numIfEiifS2_S2_EEvT3_20rocsparse_direction_NS_24const_host_device_scalarIT1_EES3_PKS3_PKT2_SC_S9_PKT4_PKT5_S7_PT6_21rocsparse_index_base_b.uses_vcc, 1
	.set _ZN9rocsparseL18bsrxmvn_4x4_kernelILj128ELj64E21rocsparse_complex_numIfEiifS2_S2_EEvT3_20rocsparse_direction_NS_24const_host_device_scalarIT1_EES3_PKS3_PKT2_SC_S9_PKT4_PKT5_S7_PT6_21rocsparse_index_base_b.uses_flat_scratch, 0
	.set _ZN9rocsparseL18bsrxmvn_4x4_kernelILj128ELj64E21rocsparse_complex_numIfEiifS2_S2_EEvT3_20rocsparse_direction_NS_24const_host_device_scalarIT1_EES3_PKS3_PKT2_SC_S9_PKT4_PKT5_S7_PT6_21rocsparse_index_base_b.has_dyn_sized_stack, 0
	.set _ZN9rocsparseL18bsrxmvn_4x4_kernelILj128ELj64E21rocsparse_complex_numIfEiifS2_S2_EEvT3_20rocsparse_direction_NS_24const_host_device_scalarIT1_EES3_PKS3_PKT2_SC_S9_PKT4_PKT5_S7_PT6_21rocsparse_index_base_b.has_recursion, 0
	.set _ZN9rocsparseL18bsrxmvn_4x4_kernelILj128ELj64E21rocsparse_complex_numIfEiifS2_S2_EEvT3_20rocsparse_direction_NS_24const_host_device_scalarIT1_EES3_PKS3_PKT2_SC_S9_PKT4_PKT5_S7_PT6_21rocsparse_index_base_b.has_indirect_call, 0
	.section	.AMDGPU.csdata,"",@progbits
; Kernel info:
; codeLenInByte = 7828
; TotalNumSgprs: 16
; NumVgprs: 105
; ScratchSize: 0
; MemoryBound: 0
; FloatMode: 240
; IeeeMode: 1
; LDSByteSize: 0 bytes/workgroup (compile time only)
; SGPRBlocks: 0
; VGPRBlocks: 13
; NumSGPRsForWavesPerEU: 16
; NumVGPRsForWavesPerEU: 105
; Occupancy: 12
; WaveLimiterHint : 1
; COMPUTE_PGM_RSRC2:SCRATCH_EN: 0
; COMPUTE_PGM_RSRC2:USER_SGPR: 2
; COMPUTE_PGM_RSRC2:TRAP_HANDLER: 0
; COMPUTE_PGM_RSRC2:TGID_X_EN: 1
; COMPUTE_PGM_RSRC2:TGID_Y_EN: 0
; COMPUTE_PGM_RSRC2:TGID_Z_EN: 0
; COMPUTE_PGM_RSRC2:TIDIG_COMP_CNT: 0
	.section	.text._ZN9rocsparseL18bsrxmvn_4x4_kernelILj128ELj4E21rocsparse_complex_numIfElifS2_S2_EEvT3_20rocsparse_direction_NS_24const_host_device_scalarIT1_EES3_PKS3_PKT2_SC_S9_PKT4_PKT5_S7_PT6_21rocsparse_index_base_b,"axG",@progbits,_ZN9rocsparseL18bsrxmvn_4x4_kernelILj128ELj4E21rocsparse_complex_numIfElifS2_S2_EEvT3_20rocsparse_direction_NS_24const_host_device_scalarIT1_EES3_PKS3_PKT2_SC_S9_PKT4_PKT5_S7_PT6_21rocsparse_index_base_b,comdat
	.globl	_ZN9rocsparseL18bsrxmvn_4x4_kernelILj128ELj4E21rocsparse_complex_numIfElifS2_S2_EEvT3_20rocsparse_direction_NS_24const_host_device_scalarIT1_EES3_PKS3_PKT2_SC_S9_PKT4_PKT5_S7_PT6_21rocsparse_index_base_b ; -- Begin function _ZN9rocsparseL18bsrxmvn_4x4_kernelILj128ELj4E21rocsparse_complex_numIfElifS2_S2_EEvT3_20rocsparse_direction_NS_24const_host_device_scalarIT1_EES3_PKS3_PKT2_SC_S9_PKT4_PKT5_S7_PT6_21rocsparse_index_base_b
	.p2align	8
	.type	_ZN9rocsparseL18bsrxmvn_4x4_kernelILj128ELj4E21rocsparse_complex_numIfElifS2_S2_EEvT3_20rocsparse_direction_NS_24const_host_device_scalarIT1_EES3_PKS3_PKT2_SC_S9_PKT4_PKT5_S7_PT6_21rocsparse_index_base_b,@function
_ZN9rocsparseL18bsrxmvn_4x4_kernelILj128ELj4E21rocsparse_complex_numIfElifS2_S2_EEvT3_20rocsparse_direction_NS_24const_host_device_scalarIT1_EES3_PKS3_PKT2_SC_S9_PKT4_PKT5_S7_PT6_21rocsparse_index_base_b: ; @_ZN9rocsparseL18bsrxmvn_4x4_kernelILj128ELj4E21rocsparse_complex_numIfElifS2_S2_EEvT3_20rocsparse_direction_NS_24const_host_device_scalarIT1_EES3_PKS3_PKT2_SC_S9_PKT4_PKT5_S7_PT6_21rocsparse_index_base_b
; %bb.0:
	s_clause 0x2
	s_load_b64 s[12:13], s[0:1], 0x58
	s_load_b64 s[2:3], s[0:1], 0x8
	;; [unrolled: 1-line block ×3, first 2 shown]
	s_add_nc_u64 s[6:7], s[0:1], 8
	s_wait_kmcnt 0x0
	s_bitcmp1_b32 s13, 0
	s_cselect_b32 s2, s6, s2
	s_cselect_b32 s3, s7, s3
	s_delay_alu instid0(SALU_CYCLE_1)
	v_dual_mov_b32 v1, s2 :: v_dual_mov_b32 v2, s3
	s_add_nc_u64 s[2:3], s[0:1], 0x48
	s_wait_alu 0xfffe
	s_cselect_b32 s2, s2, s4
	s_cselect_b32 s3, s3, s5
	flat_load_b64 v[10:11], v[1:2]
	s_wait_alu 0xfffe
	v_dual_mov_b32 v1, s2 :: v_dual_mov_b32 v2, s3
	flat_load_b64 v[8:9], v[1:2]
	s_wait_loadcnt_dscnt 0x101
	v_cmp_eq_f32_e32 vcc_lo, 0, v10
	v_cmp_eq_f32_e64 s2, 0, v11
	s_and_b32 s4, vcc_lo, s2
	s_mov_b32 s2, -1
	s_and_saveexec_b32 s3, s4
	s_cbranch_execz .LBB125_2
; %bb.1:
	s_wait_loadcnt_dscnt 0x0
	v_cmp_neq_f32_e32 vcc_lo, 1.0, v8
	v_cmp_neq_f32_e64 s2, 0, v9
	s_wait_alu 0xfffe
	s_or_b32 s2, vcc_lo, s2
	s_wait_alu 0xfffe
	s_or_not1_b32 s2, s2, exec_lo
.LBB125_2:
	s_wait_alu 0xfffe
	s_or_b32 exec_lo, exec_lo, s3
	s_and_saveexec_b32 s3, s2
	s_cbranch_execz .LBB125_8
; %bb.3:
	s_clause 0x1
	s_load_b64 s[4:5], s[0:1], 0x18
	s_load_b64 s[2:3], s[0:1], 0x0
	v_lshrrev_b32_e32 v1, 2, v0
	s_delay_alu instid0(VALU_DEP_1)
	v_lshl_or_b32 v12, ttmp9, 5, v1
	s_wait_kmcnt 0x0
	s_cmp_lg_u64 s[4:5], 0
	s_cbranch_scc0 .LBB125_9
; %bb.4:
	s_load_b32 s6, s[0:1], 0x10
	s_mov_b32 s7, 0
                                        ; implicit-def: $vgpr1
	s_wait_kmcnt 0x0
	v_cmp_gt_i32_e32 vcc_lo, s6, v12
	s_mov_b32 s6, 0
	s_and_saveexec_b32 s8, vcc_lo
	s_delay_alu instid0(SALU_CYCLE_1)
	s_xor_b32 s8, exec_lo, s8
	s_cbranch_execz .LBB125_6
; %bb.5:
	v_ashrrev_i32_e32 v13, 31, v12
	s_mov_b32 s6, exec_lo
	s_delay_alu instid0(VALU_DEP_1) | instskip(NEXT) | instid1(VALU_DEP_1)
	v_lshlrev_b64_e32 v[1:2], 2, v[12:13]
	v_add_co_u32 v1, vcc_lo, s4, v1
	s_delay_alu instid0(VALU_DEP_1)
	v_add_co_ci_u32_e64 v2, null, s5, v2, vcc_lo
	global_load_b32 v1, v[1:2], off
	s_wait_loadcnt 0x0
	v_subrev_nc_u32_e32 v1, s12, v1
.LBB125_6:
	s_or_b32 exec_lo, exec_lo, s8
	s_delay_alu instid0(SALU_CYCLE_1)
	s_and_b32 vcc_lo, exec_lo, s7
	s_wait_alu 0xfffe
	s_cbranch_vccz .LBB125_10
.LBB125_7:
	v_cmp_gt_i32_e32 vcc_lo, s2, v12
	s_and_not1_b32 s2, s6, exec_lo
	s_and_b32 s4, vcc_lo, exec_lo
	s_wait_alu 0xfffe
	s_or_b32 s6, s2, s4
	s_wait_alu 0xfffe
	s_and_b32 exec_lo, exec_lo, s6
	s_cbranch_execnz .LBB125_11
.LBB125_8:
	s_nop 0
	s_sendmsg sendmsg(MSG_DEALLOC_VGPRS)
	s_endpgm
.LBB125_9:
	s_mov_b32 s6, 0
                                        ; implicit-def: $vgpr1
	s_cbranch_execnz .LBB125_7
.LBB125_10:
	v_mov_b32_e32 v12, v1
	s_and_b32 exec_lo, exec_lo, s6
	s_cbranch_execz .LBB125_8
.LBB125_11:
	s_load_b256 s[4:11], s[0:1], 0x20
	s_delay_alu instid0(VALU_DEP_1) | instskip(SKIP_1) | instid1(VALU_DEP_2)
	v_ashrrev_i32_e32 v13, 31, v12
	v_dual_mov_b32 v26, 0 :: v_dual_and_b32 v25, 3, v0
	v_lshlrev_b64_e32 v[1:2], 3, v[12:13]
	s_wait_kmcnt 0x0
	s_delay_alu instid0(VALU_DEP_1) | instskip(SKIP_1) | instid1(VALU_DEP_2)
	v_add_co_u32 v3, vcc_lo, s4, v1
	s_wait_alu 0xfffd
	v_add_co_ci_u32_e64 v4, null, s5, v2, vcc_lo
	v_add_co_u32 v1, vcc_lo, s6, v1
	s_wait_alu 0xfffd
	v_add_co_ci_u32_e64 v2, null, s7, v2, vcc_lo
	v_add_co_u32 v5, vcc_lo, v3, 8
	global_load_b64 v[13:14], v[3:4], off
	s_wait_alu 0xfffd
	v_add_co_ci_u32_e64 v6, null, 0, v4, vcc_lo
	s_cmp_eq_u64 s[6:7], 0
	s_load_b64 s[4:5], s[0:1], 0x40
	s_cselect_b32 vcc_lo, -1, 0
	s_cmp_eq_u32 s3, 1
	s_wait_alu 0xfffe
	v_dual_cndmask_b32 v2, v2, v6 :: v_dual_cndmask_b32 v1, v1, v5
	global_load_b64 v[2:3], v[1:2], off
	s_wait_loadcnt 0x1
	v_sub_co_u32 v0, vcc_lo, v13, s12
	s_wait_alu 0xfffd
	v_subrev_co_ci_u32_e64 v1, null, 0, v14, vcc_lo
	s_delay_alu instid0(VALU_DEP_2) | instskip(SKIP_1) | instid1(VALU_DEP_2)
	v_add_co_u32 v0, vcc_lo, v0, v25
	s_wait_alu 0xfffd
	v_add_co_ci_u32_e64 v1, null, 0, v1, vcc_lo
	s_delay_alu instid0(VALU_DEP_1) | instskip(SKIP_4) | instid1(VALU_DEP_3)
	v_lshlrev_b64_e32 v[4:5], 6, v[0:1]
	s_wait_loadcnt 0x0
	v_sub_co_u32 v2, vcc_lo, v2, s12
	s_wait_alu 0xfffd
	v_subrev_co_ci_u32_e64 v3, null, 0, v3, vcc_lo
	v_add_co_u32 v4, vcc_lo, s10, v4
	s_delay_alu instid0(VALU_DEP_2)
	v_cmp_lt_i64_e64 s2, v[0:1], v[2:3]
	s_wait_alu 0xfffd
	v_add_co_ci_u32_e64 v5, null, s11, v5, vcc_lo
	s_cbranch_scc1 .LBB125_23
; %bb.12:
	v_dual_mov_b32 v27, 0 :: v_dual_mov_b32 v28, 0
	v_dual_mov_b32 v29, 0 :: v_dual_mov_b32 v30, 0
	;; [unrolled: 1-line block ×3, first 2 shown]
	v_mov_b32_e32 v7, 0
	s_and_saveexec_b32 s3, s2
	s_cbranch_execz .LBB125_22
; %bb.13:
	v_or_b32_e32 v6, 4, v25
	v_not_b32_e32 v17, v13
	s_delay_alu instid0(VALU_DEP_2) | instskip(SKIP_3) | instid1(VALU_DEP_3)
	v_sub_co_u32 v6, s6, v6, s12
	s_wait_alu 0xf1ff
	v_sub_co_ci_u32_e64 v7, null, 0, 0, s6
	v_sub_co_u32 v18, s6, s12, v25
	v_add_co_u32 v15, vcc_lo, v6, v13
	s_wait_alu 0xfffd
	s_delay_alu instid0(VALU_DEP_3) | instskip(SKIP_3) | instid1(VALU_DEP_3)
	v_add_co_ci_u32_e64 v16, null, v7, v14, vcc_lo
	v_not_b32_e32 v6, v14
	s_wait_alu 0xf1ff
	v_sub_co_ci_u32_e64 v19, null, 0, 0, s6
	v_cmp_gt_i64_e32 vcc_lo, v[15:16], v[2:3]
	v_mov_b32_e32 v7, 0
	s_mov_b32 s6, exec_lo
	s_wait_alu 0xfffd
	v_dual_cndmask_b32 v16, v3, v16 :: v_dual_cndmask_b32 v15, v2, v15
	s_delay_alu instid0(VALU_DEP_2) | instskip(SKIP_4) | instid1(VALU_DEP_3)
	v_mov_b32_e32 v32, v7
	v_add_co_u32 v17, vcc_lo, v18, v17
	s_wait_alu 0xfffd
	v_add_co_ci_u32_e64 v6, null, v19, v6, vcc_lo
	v_dual_mov_b32 v31, v7 :: v_dual_mov_b32 v30, v7
	v_add_co_u32 v19, vcc_lo, v17, v15
	s_wait_alu 0xfffd
	s_delay_alu instid0(VALU_DEP_3)
	v_add_co_ci_u32_e64 v20, null, v6, v16, vcc_lo
	v_mov_b32_e32 v16, v5
	v_mov_b32_e32 v18, v1
	v_dual_mov_b32 v29, v7 :: v_dual_and_b32 v6, 12, v19
	v_dual_mov_b32 v28, v7 :: v_dual_mov_b32 v27, v7
	v_dual_mov_b32 v26, v7 :: v_dual_mov_b32 v15, v4
	v_mov_b32_e32 v17, v0
	s_delay_alu instid0(VALU_DEP_4)
	v_cmpx_ne_u64_e32 12, v[6:7]
	s_cbranch_execz .LBB125_17
; %bb.14:
	v_lshrrev_b32_e32 v6, 2, v19
	v_mov_b32_e32 v26, 0
	v_dual_mov_b32 v18, v1 :: v_dual_mov_b32 v17, v0
	v_dual_mov_b32 v16, v5 :: v_dual_mov_b32 v15, v4
	s_delay_alu instid0(VALU_DEP_4) | instskip(SKIP_2) | instid1(VALU_DEP_3)
	v_add_nc_u32_e32 v21, 1, v6
	v_lshlrev_b64_e32 v[6:7], 2, v[0:1]
	v_dual_mov_b32 v27, 0 :: v_dual_mov_b32 v28, 0
	v_dual_mov_b32 v30, 0 :: v_dual_and_b32 v23, 3, v21
	v_dual_mov_b32 v29, 0 :: v_dual_mov_b32 v32, 0
	s_delay_alu instid0(VALU_DEP_4) | instskip(NEXT) | instid1(VALU_DEP_3)
	v_add_co_u32 v21, vcc_lo, s8, v6
	v_sub_co_u32 v23, s7, 0, v23
	s_wait_alu 0xfffd
	v_add_co_ci_u32_e64 v22, null, s9, v7, vcc_lo
	s_wait_alu 0xf1ff
	v_sub_co_ci_u32_e64 v24, null, 0, 0, s7
	v_mov_b32_e32 v31, 0
	v_mov_b32_e32 v7, 0
	s_mov_b32 s7, 0
.LBB125_15:                             ; =>This Inner Loop Header: Depth=1
	global_load_b32 v6, v[21:22], off
	s_clause 0x3
	global_load_b128 v[33:36], v[15:16], off offset:48
	global_load_b128 v[37:40], v[15:16], off offset:32
	;; [unrolled: 1-line block ×3, first 2 shown]
	global_load_b128 v[45:48], v[15:16], off
	s_wait_loadcnt 0x4
	v_subrev_nc_u32_e32 v6, s12, v6
	s_delay_alu instid0(VALU_DEP_1) | instskip(NEXT) | instid1(VALU_DEP_1)
	v_lshlrev_b32_e32 v49, 2, v6
	v_ashrrev_i32_e32 v50, 31, v49
	s_delay_alu instid0(VALU_DEP_1) | instskip(SKIP_1) | instid1(VALU_DEP_1)
	v_lshlrev_b64_e32 v[49:50], 3, v[49:50]
	s_wait_kmcnt 0x0
	v_add_co_u32 v53, vcc_lo, s4, v49
	s_wait_alu 0xfffd
	s_delay_alu instid0(VALU_DEP_2)
	v_add_co_ci_u32_e64 v54, null, s5, v50, vcc_lo
	v_add_co_u32 v15, vcc_lo, 0x100, v15
	s_wait_alu 0xfffd
	v_add_co_ci_u32_e64 v16, null, 0, v16, vcc_lo
	s_clause 0x1
	global_load_b128 v[49:52], v[53:54], off
	global_load_b128 v[53:56], v[53:54], off offset:16
	v_add_co_u32 v17, vcc_lo, v17, 4
	s_wait_alu 0xfffd
	v_add_co_ci_u32_e64 v18, null, 0, v18, vcc_lo
	v_add_co_u32 v23, vcc_lo, v23, 1
	s_wait_alu 0xfffd
	v_add_co_ci_u32_e64 v24, null, 0, v24, vcc_lo
	v_add_co_u32 v21, vcc_lo, v21, 16
	s_wait_alu 0xfffd
	v_add_co_ci_u32_e64 v22, null, 0, v22, vcc_lo
	s_delay_alu instid0(VALU_DEP_3)
	v_cmp_eq_u64_e32 vcc_lo, 0, v[23:24]
	s_wait_alu 0xfffe
	s_or_b32 s7, vcc_lo, s7
	s_wait_loadcnt 0x1
	v_fmac_f32_e32 v7, v33, v49
	v_fmac_f32_e32 v32, v37, v49
	s_delay_alu instid0(VALU_DEP_2) | instskip(NEXT) | instid1(VALU_DEP_2)
	v_dual_fmac_f32 v28, 0, v49 :: v_dual_fmac_f32 v7, 0x80000000, v50
	v_dual_fmac_f32 v27, v45, v49 :: v_dual_fmac_f32 v32, 0x80000000, v50
	s_delay_alu instid0(VALU_DEP_1) | instskip(NEXT) | instid1(VALU_DEP_1)
	v_dual_fmac_f32 v26, 0, v49 :: v_dual_fmac_f32 v27, 0x80000000, v50
	v_dual_fmac_f32 v31, 0, v49 :: v_dual_fmac_f32 v26, v45, v50
	v_fmac_f32_e32 v30, 0, v49
	s_delay_alu instid0(VALU_DEP_3) | instskip(SKIP_1) | instid1(VALU_DEP_4)
	v_dual_fmac_f32 v28, v41, v50 :: v_dual_fmac_f32 v27, v46, v51
	v_fmac_f32_e32 v29, v41, v49
	v_dual_fmac_f32 v31, v33, v50 :: v_dual_fmac_f32 v26, 0, v51
	s_delay_alu instid0(VALU_DEP_3) | instskip(NEXT) | instid1(VALU_DEP_3)
	v_fmac_f32_e32 v28, 0, v51
	v_dual_fmac_f32 v32, v38, v51 :: v_dual_fmac_f32 v29, 0x80000000, v50
	v_dual_fmac_f32 v30, v37, v50 :: v_dual_fmac_f32 v7, v34, v51
	s_delay_alu instid0(VALU_DEP_4) | instskip(NEXT) | instid1(VALU_DEP_3)
	v_dual_fmac_f32 v31, 0, v51 :: v_dual_fmac_f32 v26, v46, v52
	v_fmac_f32_e32 v29, v42, v51
	s_delay_alu instid0(VALU_DEP_3)
	v_dual_fmac_f32 v30, 0, v51 :: v_dual_fmac_f32 v27, 0x80000000, v52
	v_fmac_f32_e32 v28, v42, v52
	v_fmac_f32_e32 v32, 0x80000000, v52
	s_wait_loadcnt 0x0
	v_dual_fmac_f32 v29, 0x80000000, v52 :: v_dual_fmac_f32 v26, 0, v53
	v_fmac_f32_e32 v30, v38, v52
	s_delay_alu instid0(VALU_DEP_3) | instskip(SKIP_3) | instid1(VALU_DEP_3)
	v_dual_fmac_f32 v31, v34, v52 :: v_dual_fmac_f32 v32, v39, v53
	v_fmac_f32_e32 v27, v47, v53
	v_dual_fmac_f32 v7, 0x80000000, v52 :: v_dual_fmac_f32 v28, 0, v53
	v_fmac_f32_e32 v29, v43, v53
	v_dual_fmac_f32 v30, 0, v53 :: v_dual_fmac_f32 v27, 0x80000000, v54
	s_delay_alu instid0(VALU_DEP_3) | instskip(SKIP_1) | instid1(VALU_DEP_4)
	v_dual_fmac_f32 v7, v35, v53 :: v_dual_fmac_f32 v32, 0x80000000, v54
	v_dual_fmac_f32 v31, 0, v53 :: v_dual_fmac_f32 v26, v47, v54
	v_fmac_f32_e32 v29, 0x80000000, v54
	s_delay_alu instid0(VALU_DEP_4) | instskip(NEXT) | instid1(VALU_DEP_4)
	v_dual_fmac_f32 v28, v43, v54 :: v_dual_fmac_f32 v27, v48, v55
	v_fmac_f32_e32 v7, 0x80000000, v54
	s_delay_alu instid0(VALU_DEP_4) | instskip(SKIP_3) | instid1(VALU_DEP_4)
	v_dual_fmac_f32 v31, v35, v54 :: v_dual_fmac_f32 v32, v40, v55
	v_fmac_f32_e32 v26, 0, v55
	v_dual_fmac_f32 v30, v39, v54 :: v_dual_fmac_f32 v29, v44, v55
	v_fmac_f32_e32 v28, 0, v55
	v_dual_fmac_f32 v7, v36, v55 :: v_dual_fmac_f32 v32, 0x80000000, v56
	s_delay_alu instid0(VALU_DEP_3) | instskip(SKIP_3) | instid1(VALU_DEP_4)
	v_dual_fmac_f32 v30, 0, v55 :: v_dual_fmac_f32 v27, 0x80000000, v56
	v_dual_fmac_f32 v31, 0, v55 :: v_dual_fmac_f32 v26, v48, v56
	v_fmac_f32_e32 v29, 0x80000000, v56
	v_fmac_f32_e32 v28, v44, v56
	;; [unrolled: 1-line block ×5, first 2 shown]
	s_wait_alu 0xfffe
	s_and_not1_b32 exec_lo, exec_lo, s7
	s_cbranch_execnz .LBB125_15
; %bb.16:
	s_or_b32 exec_lo, exec_lo, s7
.LBB125_17:
	s_wait_alu 0xfffe
	s_or_b32 exec_lo, exec_lo, s6
	s_delay_alu instid0(SALU_CYCLE_1)
	s_mov_b32 s6, exec_lo
	v_cmpx_lt_u64_e32 11, v[19:20]
	s_cbranch_execz .LBB125_21
; %bb.18:
	v_lshlrev_b64_e32 v[19:20], 2, v[17:18]
	s_mov_b32 s7, 0
	s_delay_alu instid0(VALU_DEP_1) | instskip(SKIP_1) | instid1(VALU_DEP_2)
	v_add_co_u32 v6, vcc_lo, s8, v19
	s_wait_alu 0xfffd
	v_add_co_ci_u32_e64 v20, null, s9, v20, vcc_lo
	s_delay_alu instid0(VALU_DEP_2) | instskip(SKIP_1) | instid1(VALU_DEP_2)
	v_add_co_u32 v19, vcc_lo, v6, 32
	s_wait_alu 0xfffd
	v_add_co_ci_u32_e64 v20, null, 0, v20, vcc_lo
.LBB125_19:                             ; =>This Inner Loop Header: Depth=1
	s_clause 0x3
	global_load_b32 v6, v[19:20], off offset:-32
	global_load_b32 v93, v[19:20], off offset:-16
	global_load_b32 v94, v[19:20], off
	global_load_b32 v95, v[19:20], off offset:16
	s_clause 0xf
	global_load_b128 v[21:24], v[15:16], off offset:48
	global_load_b128 v[33:36], v[15:16], off offset:32
	;; [unrolled: 1-line block ×3, first 2 shown]
	global_load_b128 v[41:44], v[15:16], off
	global_load_b128 v[45:48], v[15:16], off offset:304
	global_load_b128 v[49:52], v[15:16], off offset:288
	;; [unrolled: 1-line block ×12, first 2 shown]
	s_wait_loadcnt 0x13
	v_subrev_nc_u32_e32 v6, s12, v6
	s_wait_loadcnt 0x12
	v_subrev_nc_u32_e32 v96, s12, v93
	;; [unrolled: 2-line block ×4, first 2 shown]
	v_lshlrev_b32_e32 v93, 2, v6
	v_lshlrev_b32_e32 v95, 2, v96
	;; [unrolled: 1-line block ×3, first 2 shown]
	s_delay_alu instid0(VALU_DEP_4) | instskip(NEXT) | instid1(VALU_DEP_4)
	v_lshlrev_b32_e32 v99, 2, v98
	v_ashrrev_i32_e32 v94, 31, v93
	s_delay_alu instid0(VALU_DEP_4) | instskip(NEXT) | instid1(VALU_DEP_4)
	v_ashrrev_i32_e32 v96, 31, v95
	v_ashrrev_i32_e32 v98, 31, v97
	s_delay_alu instid0(VALU_DEP_4) | instskip(NEXT) | instid1(VALU_DEP_4)
	v_ashrrev_i32_e32 v100, 31, v99
	v_lshlrev_b64_e32 v[93:94], 3, v[93:94]
	s_delay_alu instid0(VALU_DEP_4) | instskip(NEXT) | instid1(VALU_DEP_4)
	v_lshlrev_b64_e32 v[95:96], 3, v[95:96]
	v_lshlrev_b64_e32 v[97:98], 3, v[97:98]
	s_delay_alu instid0(VALU_DEP_4) | instskip(SKIP_1) | instid1(VALU_DEP_4)
	v_lshlrev_b64_e32 v[99:100], 3, v[99:100]
	s_wait_kmcnt 0x0
	v_add_co_u32 v101, vcc_lo, s4, v93
	s_wait_alu 0xfffd
	v_add_co_ci_u32_e64 v102, null, s5, v94, vcc_lo
	v_add_co_u32 v105, vcc_lo, s4, v95
	s_wait_alu 0xfffd
	v_add_co_ci_u32_e64 v106, null, s5, v96, vcc_lo
	;; [unrolled: 3-line block ×4, first 2 shown]
	s_clause 0x7
	global_load_b128 v[93:96], v[101:102], off
	global_load_b128 v[97:100], v[101:102], off offset:16
	global_load_b128 v[101:104], v[105:106], off
	global_load_b128 v[105:108], v[105:106], off offset:16
	;; [unrolled: 2-line block ×4, first 2 shown]
	v_add_co_u32 v17, vcc_lo, v17, 16
	s_wait_alu 0xfffd
	v_add_co_ci_u32_e64 v18, null, 0, v18, vcc_lo
	v_add_co_u32 v15, vcc_lo, 0x400, v15
	s_wait_alu 0xfffd
	v_add_co_ci_u32_e64 v16, null, 0, v16, vcc_lo
	;; [unrolled: 3-line block ×3, first 2 shown]
	v_cmp_ge_i64_e32 vcc_lo, v[17:18], v[2:3]
	s_wait_alu 0xfffe
	s_or_b32 s7, vcc_lo, s7
	s_wait_loadcnt 0x7
	v_fmac_f32_e32 v26, 0, v93
	v_fmac_f32_e32 v32, v33, v93
	;; [unrolled: 1-line block ×4, first 2 shown]
	s_delay_alu instid0(VALU_DEP_4) | instskip(NEXT) | instid1(VALU_DEP_4)
	v_dual_fmac_f32 v31, 0, v93 :: v_dual_fmac_f32 v26, v41, v94
	v_fmac_f32_e32 v32, 0x80000000, v94
	s_delay_alu instid0(VALU_DEP_4)
	v_dual_fmac_f32 v30, 0, v93 :: v_dual_fmac_f32 v27, 0x80000000, v94
	v_fmac_f32_e32 v7, v21, v93
	v_fmac_f32_e32 v28, v37, v94
	;; [unrolled: 1-line block ×5, first 2 shown]
	s_delay_alu instid0(VALU_DEP_4) | instskip(NEXT) | instid1(VALU_DEP_4)
	v_dual_fmac_f32 v29, v37, v93 :: v_dual_fmac_f32 v28, 0, v95
	v_dual_fmac_f32 v7, 0x80000000, v94 :: v_dual_fmac_f32 v26, v42, v96
	v_fmac_f32_e32 v30, v33, v94
	s_delay_alu instid0(VALU_DEP_3) | instskip(NEXT) | instid1(VALU_DEP_4)
	v_fmac_f32_e32 v29, 0x80000000, v94
	v_dual_fmac_f32 v31, v21, v94 :: v_dual_fmac_f32 v28, v38, v96
	s_delay_alu instid0(VALU_DEP_4)
	v_dual_fmac_f32 v7, v22, v95 :: v_dual_fmac_f32 v32, 0x80000000, v96
	s_wait_loadcnt 0x6
	v_dual_fmac_f32 v27, 0x80000000, v96 :: v_dual_fmac_f32 v26, 0, v97
	v_fmac_f32_e32 v30, 0, v95
	v_fmac_f32_e32 v29, v38, v95
	;; [unrolled: 1-line block ×3, first 2 shown]
	v_dual_fmac_f32 v7, 0x80000000, v96 :: v_dual_fmac_f32 v32, v35, v97
	v_fmac_f32_e32 v27, v43, v97
	s_delay_alu instid0(VALU_DEP_4) | instskip(SKIP_1) | instid1(VALU_DEP_4)
	v_dual_fmac_f32 v29, 0x80000000, v96 :: v_dual_fmac_f32 v28, 0, v97
	v_fmac_f32_e32 v30, v34, v96
	v_dual_fmac_f32 v31, v22, v96 :: v_dual_fmac_f32 v32, 0x80000000, v98
	s_delay_alu instid0(VALU_DEP_4) | instskip(SKIP_1) | instid1(VALU_DEP_4)
	v_fmac_f32_e32 v27, 0x80000000, v98
	v_fmac_f32_e32 v26, v43, v98
	v_fmac_f32_e32 v30, 0, v97
	s_delay_alu instid0(VALU_DEP_4) | instskip(NEXT) | instid1(VALU_DEP_4)
	v_dual_fmac_f32 v31, 0, v97 :: v_dual_fmac_f32 v32, v36, v99
	v_dual_fmac_f32 v28, v39, v98 :: v_dual_fmac_f32 v27, v44, v99
	v_fmac_f32_e32 v7, v23, v97
	v_dual_fmac_f32 v29, v39, v97 :: v_dual_fmac_f32 v26, 0, v99
	s_delay_alu instid0(VALU_DEP_3) | instskip(SKIP_1) | instid1(VALU_DEP_4)
	v_fmac_f32_e32 v28, 0, v99
	v_fmac_f32_e32 v30, v35, v98
	v_fmac_f32_e32 v7, 0x80000000, v98
	s_delay_alu instid0(VALU_DEP_4) | instskip(NEXT) | instid1(VALU_DEP_4)
	v_fmac_f32_e32 v29, 0x80000000, v98
	v_dual_fmac_f32 v31, v23, v98 :: v_dual_fmac_f32 v28, v40, v100
	v_fmac_f32_e32 v26, v44, v100
	s_delay_alu instid0(VALU_DEP_4)
	v_dual_fmac_f32 v7, v24, v99 :: v_dual_fmac_f32 v32, 0x80000000, v100
	v_dual_fmac_f32 v27, 0x80000000, v100 :: v_dual_fmac_f32 v30, 0, v99
	v_fmac_f32_e32 v29, v40, v99
	v_fmac_f32_e32 v31, 0, v99
	s_wait_loadcnt 0x5
	v_dual_fmac_f32 v7, 0x80000000, v100 :: v_dual_fmac_f32 v32, v49, v101
	v_fmac_f32_e32 v26, 0, v101
	v_fmac_f32_e32 v27, v57, v101
	v_dual_fmac_f32 v29, 0x80000000, v100 :: v_dual_fmac_f32 v28, 0, v101
	v_fmac_f32_e32 v30, v36, v100
	v_dual_fmac_f32 v31, v24, v100 :: v_dual_fmac_f32 v32, 0x80000000, v102
	s_delay_alu instid0(VALU_DEP_4) | instskip(SKIP_1) | instid1(VALU_DEP_4)
	v_fmac_f32_e32 v27, 0x80000000, v102
	v_fmac_f32_e32 v26, v57, v102
	v_fmac_f32_e32 v30, 0, v101
	s_delay_alu instid0(VALU_DEP_4) | instskip(NEXT) | instid1(VALU_DEP_4)
	v_dual_fmac_f32 v31, 0, v101 :: v_dual_fmac_f32 v32, v50, v103
	v_dual_fmac_f32 v28, v53, v102 :: v_dual_fmac_f32 v27, v58, v103
	v_fmac_f32_e32 v7, v45, v101
	v_dual_fmac_f32 v29, v53, v101 :: v_dual_fmac_f32 v26, 0, v103
	s_delay_alu instid0(VALU_DEP_3) | instskip(SKIP_1) | instid1(VALU_DEP_4)
	v_fmac_f32_e32 v28, 0, v103
	v_fmac_f32_e32 v30, v49, v102
	v_fmac_f32_e32 v7, 0x80000000, v102
	s_delay_alu instid0(VALU_DEP_4) | instskip(NEXT) | instid1(VALU_DEP_4)
	v_fmac_f32_e32 v29, 0x80000000, v102
	v_dual_fmac_f32 v31, v45, v102 :: v_dual_fmac_f32 v28, v54, v104
	v_fmac_f32_e32 v26, v58, v104
	s_delay_alu instid0(VALU_DEP_4)
	v_dual_fmac_f32 v7, v46, v103 :: v_dual_fmac_f32 v32, 0x80000000, v104
	v_dual_fmac_f32 v27, 0x80000000, v104 :: v_dual_fmac_f32 v30, 0, v103
	v_fmac_f32_e32 v29, v54, v103
	v_fmac_f32_e32 v31, 0, v103
	s_wait_loadcnt 0x4
	v_dual_fmac_f32 v7, 0x80000000, v104 :: v_dual_fmac_f32 v32, v51, v105
	v_fmac_f32_e32 v26, 0, v105
	v_fmac_f32_e32 v27, v59, v105
	;; [unrolled: 29-line block ×6, first 2 shown]
	v_dual_fmac_f32 v29, 0x80000000, v120 :: v_dual_fmac_f32 v28, 0, v121
	v_fmac_f32_e32 v30, v82, v120
	v_dual_fmac_f32 v31, v78, v120 :: v_dual_fmac_f32 v32, 0x80000000, v122
	s_delay_alu instid0(VALU_DEP_4)
	v_fmac_f32_e32 v27, 0x80000000, v122
	v_fmac_f32_e32 v26, v91, v122
	;; [unrolled: 1-line block ×4, first 2 shown]
	v_dual_fmac_f32 v31, 0, v121 :: v_dual_fmac_f32 v32, v84, v123
	v_dual_fmac_f32 v28, v87, v122 :: v_dual_fmac_f32 v27, v92, v123
	v_fmac_f32_e32 v7, v79, v121
	s_delay_alu instid0(VALU_DEP_4) | instskip(SKIP_1) | instid1(VALU_DEP_3)
	v_fmac_f32_e32 v30, v83, v122
	v_dual_fmac_f32 v26, 0, v123 :: v_dual_fmac_f32 v29, 0x80000000, v122
	v_dual_fmac_f32 v28, 0, v123 :: v_dual_fmac_f32 v7, 0x80000000, v122
	s_delay_alu instid0(VALU_DEP_3) | instskip(NEXT) | instid1(VALU_DEP_3)
	v_dual_fmac_f32 v31, v79, v122 :: v_dual_fmac_f32 v30, 0, v123
	v_fmac_f32_e32 v29, v88, v123
	s_delay_alu instid0(VALU_DEP_4) | instskip(NEXT) | instid1(VALU_DEP_4)
	v_fmac_f32_e32 v26, v92, v124
	v_dual_fmac_f32 v7, v80, v123 :: v_dual_fmac_f32 v32, 0x80000000, v124
	s_delay_alu instid0(VALU_DEP_4)
	v_dual_fmac_f32 v28, v88, v124 :: v_dual_fmac_f32 v31, 0, v123
	v_fmac_f32_e32 v30, v84, v124
	v_fmac_f32_e32 v27, 0x80000000, v124
	;; [unrolled: 1-line block ×5, first 2 shown]
	s_wait_alu 0xfffe
	s_and_not1_b32 exec_lo, exec_lo, s7
	s_cbranch_execnz .LBB125_19
; %bb.20:
	s_or_b32 exec_lo, exec_lo, s7
.LBB125_21:
	s_wait_alu 0xfffe
	s_or_b32 exec_lo, exec_lo, s6
.LBB125_22:
	s_wait_alu 0xfffe
	s_or_b32 exec_lo, exec_lo, s3
	s_cbranch_execz .LBB125_24
	s_branch .LBB125_35
.LBB125_23:
                                        ; implicit-def: $vgpr26
                                        ; implicit-def: $vgpr27
                                        ; implicit-def: $vgpr28
                                        ; implicit-def: $vgpr29
                                        ; implicit-def: $vgpr30
                                        ; implicit-def: $vgpr32
                                        ; implicit-def: $vgpr31
                                        ; implicit-def: $vgpr7
.LBB125_24:
	v_dual_mov_b32 v26, 0 :: v_dual_mov_b32 v27, 0
	v_dual_mov_b32 v28, 0 :: v_dual_mov_b32 v29, 0
	;; [unrolled: 1-line block ×4, first 2 shown]
	s_and_saveexec_b32 s3, s2
	s_cbranch_execz .LBB125_34
; %bb.25:
	v_or_b32_e32 v6, 4, v25
	s_delay_alu instid0(VALU_DEP_1) | instskip(SKIP_3) | instid1(VALU_DEP_3)
	v_sub_co_u32 v6, s2, v6, s12
	s_wait_alu 0xf1ff
	v_sub_co_ci_u32_e64 v7, null, 0, 0, s2
	v_sub_co_u32 v15, s2, s12, v25
	v_add_co_u32 v6, vcc_lo, v6, v13
	s_wait_alu 0xfffd
	s_delay_alu instid0(VALU_DEP_3)
	v_add_co_ci_u32_e64 v7, null, v7, v14, vcc_lo
	v_not_b32_e32 v13, v13
	v_not_b32_e32 v14, v14
	s_wait_alu 0xf1ff
	v_sub_co_ci_u32_e64 v16, null, 0, 0, s2
	v_cmp_gt_i64_e32 vcc_lo, v[6:7], v[2:3]
	v_add_co_u32 v13, s2, v15, v13
	s_wait_alu 0xf1ff
	s_delay_alu instid0(VALU_DEP_3) | instskip(SKIP_3) | instid1(VALU_DEP_1)
	v_add_co_ci_u32_e64 v14, null, v16, v14, s2
	s_mov_b32 s2, exec_lo
	s_wait_alu 0xfffd
	v_dual_cndmask_b32 v15, v3, v7 :: v_dual_cndmask_b32 v6, v2, v6
	v_add_co_u32 v13, vcc_lo, v13, v6
	v_mov_b32_e32 v7, 0
	s_wait_alu 0xfffd
	s_delay_alu instid0(VALU_DEP_3) | instskip(NEXT) | instid1(VALU_DEP_2)
	v_add_co_ci_u32_e64 v14, null, v14, v15, vcc_lo
	v_dual_mov_b32 v31, v7 :: v_dual_and_b32 v6, 12, v13
	v_mov_b32_e32 v32, v7
	v_dual_mov_b32 v30, v7 :: v_dual_mov_b32 v29, v7
	v_dual_mov_b32 v28, v7 :: v_dual_mov_b32 v27, v7
	v_mov_b32_e32 v26, v7
	v_cmpx_ne_u64_e32 12, v[6:7]
	s_cbranch_execz .LBB125_29
; %bb.26:
	v_lshrrev_b32_e32 v6, 2, v13
	v_dual_mov_b32 v26, 0 :: v_dual_mov_b32 v27, 0
	v_dual_mov_b32 v28, 0 :: v_dual_mov_b32 v29, 0
	s_delay_alu instid0(VALU_DEP_3) | instskip(SKIP_2) | instid1(VALU_DEP_3)
	v_dual_mov_b32 v30, 0 :: v_dual_add_nc_u32 v15, 1, v6
	v_lshlrev_b64_e32 v[6:7], 2, v[0:1]
	v_dual_mov_b32 v31, 0 :: v_dual_mov_b32 v32, 0
	v_and_b32_e32 v17, 3, v15
	s_delay_alu instid0(VALU_DEP_3) | instskip(SKIP_1) | instid1(VALU_DEP_4)
	v_add_co_u32 v15, vcc_lo, s8, v6
	s_wait_alu 0xfffd
	v_add_co_ci_u32_e64 v16, null, s9, v7, vcc_lo
	s_delay_alu instid0(VALU_DEP_3)
	v_sub_co_u32 v17, s6, 0, v17
	s_wait_alu 0xf1ff
	v_sub_co_ci_u32_e64 v18, null, 0, 0, s6
	v_mov_b32_e32 v7, 0
	s_mov_b32 s6, 0
.LBB125_27:                             ; =>This Inner Loop Header: Depth=1
	global_load_b32 v6, v[15:16], off
	s_clause 0x1
	global_load_b128 v[19:22], v[4:5], off offset:16
	global_load_b128 v[33:36], v[4:5], off
	s_wait_loadcnt 0x2
	v_subrev_nc_u32_e32 v6, s12, v6
	s_delay_alu instid0(VALU_DEP_1) | instskip(NEXT) | instid1(VALU_DEP_1)
	v_lshlrev_b32_e32 v23, 2, v6
	v_ashrrev_i32_e32 v24, 31, v23
	s_delay_alu instid0(VALU_DEP_1) | instskip(SKIP_1) | instid1(VALU_DEP_1)
	v_lshlrev_b64_e32 v[23:24], 3, v[23:24]
	s_wait_kmcnt 0x0
	v_add_co_u32 v23, vcc_lo, s4, v23
	s_wait_alu 0xfffd
	s_delay_alu instid0(VALU_DEP_2)
	v_add_co_ci_u32_e64 v24, null, s5, v24, vcc_lo
	s_clause 0x1
	global_load_b128 v[37:40], v[23:24], off
	global_load_b128 v[41:44], v[23:24], off offset:16
	s_clause 0x1
	global_load_b128 v[45:48], v[4:5], off offset:32
	global_load_b128 v[49:52], v[4:5], off offset:48
	v_add_co_u32 v4, vcc_lo, 0x100, v4
	s_wait_alu 0xfffd
	v_add_co_ci_u32_e64 v5, null, 0, v5, vcc_lo
	v_add_co_u32 v0, vcc_lo, v0, 4
	s_wait_alu 0xfffd
	v_add_co_ci_u32_e64 v1, null, 0, v1, vcc_lo
	;; [unrolled: 3-line block ×4, first 2 shown]
	s_delay_alu instid0(VALU_DEP_3)
	v_cmp_eq_u64_e32 vcc_lo, 0, v[17:18]
	s_wait_alu 0xfffe
	s_or_b32 s6, vcc_lo, s6
	s_wait_loadcnt 0x3
	v_fmac_f32_e32 v26, 0, v37
	v_fmac_f32_e32 v29, v34, v37
	;; [unrolled: 1-line block ×4, first 2 shown]
	s_delay_alu instid0(VALU_DEP_4) | instskip(NEXT) | instid1(VALU_DEP_4)
	v_fmac_f32_e32 v26, v33, v38
	v_dual_fmac_f32 v32, v35, v37 :: v_dual_fmac_f32 v29, 0x80000000, v38
	s_delay_alu instid0(VALU_DEP_4) | instskip(NEXT) | instid1(VALU_DEP_4)
	v_dual_fmac_f32 v7, v36, v37 :: v_dual_fmac_f32 v28, v34, v38
	v_fmac_f32_e32 v27, 0x80000000, v38
	s_delay_alu instid0(VALU_DEP_3) | instskip(NEXT) | instid1(VALU_DEP_3)
	v_fmac_f32_e32 v32, 0x80000000, v38
	v_dual_fmac_f32 v30, 0, v37 :: v_dual_fmac_f32 v7, 0x80000000, v38
	v_dual_fmac_f32 v31, 0, v37 :: v_dual_fmac_f32 v26, 0, v39
	s_delay_alu instid0(VALU_DEP_2) | instskip(NEXT) | instid1(VALU_DEP_2)
	v_dual_fmac_f32 v29, v20, v39 :: v_dual_fmac_f32 v30, v35, v38
	v_dual_fmac_f32 v28, 0, v39 :: v_dual_fmac_f32 v31, v36, v38
	s_delay_alu instid0(VALU_DEP_3) | instskip(NEXT) | instid1(VALU_DEP_3)
	v_fmac_f32_e32 v26, v19, v40
	v_dual_fmac_f32 v32, v21, v39 :: v_dual_fmac_f32 v29, 0x80000000, v40
	v_fmac_f32_e32 v7, v22, v39
	s_delay_alu instid0(VALU_DEP_4) | instskip(NEXT) | instid1(VALU_DEP_3)
	v_dual_fmac_f32 v27, v19, v39 :: v_dual_fmac_f32 v28, v20, v40
	v_fmac_f32_e32 v32, 0x80000000, v40
	s_delay_alu instid0(VALU_DEP_3) | instskip(SKIP_3) | instid1(VALU_DEP_2)
	v_dual_fmac_f32 v30, 0, v39 :: v_dual_fmac_f32 v7, 0x80000000, v40
	s_wait_loadcnt 0x2
	v_dual_fmac_f32 v31, 0, v39 :: v_dual_fmac_f32 v26, 0, v41
	s_wait_loadcnt 0x1
	v_dual_fmac_f32 v29, v46, v41 :: v_dual_fmac_f32 v30, v21, v40
	v_fmac_f32_e32 v27, 0x80000000, v40
	s_delay_alu instid0(VALU_DEP_3) | instskip(NEXT) | instid1(VALU_DEP_3)
	v_dual_fmac_f32 v31, v22, v40 :: v_dual_fmac_f32 v26, v45, v42
	v_dual_fmac_f32 v32, v47, v41 :: v_dual_fmac_f32 v29, 0x80000000, v42
	v_fmac_f32_e32 v7, v48, v41
	v_fmac_f32_e32 v28, 0, v41
	s_delay_alu instid0(VALU_DEP_3) | instskip(NEXT) | instid1(VALU_DEP_3)
	v_dual_fmac_f32 v27, v45, v41 :: v_dual_fmac_f32 v32, 0x80000000, v42
	v_dual_fmac_f32 v30, 0, v41 :: v_dual_fmac_f32 v7, 0x80000000, v42
	;; [unrolled: 1-line block ×3, first 2 shown]
	s_wait_loadcnt 0x0
	s_delay_alu instid0(VALU_DEP_2) | instskip(SKIP_1) | instid1(VALU_DEP_3)
	v_dual_fmac_f32 v29, v50, v43 :: v_dual_fmac_f32 v30, v47, v42
	v_fmac_f32_e32 v28, v46, v42
	v_fmac_f32_e32 v31, v48, v42
	v_dual_fmac_f32 v27, 0x80000000, v42 :: v_dual_fmac_f32 v26, v49, v44
	s_delay_alu instid0(VALU_DEP_4) | instskip(SKIP_2) | instid1(VALU_DEP_3)
	v_dual_fmac_f32 v32, v51, v43 :: v_dual_fmac_f32 v29, 0x80000000, v44
	v_fmac_f32_e32 v7, v52, v43
	v_fmac_f32_e32 v28, 0, v43
	v_dual_fmac_f32 v27, v49, v43 :: v_dual_fmac_f32 v32, 0x80000000, v44
	s_delay_alu instid0(VALU_DEP_3) | instskip(NEXT) | instid1(VALU_DEP_3)
	v_dual_fmac_f32 v30, 0, v43 :: v_dual_fmac_f32 v7, 0x80000000, v44
	v_dual_fmac_f32 v31, 0, v43 :: v_dual_fmac_f32 v28, v50, v44
	s_delay_alu instid0(VALU_DEP_3) | instskip(NEXT) | instid1(VALU_DEP_3)
	v_fmac_f32_e32 v27, 0x80000000, v44
	v_fmac_f32_e32 v30, v51, v44
	s_delay_alu instid0(VALU_DEP_3)
	v_fmac_f32_e32 v31, v52, v44
	s_wait_alu 0xfffe
	s_and_not1_b32 exec_lo, exec_lo, s6
	s_cbranch_execnz .LBB125_27
; %bb.28:
	s_or_b32 exec_lo, exec_lo, s6
.LBB125_29:
	s_wait_alu 0xfffe
	s_or_b32 exec_lo, exec_lo, s2
	s_delay_alu instid0(SALU_CYCLE_1)
	s_mov_b32 s2, exec_lo
	v_cmpx_lt_u64_e32 11, v[13:14]
	s_cbranch_execz .LBB125_33
; %bb.30:
	v_lshlrev_b64_e32 v[13:14], 2, v[0:1]
	s_mov_b32 s6, 0
	s_delay_alu instid0(VALU_DEP_1) | instskip(SKIP_1) | instid1(VALU_DEP_2)
	v_add_co_u32 v6, vcc_lo, s8, v13
	s_wait_alu 0xfffd
	v_add_co_ci_u32_e64 v14, null, s9, v14, vcc_lo
	s_delay_alu instid0(VALU_DEP_2) | instskip(SKIP_1) | instid1(VALU_DEP_2)
	v_add_co_u32 v13, vcc_lo, v6, 32
	s_wait_alu 0xfffd
	v_add_co_ci_u32_e64 v14, null, 0, v14, vcc_lo
.LBB125_31:                             ; =>This Inner Loop Header: Depth=1
	s_clause 0x3
	global_load_b32 v6, v[13:14], off offset:-32
	global_load_b32 v23, v[13:14], off offset:-16
	global_load_b32 v24, v[13:14], off
	global_load_b32 v81, v[13:14], off offset:16
	s_clause 0xd
	global_load_b128 v[15:18], v[4:5], off offset:48
	global_load_b128 v[19:22], v[4:5], off offset:32
	;; [unrolled: 1-line block ×3, first 2 shown]
	global_load_b128 v[37:40], v[4:5], off
	global_load_b128 v[41:44], v[4:5], off offset:304
	global_load_b128 v[45:48], v[4:5], off offset:288
	;; [unrolled: 1-line block ×10, first 2 shown]
	s_wait_loadcnt 0x11
	v_subrev_nc_u32_e32 v6, s12, v6
	s_wait_loadcnt 0x10
	v_subrev_nc_u32_e32 v82, s12, v23
	;; [unrolled: 2-line block ×4, first 2 shown]
	v_lshlrev_b32_e32 v23, 2, v6
	v_lshlrev_b32_e32 v81, 2, v82
	;; [unrolled: 1-line block ×3, first 2 shown]
	s_delay_alu instid0(VALU_DEP_4) | instskip(NEXT) | instid1(VALU_DEP_4)
	v_lshlrev_b32_e32 v85, 2, v84
	v_ashrrev_i32_e32 v24, 31, v23
	s_delay_alu instid0(VALU_DEP_4) | instskip(NEXT) | instid1(VALU_DEP_4)
	v_ashrrev_i32_e32 v82, 31, v81
	v_ashrrev_i32_e32 v84, 31, v83
	s_delay_alu instid0(VALU_DEP_4) | instskip(NEXT) | instid1(VALU_DEP_4)
	v_ashrrev_i32_e32 v86, 31, v85
	v_lshlrev_b64_e32 v[23:24], 3, v[23:24]
	s_delay_alu instid0(VALU_DEP_4) | instskip(NEXT) | instid1(VALU_DEP_4)
	v_lshlrev_b64_e32 v[81:82], 3, v[81:82]
	v_lshlrev_b64_e32 v[83:84], 3, v[83:84]
	s_delay_alu instid0(VALU_DEP_4) | instskip(SKIP_1) | instid1(VALU_DEP_4)
	v_lshlrev_b64_e32 v[85:86], 3, v[85:86]
	s_wait_kmcnt 0x0
	v_add_co_u32 v23, vcc_lo, s4, v23
	s_wait_alu 0xfffd
	v_add_co_ci_u32_e64 v24, null, s5, v24, vcc_lo
	v_add_co_u32 v93, vcc_lo, s4, v81
	s_wait_alu 0xfffd
	v_add_co_ci_u32_e64 v94, null, s5, v82, vcc_lo
	;; [unrolled: 3-line block ×4, first 2 shown]
	s_clause 0x6
	global_load_b128 v[81:84], v[23:24], off
	global_load_b128 v[85:88], v[23:24], off offset:16
	global_load_b128 v[89:92], v[93:94], off
	global_load_b128 v[93:96], v[93:94], off offset:16
	;; [unrolled: 2-line block ×4, first 2 shown]
	global_load_b128 v[113:116], v[113:114], off offset:16
	global_load_b128 v[117:120], v[4:5], off offset:816
	v_add_co_u32 v4, vcc_lo, 0x400, v4
	s_wait_alu 0xfffd
	v_add_co_ci_u32_e64 v5, null, 0, v5, vcc_lo
	v_add_co_u32 v0, vcc_lo, v0, 16
	s_wait_alu 0xfffd
	v_add_co_ci_u32_e64 v1, null, 0, v1, vcc_lo
	;; [unrolled: 3-line block ×3, first 2 shown]
	s_delay_alu instid0(VALU_DEP_3)
	v_cmp_ge_i64_e32 vcc_lo, v[0:1], v[2:3]
	s_wait_alu 0xfffe
	s_or_b32 s6, vcc_lo, s6
	s_wait_loadcnt 0x9
	v_fmac_f32_e32 v28, 0, v81
	v_fmac_f32_e32 v27, v37, v81
	v_fmac_f32_e32 v26, 0, v81
	v_fmac_f32_e32 v29, v38, v81
	v_fmac_f32_e32 v32, v39, v81
	v_dual_fmac_f32 v7, v40, v81 :: v_dual_fmac_f32 v28, v38, v82
	v_dual_fmac_f32 v30, 0, v81 :: v_dual_fmac_f32 v27, 0x80000000, v82
	;; [unrolled: 1-line block ×3, first 2 shown]
	s_delay_alu instid0(VALU_DEP_4) | instskip(NEXT) | instid1(VALU_DEP_3)
	v_fmac_f32_e32 v32, 0x80000000, v82
	v_fmac_f32_e32 v30, v39, v82
	v_fmac_f32_e32 v29, 0x80000000, v82
	s_delay_alu instid0(VALU_DEP_4) | instskip(NEXT) | instid1(VALU_DEP_3)
	v_dual_fmac_f32 v31, v40, v82 :: v_dual_fmac_f32 v28, 0, v83
	v_dual_fmac_f32 v7, 0x80000000, v82 :: v_dual_fmac_f32 v30, 0, v83
	v_fmac_f32_e32 v27, v33, v83
	v_fmac_f32_e32 v26, 0, v83
	v_fmac_f32_e32 v32, v35, v83
	v_fmac_f32_e32 v29, v34, v83
	v_dual_fmac_f32 v31, 0, v83 :: v_dual_fmac_f32 v30, v35, v84
	s_delay_alu instid0(VALU_DEP_3)
	v_dual_fmac_f32 v7, v36, v83 :: v_dual_fmac_f32 v32, 0x80000000, v84
	v_fmac_f32_e32 v26, v33, v84
	v_fmac_f32_e32 v28, v34, v84
	;; [unrolled: 1-line block ×4, first 2 shown]
	s_wait_loadcnt 0x8
	v_dual_fmac_f32 v29, 0x80000000, v84 :: v_dual_fmac_f32 v32, v21, v85
	v_dual_fmac_f32 v7, 0x80000000, v84 :: v_dual_fmac_f32 v30, 0, v85
	v_fmac_f32_e32 v26, 0, v85
	s_delay_alu instid0(VALU_DEP_3)
	v_fmac_f32_e32 v29, v20, v85
	v_fmac_f32_e32 v28, 0, v85
	;; [unrolled: 1-line block ×3, first 2 shown]
	v_dual_fmac_f32 v31, 0, v85 :: v_dual_fmac_f32 v30, v21, v86
	v_dual_fmac_f32 v7, v22, v85 :: v_dual_fmac_f32 v32, 0x80000000, v86
	v_fmac_f32_e32 v26, v19, v86
	v_fmac_f32_e32 v28, v20, v86
	;; [unrolled: 1-line block ×4, first 2 shown]
	v_dual_fmac_f32 v29, 0x80000000, v86 :: v_dual_fmac_f32 v32, v17, v87
	v_dual_fmac_f32 v7, 0x80000000, v86 :: v_dual_fmac_f32 v30, 0, v87
	v_fmac_f32_e32 v26, 0, v87
	s_delay_alu instid0(VALU_DEP_3)
	v_fmac_f32_e32 v29, v16, v87
	v_fmac_f32_e32 v28, 0, v87
	;; [unrolled: 1-line block ×3, first 2 shown]
	v_dual_fmac_f32 v31, 0, v87 :: v_dual_fmac_f32 v30, v17, v88
	v_dual_fmac_f32 v7, v18, v87 :: v_dual_fmac_f32 v32, 0x80000000, v88
	v_fmac_f32_e32 v26, v15, v88
	v_fmac_f32_e32 v28, v16, v88
	;; [unrolled: 1-line block ×4, first 2 shown]
	s_wait_loadcnt 0x7
	v_dual_fmac_f32 v29, 0x80000000, v88 :: v_dual_fmac_f32 v32, v55, v89
	v_dual_fmac_f32 v7, 0x80000000, v88 :: v_dual_fmac_f32 v30, 0, v89
	v_fmac_f32_e32 v26, 0, v89
	s_delay_alu instid0(VALU_DEP_3)
	v_fmac_f32_e32 v29, v54, v89
	v_fmac_f32_e32 v28, 0, v89
	v_fmac_f32_e32 v27, v53, v89
	v_dual_fmac_f32 v7, v56, v89 :: v_dual_fmac_f32 v32, 0x80000000, v90
	v_dual_fmac_f32 v31, 0, v89 :: v_dual_fmac_f32 v30, v55, v90
	v_fmac_f32_e32 v26, v53, v90
	v_fmac_f32_e32 v28, v54, v90
	v_fmac_f32_e32 v27, 0x80000000, v90
	v_fmac_f32_e32 v29, 0x80000000, v90
	v_dual_fmac_f32 v7, 0x80000000, v90 :: v_dual_fmac_f32 v32, v51, v91
	v_dual_fmac_f32 v31, v56, v90 :: v_dual_fmac_f32 v30, 0, v91
	v_fmac_f32_e32 v26, 0, v91
	v_fmac_f32_e32 v28, 0, v91
	v_fmac_f32_e32 v27, v49, v91
	v_fmac_f32_e32 v29, v50, v91
	v_dual_fmac_f32 v7, v52, v91 :: v_dual_fmac_f32 v32, 0x80000000, v92
	v_dual_fmac_f32 v31, 0, v91 :: v_dual_fmac_f32 v30, v51, v92
	v_fmac_f32_e32 v26, v49, v92
	v_fmac_f32_e32 v28, v50, v92
	v_fmac_f32_e32 v27, 0x80000000, v92
	v_fmac_f32_e32 v29, 0x80000000, v92
	s_wait_loadcnt 0x6
	v_dual_fmac_f32 v7, 0x80000000, v92 :: v_dual_fmac_f32 v32, v47, v93
	v_dual_fmac_f32 v31, v52, v92 :: v_dual_fmac_f32 v30, 0, v93
	v_fmac_f32_e32 v26, 0, v93
	v_fmac_f32_e32 v28, 0, v93
	v_fmac_f32_e32 v27, v45, v93
	v_fmac_f32_e32 v29, v46, v93
	v_dual_fmac_f32 v7, v48, v93 :: v_dual_fmac_f32 v32, 0x80000000, v94
	v_dual_fmac_f32 v31, 0, v93 :: v_dual_fmac_f32 v30, v47, v94
	v_fmac_f32_e32 v26, v45, v94
	v_fmac_f32_e32 v28, v46, v94
	v_fmac_f32_e32 v27, 0x80000000, v94
	v_fmac_f32_e32 v29, 0x80000000, v94
	v_dual_fmac_f32 v7, 0x80000000, v94 :: v_dual_fmac_f32 v32, v43, v95
	v_dual_fmac_f32 v31, v48, v94 :: v_dual_fmac_f32 v30, 0, v95
	v_fmac_f32_e32 v26, 0, v95
	v_fmac_f32_e32 v28, 0, v95
	v_fmac_f32_e32 v27, v41, v95
	v_fmac_f32_e32 v29, v42, v95
	v_dual_fmac_f32 v7, v44, v95 :: v_dual_fmac_f32 v32, 0x80000000, v96
	v_dual_fmac_f32 v31, 0, v95 :: v_dual_fmac_f32 v30, v43, v96
	v_fmac_f32_e32 v26, v41, v96
	v_fmac_f32_e32 v28, v42, v96
	v_fmac_f32_e32 v27, 0x80000000, v96
	v_fmac_f32_e32 v29, 0x80000000, v96
	s_wait_loadcnt 0x5
	v_dual_fmac_f32 v7, 0x80000000, v96 :: v_dual_fmac_f32 v32, v71, v97
	v_dual_fmac_f32 v31, v44, v96 :: v_dual_fmac_f32 v30, 0, v97
	v_fmac_f32_e32 v26, 0, v97
	;; [unrolled: 25-line block ×5, first 2 shown]
	v_fmac_f32_e32 v28, 0, v113
	v_fmac_f32_e32 v27, v109, v113
	;; [unrolled: 1-line block ×3, first 2 shown]
	v_dual_fmac_f32 v7, v112, v113 :: v_dual_fmac_f32 v32, 0x80000000, v114
	v_dual_fmac_f32 v31, 0, v113 :: v_dual_fmac_f32 v30, v111, v114
	v_fmac_f32_e32 v26, v109, v114
	v_fmac_f32_e32 v28, v110, v114
	;; [unrolled: 1-line block ×4, first 2 shown]
	s_wait_loadcnt 0x0
	v_dual_fmac_f32 v7, 0x80000000, v114 :: v_dual_fmac_f32 v32, v119, v115
	v_dual_fmac_f32 v31, v112, v114 :: v_dual_fmac_f32 v30, 0, v115
	v_fmac_f32_e32 v26, 0, v115
	v_fmac_f32_e32 v28, 0, v115
	;; [unrolled: 1-line block ×4, first 2 shown]
	v_dual_fmac_f32 v7, v120, v115 :: v_dual_fmac_f32 v32, 0x80000000, v116
	v_dual_fmac_f32 v31, 0, v115 :: v_dual_fmac_f32 v30, v119, v116
	v_fmac_f32_e32 v26, v117, v116
	s_delay_alu instid0(VALU_DEP_4)
	v_fmac_f32_e32 v29, 0x80000000, v116
	v_fmac_f32_e32 v28, v118, v116
	;; [unrolled: 1-line block ×5, first 2 shown]
	s_wait_alu 0xfffe
	s_and_not1_b32 exec_lo, exec_lo, s6
	s_cbranch_execnz .LBB125_31
; %bb.32:
	s_or_b32 exec_lo, exec_lo, s6
.LBB125_33:
	s_wait_alu 0xfffe
	s_or_b32 exec_lo, exec_lo, s2
.LBB125_34:
	s_wait_alu 0xfffe
	s_or_b32 exec_lo, exec_lo, s3
.LBB125_35:
	v_mbcnt_lo_u32_b32 v0, -1, 0
	s_delay_alu instid0(VALU_DEP_1) | instskip(NEXT) | instid1(VALU_DEP_1)
	v_xor_b32_e32 v1, 2, v0
	v_cmp_gt_i32_e32 vcc_lo, 32, v1
	s_wait_alu 0xfffd
	v_cndmask_b32_e32 v1, v0, v1, vcc_lo
	s_delay_alu instid0(VALU_DEP_1)
	v_lshlrev_b32_e32 v1, 2, v1
	ds_bpermute_b32 v2, v1, v27
	ds_bpermute_b32 v3, v1, v26
	;; [unrolled: 1-line block ×8, first 2 shown]
	v_xor_b32_e32 v1, 1, v0
	s_delay_alu instid0(VALU_DEP_1) | instskip(SKIP_4) | instid1(VALU_DEP_2)
	v_cmp_gt_i32_e32 vcc_lo, 32, v1
	s_wait_alu 0xfffd
	v_cndmask_b32_e32 v0, v0, v1, vcc_lo
	v_cmp_eq_u32_e32 vcc_lo, 3, v25
	s_wait_dscnt 0x6
	v_dual_add_f32 v1, v26, v3 :: v_dual_lshlrev_b32 v20, 2, v0
	v_add_f32_e32 v0, v27, v2
	s_wait_dscnt 0x4
	v_dual_add_f32 v2, v29, v4 :: v_dual_add_f32 v3, v28, v5
	s_wait_dscnt 0x2
	v_dual_add_f32 v4, v32, v6 :: v_dual_add_f32 v5, v30, v13
	s_wait_dscnt 0x1
	v_add_f32_e32 v6, v7, v14
	s_wait_dscnt 0x0
	v_add_f32_e32 v7, v31, v15
	ds_bpermute_b32 v13, v20, v0
	ds_bpermute_b32 v14, v20, v1
	;; [unrolled: 1-line block ×8, first 2 shown]
	s_and_b32 exec_lo, exec_lo, vcc_lo
	s_cbranch_execz .LBB125_8
; %bb.36:
	s_load_b64 s[2:3], s[0:1], 0x50
	s_wait_dscnt 0x6
	v_dual_add_f32 v13, v0, v13 :: v_dual_add_f32 v0, v1, v14
	s_wait_dscnt 0x4
	v_dual_add_f32 v14, v2, v15 :: v_dual_add_f32 v1, v3, v16
	;; [unrolled: 2-line block ×4, first 2 shown]
	v_mul_f32_e64 v4, v0, -v11
	v_mul_f32_e32 v5, v10, v0
	v_mul_f32_e64 v6, v1, -v11
	v_dual_mul_f32 v7, v10, v1 :: v_dual_lshlrev_b32 v12, 2, v12
	v_mul_f32_e64 v0, v2, -v11
	v_mul_f32_e32 v1, v10, v2
	v_mul_f32_e64 v2, v3, -v11
	v_mul_f32_e32 v3, v10, v3
	v_cmp_eq_f32_e32 vcc_lo, 0, v8
	v_cmp_eq_f32_e64 s0, 0, v9
	v_dual_fmac_f32 v4, v10, v13 :: v_dual_fmac_f32 v7, v11, v14
	v_dual_fmac_f32 v5, v11, v13 :: v_dual_fmac_f32 v6, v10, v14
	v_dual_fmac_f32 v0, v10, v15 :: v_dual_fmac_f32 v3, v11, v16
	v_dual_fmac_f32 v1, v11, v15 :: v_dual_fmac_f32 v2, v10, v16
	s_and_b32 s0, vcc_lo, s0
	s_wait_alu 0xfffe
	s_and_saveexec_b32 s1, s0
	s_wait_alu 0xfffe
	s_xor_b32 s0, exec_lo, s1
	s_cbranch_execz .LBB125_38
; %bb.37:
	v_ashrrev_i32_e32 v13, 31, v12
	s_delay_alu instid0(VALU_DEP_1) | instskip(SKIP_1) | instid1(VALU_DEP_1)
	v_lshlrev_b64_e32 v[8:9], 3, v[12:13]
                                        ; implicit-def: $vgpr12
	s_wait_kmcnt 0x0
	v_add_co_u32 v8, vcc_lo, s2, v8
	s_wait_alu 0xfffd
	s_delay_alu instid0(VALU_DEP_2)
	v_add_co_ci_u32_e64 v9, null, s3, v9, vcc_lo
	s_clause 0x1
	global_store_b128 v[8:9], v[4:7], off
	global_store_b128 v[8:9], v[0:3], off offset:16
                                        ; implicit-def: $vgpr8_vgpr9
                                        ; implicit-def: $vgpr4
                                        ; implicit-def: $vgpr0
.LBB125_38:
	s_wait_alu 0xfffe
	s_and_not1_saveexec_b32 s0, s0
	s_cbranch_execz .LBB125_8
; %bb.39:
	v_ashrrev_i32_e32 v13, 31, v12
	s_delay_alu instid0(VALU_DEP_1) | instskip(SKIP_1) | instid1(VALU_DEP_1)
	v_lshlrev_b64_e32 v[10:11], 3, v[12:13]
	s_wait_kmcnt 0x0
	v_add_co_u32 v18, vcc_lo, s2, v10
	s_wait_alu 0xfffd
	s_delay_alu instid0(VALU_DEP_2)
	v_add_co_ci_u32_e64 v19, null, s3, v11, vcc_lo
	s_clause 0x1
	global_load_b128 v[10:13], v[18:19], off
	global_load_b128 v[14:17], v[18:19], off offset:16
	s_wait_loadcnt 0x1
	v_dual_fmac_f32 v4, v8, v10 :: v_dual_fmac_f32 v7, v9, v12
	v_dual_fmac_f32 v5, v9, v10 :: v_dual_fmac_f32 v6, v8, v12
	s_wait_loadcnt 0x0
	v_dual_fmac_f32 v0, v8, v14 :: v_dual_fmac_f32 v3, v9, v16
	v_dual_fmac_f32 v1, v9, v14 :: v_dual_fmac_f32 v2, v8, v16
	v_fma_f32 v4, -v9, v11, v4
	v_fmac_f32_e32 v5, v8, v11
	v_fma_f32 v6, -v9, v13, v6
	v_fmac_f32_e32 v7, v8, v13
	;; [unrolled: 2-line block ×4, first 2 shown]
	s_clause 0x1
	global_store_b128 v[18:19], v[4:7], off
	global_store_b128 v[18:19], v[0:3], off offset:16
	s_nop 0
	s_sendmsg sendmsg(MSG_DEALLOC_VGPRS)
	s_endpgm
	.section	.rodata,"a",@progbits
	.p2align	6, 0x0
	.amdhsa_kernel _ZN9rocsparseL18bsrxmvn_4x4_kernelILj128ELj4E21rocsparse_complex_numIfElifS2_S2_EEvT3_20rocsparse_direction_NS_24const_host_device_scalarIT1_EES3_PKS3_PKT2_SC_S9_PKT4_PKT5_S7_PT6_21rocsparse_index_base_b
		.amdhsa_group_segment_fixed_size 0
		.amdhsa_private_segment_fixed_size 0
		.amdhsa_kernarg_size 96
		.amdhsa_user_sgpr_count 2
		.amdhsa_user_sgpr_dispatch_ptr 0
		.amdhsa_user_sgpr_queue_ptr 0
		.amdhsa_user_sgpr_kernarg_segment_ptr 1
		.amdhsa_user_sgpr_dispatch_id 0
		.amdhsa_user_sgpr_private_segment_size 0
		.amdhsa_wavefront_size32 1
		.amdhsa_uses_dynamic_stack 0
		.amdhsa_enable_private_segment 0
		.amdhsa_system_sgpr_workgroup_id_x 1
		.amdhsa_system_sgpr_workgroup_id_y 0
		.amdhsa_system_sgpr_workgroup_id_z 0
		.amdhsa_system_sgpr_workgroup_info 0
		.amdhsa_system_vgpr_workitem_id 0
		.amdhsa_next_free_vgpr 125
		.amdhsa_next_free_sgpr 14
		.amdhsa_reserve_vcc 1
		.amdhsa_float_round_mode_32 0
		.amdhsa_float_round_mode_16_64 0
		.amdhsa_float_denorm_mode_32 3
		.amdhsa_float_denorm_mode_16_64 3
		.amdhsa_fp16_overflow 0
		.amdhsa_workgroup_processor_mode 1
		.amdhsa_memory_ordered 1
		.amdhsa_forward_progress 1
		.amdhsa_inst_pref_size 60
		.amdhsa_round_robin_scheduling 0
		.amdhsa_exception_fp_ieee_invalid_op 0
		.amdhsa_exception_fp_denorm_src 0
		.amdhsa_exception_fp_ieee_div_zero 0
		.amdhsa_exception_fp_ieee_overflow 0
		.amdhsa_exception_fp_ieee_underflow 0
		.amdhsa_exception_fp_ieee_inexact 0
		.amdhsa_exception_int_div_zero 0
	.end_amdhsa_kernel
	.section	.text._ZN9rocsparseL18bsrxmvn_4x4_kernelILj128ELj4E21rocsparse_complex_numIfElifS2_S2_EEvT3_20rocsparse_direction_NS_24const_host_device_scalarIT1_EES3_PKS3_PKT2_SC_S9_PKT4_PKT5_S7_PT6_21rocsparse_index_base_b,"axG",@progbits,_ZN9rocsparseL18bsrxmvn_4x4_kernelILj128ELj4E21rocsparse_complex_numIfElifS2_S2_EEvT3_20rocsparse_direction_NS_24const_host_device_scalarIT1_EES3_PKS3_PKT2_SC_S9_PKT4_PKT5_S7_PT6_21rocsparse_index_base_b,comdat
.Lfunc_end125:
	.size	_ZN9rocsparseL18bsrxmvn_4x4_kernelILj128ELj4E21rocsparse_complex_numIfElifS2_S2_EEvT3_20rocsparse_direction_NS_24const_host_device_scalarIT1_EES3_PKS3_PKT2_SC_S9_PKT4_PKT5_S7_PT6_21rocsparse_index_base_b, .Lfunc_end125-_ZN9rocsparseL18bsrxmvn_4x4_kernelILj128ELj4E21rocsparse_complex_numIfElifS2_S2_EEvT3_20rocsparse_direction_NS_24const_host_device_scalarIT1_EES3_PKS3_PKT2_SC_S9_PKT4_PKT5_S7_PT6_21rocsparse_index_base_b
                                        ; -- End function
	.set _ZN9rocsparseL18bsrxmvn_4x4_kernelILj128ELj4E21rocsparse_complex_numIfElifS2_S2_EEvT3_20rocsparse_direction_NS_24const_host_device_scalarIT1_EES3_PKS3_PKT2_SC_S9_PKT4_PKT5_S7_PT6_21rocsparse_index_base_b.num_vgpr, 125
	.set _ZN9rocsparseL18bsrxmvn_4x4_kernelILj128ELj4E21rocsparse_complex_numIfElifS2_S2_EEvT3_20rocsparse_direction_NS_24const_host_device_scalarIT1_EES3_PKS3_PKT2_SC_S9_PKT4_PKT5_S7_PT6_21rocsparse_index_base_b.num_agpr, 0
	.set _ZN9rocsparseL18bsrxmvn_4x4_kernelILj128ELj4E21rocsparse_complex_numIfElifS2_S2_EEvT3_20rocsparse_direction_NS_24const_host_device_scalarIT1_EES3_PKS3_PKT2_SC_S9_PKT4_PKT5_S7_PT6_21rocsparse_index_base_b.numbered_sgpr, 14
	.set _ZN9rocsparseL18bsrxmvn_4x4_kernelILj128ELj4E21rocsparse_complex_numIfElifS2_S2_EEvT3_20rocsparse_direction_NS_24const_host_device_scalarIT1_EES3_PKS3_PKT2_SC_S9_PKT4_PKT5_S7_PT6_21rocsparse_index_base_b.num_named_barrier, 0
	.set _ZN9rocsparseL18bsrxmvn_4x4_kernelILj128ELj4E21rocsparse_complex_numIfElifS2_S2_EEvT3_20rocsparse_direction_NS_24const_host_device_scalarIT1_EES3_PKS3_PKT2_SC_S9_PKT4_PKT5_S7_PT6_21rocsparse_index_base_b.private_seg_size, 0
	.set _ZN9rocsparseL18bsrxmvn_4x4_kernelILj128ELj4E21rocsparse_complex_numIfElifS2_S2_EEvT3_20rocsparse_direction_NS_24const_host_device_scalarIT1_EES3_PKS3_PKT2_SC_S9_PKT4_PKT5_S7_PT6_21rocsparse_index_base_b.uses_vcc, 1
	.set _ZN9rocsparseL18bsrxmvn_4x4_kernelILj128ELj4E21rocsparse_complex_numIfElifS2_S2_EEvT3_20rocsparse_direction_NS_24const_host_device_scalarIT1_EES3_PKS3_PKT2_SC_S9_PKT4_PKT5_S7_PT6_21rocsparse_index_base_b.uses_flat_scratch, 0
	.set _ZN9rocsparseL18bsrxmvn_4x4_kernelILj128ELj4E21rocsparse_complex_numIfElifS2_S2_EEvT3_20rocsparse_direction_NS_24const_host_device_scalarIT1_EES3_PKS3_PKT2_SC_S9_PKT4_PKT5_S7_PT6_21rocsparse_index_base_b.has_dyn_sized_stack, 0
	.set _ZN9rocsparseL18bsrxmvn_4x4_kernelILj128ELj4E21rocsparse_complex_numIfElifS2_S2_EEvT3_20rocsparse_direction_NS_24const_host_device_scalarIT1_EES3_PKS3_PKT2_SC_S9_PKT4_PKT5_S7_PT6_21rocsparse_index_base_b.has_recursion, 0
	.set _ZN9rocsparseL18bsrxmvn_4x4_kernelILj128ELj4E21rocsparse_complex_numIfElifS2_S2_EEvT3_20rocsparse_direction_NS_24const_host_device_scalarIT1_EES3_PKS3_PKT2_SC_S9_PKT4_PKT5_S7_PT6_21rocsparse_index_base_b.has_indirect_call, 0
	.section	.AMDGPU.csdata,"",@progbits
; Kernel info:
; codeLenInByte = 7664
; TotalNumSgprs: 16
; NumVgprs: 125
; ScratchSize: 0
; MemoryBound: 0
; FloatMode: 240
; IeeeMode: 1
; LDSByteSize: 0 bytes/workgroup (compile time only)
; SGPRBlocks: 0
; VGPRBlocks: 15
; NumSGPRsForWavesPerEU: 16
; NumVGPRsForWavesPerEU: 125
; Occupancy: 10
; WaveLimiterHint : 1
; COMPUTE_PGM_RSRC2:SCRATCH_EN: 0
; COMPUTE_PGM_RSRC2:USER_SGPR: 2
; COMPUTE_PGM_RSRC2:TRAP_HANDLER: 0
; COMPUTE_PGM_RSRC2:TGID_X_EN: 1
; COMPUTE_PGM_RSRC2:TGID_Y_EN: 0
; COMPUTE_PGM_RSRC2:TGID_Z_EN: 0
; COMPUTE_PGM_RSRC2:TIDIG_COMP_CNT: 0
	.section	.text._ZN9rocsparseL18bsrxmvn_4x4_kernelILj128ELj8E21rocsparse_complex_numIfElifS2_S2_EEvT3_20rocsparse_direction_NS_24const_host_device_scalarIT1_EES3_PKS3_PKT2_SC_S9_PKT4_PKT5_S7_PT6_21rocsparse_index_base_b,"axG",@progbits,_ZN9rocsparseL18bsrxmvn_4x4_kernelILj128ELj8E21rocsparse_complex_numIfElifS2_S2_EEvT3_20rocsparse_direction_NS_24const_host_device_scalarIT1_EES3_PKS3_PKT2_SC_S9_PKT4_PKT5_S7_PT6_21rocsparse_index_base_b,comdat
	.globl	_ZN9rocsparseL18bsrxmvn_4x4_kernelILj128ELj8E21rocsparse_complex_numIfElifS2_S2_EEvT3_20rocsparse_direction_NS_24const_host_device_scalarIT1_EES3_PKS3_PKT2_SC_S9_PKT4_PKT5_S7_PT6_21rocsparse_index_base_b ; -- Begin function _ZN9rocsparseL18bsrxmvn_4x4_kernelILj128ELj8E21rocsparse_complex_numIfElifS2_S2_EEvT3_20rocsparse_direction_NS_24const_host_device_scalarIT1_EES3_PKS3_PKT2_SC_S9_PKT4_PKT5_S7_PT6_21rocsparse_index_base_b
	.p2align	8
	.type	_ZN9rocsparseL18bsrxmvn_4x4_kernelILj128ELj8E21rocsparse_complex_numIfElifS2_S2_EEvT3_20rocsparse_direction_NS_24const_host_device_scalarIT1_EES3_PKS3_PKT2_SC_S9_PKT4_PKT5_S7_PT6_21rocsparse_index_base_b,@function
_ZN9rocsparseL18bsrxmvn_4x4_kernelILj128ELj8E21rocsparse_complex_numIfElifS2_S2_EEvT3_20rocsparse_direction_NS_24const_host_device_scalarIT1_EES3_PKS3_PKT2_SC_S9_PKT4_PKT5_S7_PT6_21rocsparse_index_base_b: ; @_ZN9rocsparseL18bsrxmvn_4x4_kernelILj128ELj8E21rocsparse_complex_numIfElifS2_S2_EEvT3_20rocsparse_direction_NS_24const_host_device_scalarIT1_EES3_PKS3_PKT2_SC_S9_PKT4_PKT5_S7_PT6_21rocsparse_index_base_b
; %bb.0:
	s_clause 0x2
	s_load_b64 s[12:13], s[0:1], 0x58
	s_load_b64 s[2:3], s[0:1], 0x8
	;; [unrolled: 1-line block ×3, first 2 shown]
	s_add_nc_u64 s[6:7], s[0:1], 8
	s_wait_kmcnt 0x0
	s_bitcmp1_b32 s13, 0
	s_cselect_b32 s2, s6, s2
	s_cselect_b32 s3, s7, s3
	s_delay_alu instid0(SALU_CYCLE_1)
	v_dual_mov_b32 v1, s2 :: v_dual_mov_b32 v2, s3
	s_add_nc_u64 s[2:3], s[0:1], 0x48
	s_wait_alu 0xfffe
	s_cselect_b32 s2, s2, s4
	s_cselect_b32 s3, s3, s5
	flat_load_b64 v[10:11], v[1:2]
	s_wait_alu 0xfffe
	v_dual_mov_b32 v1, s2 :: v_dual_mov_b32 v2, s3
	flat_load_b64 v[8:9], v[1:2]
	s_wait_loadcnt_dscnt 0x101
	v_cmp_eq_f32_e32 vcc_lo, 0, v10
	v_cmp_eq_f32_e64 s2, 0, v11
	s_and_b32 s4, vcc_lo, s2
	s_mov_b32 s2, -1
	s_and_saveexec_b32 s3, s4
	s_cbranch_execz .LBB126_2
; %bb.1:
	s_wait_loadcnt_dscnt 0x0
	v_cmp_neq_f32_e32 vcc_lo, 1.0, v8
	v_cmp_neq_f32_e64 s2, 0, v9
	s_wait_alu 0xfffe
	s_or_b32 s2, vcc_lo, s2
	s_wait_alu 0xfffe
	s_or_not1_b32 s2, s2, exec_lo
.LBB126_2:
	s_wait_alu 0xfffe
	s_or_b32 exec_lo, exec_lo, s3
	s_and_saveexec_b32 s3, s2
	s_cbranch_execz .LBB126_8
; %bb.3:
	s_clause 0x1
	s_load_b64 s[4:5], s[0:1], 0x18
	s_load_b64 s[2:3], s[0:1], 0x0
	v_lshrrev_b32_e32 v1, 3, v0
	s_delay_alu instid0(VALU_DEP_1)
	v_lshl_or_b32 v12, ttmp9, 4, v1
	s_wait_kmcnt 0x0
	s_cmp_lg_u64 s[4:5], 0
	s_cbranch_scc0 .LBB126_9
; %bb.4:
	s_load_b32 s6, s[0:1], 0x10
	s_mov_b32 s7, 0
                                        ; implicit-def: $vgpr1
	s_wait_kmcnt 0x0
	v_cmp_gt_i32_e32 vcc_lo, s6, v12
	s_mov_b32 s6, 0
	s_and_saveexec_b32 s8, vcc_lo
	s_delay_alu instid0(SALU_CYCLE_1)
	s_xor_b32 s8, exec_lo, s8
	s_cbranch_execz .LBB126_6
; %bb.5:
	v_ashrrev_i32_e32 v13, 31, v12
	s_mov_b32 s6, exec_lo
	s_delay_alu instid0(VALU_DEP_1) | instskip(NEXT) | instid1(VALU_DEP_1)
	v_lshlrev_b64_e32 v[1:2], 2, v[12:13]
	v_add_co_u32 v1, vcc_lo, s4, v1
	s_delay_alu instid0(VALU_DEP_1)
	v_add_co_ci_u32_e64 v2, null, s5, v2, vcc_lo
	global_load_b32 v1, v[1:2], off
	s_wait_loadcnt 0x0
	v_subrev_nc_u32_e32 v1, s12, v1
.LBB126_6:
	s_or_b32 exec_lo, exec_lo, s8
	s_delay_alu instid0(SALU_CYCLE_1)
	s_and_b32 vcc_lo, exec_lo, s7
	s_wait_alu 0xfffe
	s_cbranch_vccz .LBB126_10
.LBB126_7:
	v_cmp_gt_i32_e32 vcc_lo, s2, v12
	s_and_not1_b32 s2, s6, exec_lo
	s_and_b32 s4, vcc_lo, exec_lo
	s_wait_alu 0xfffe
	s_or_b32 s6, s2, s4
	s_wait_alu 0xfffe
	s_and_b32 exec_lo, exec_lo, s6
	s_cbranch_execnz .LBB126_11
.LBB126_8:
	s_nop 0
	s_sendmsg sendmsg(MSG_DEALLOC_VGPRS)
	s_endpgm
.LBB126_9:
	s_mov_b32 s6, 0
                                        ; implicit-def: $vgpr1
	s_cbranch_execnz .LBB126_7
.LBB126_10:
	v_mov_b32_e32 v12, v1
	s_and_b32 exec_lo, exec_lo, s6
	s_cbranch_execz .LBB126_8
.LBB126_11:
	s_load_b256 s[4:11], s[0:1], 0x20
	s_delay_alu instid0(VALU_DEP_1) | instskip(SKIP_1) | instid1(VALU_DEP_2)
	v_ashrrev_i32_e32 v13, 31, v12
	v_dual_mov_b32 v26, 0 :: v_dual_and_b32 v25, 7, v0
	v_lshlrev_b64_e32 v[1:2], 3, v[12:13]
	s_wait_kmcnt 0x0
	s_delay_alu instid0(VALU_DEP_1) | instskip(SKIP_1) | instid1(VALU_DEP_2)
	v_add_co_u32 v3, vcc_lo, s4, v1
	s_wait_alu 0xfffd
	v_add_co_ci_u32_e64 v4, null, s5, v2, vcc_lo
	v_add_co_u32 v1, vcc_lo, s6, v1
	s_wait_alu 0xfffd
	v_add_co_ci_u32_e64 v2, null, s7, v2, vcc_lo
	v_add_co_u32 v5, vcc_lo, v3, 8
	global_load_b64 v[13:14], v[3:4], off
	s_wait_alu 0xfffd
	v_add_co_ci_u32_e64 v6, null, 0, v4, vcc_lo
	s_cmp_eq_u64 s[6:7], 0
	s_load_b64 s[4:5], s[0:1], 0x40
	s_cselect_b32 vcc_lo, -1, 0
	s_cmp_eq_u32 s3, 1
	s_wait_alu 0xfffe
	v_dual_cndmask_b32 v2, v2, v6 :: v_dual_cndmask_b32 v1, v1, v5
	global_load_b64 v[2:3], v[1:2], off
	s_wait_loadcnt 0x1
	v_sub_co_u32 v0, vcc_lo, v13, s12
	s_wait_alu 0xfffd
	v_subrev_co_ci_u32_e64 v1, null, 0, v14, vcc_lo
	s_delay_alu instid0(VALU_DEP_2) | instskip(SKIP_1) | instid1(VALU_DEP_2)
	v_add_co_u32 v0, vcc_lo, v0, v25
	s_wait_alu 0xfffd
	v_add_co_ci_u32_e64 v1, null, 0, v1, vcc_lo
	s_delay_alu instid0(VALU_DEP_1) | instskip(SKIP_4) | instid1(VALU_DEP_3)
	v_lshlrev_b64_e32 v[4:5], 6, v[0:1]
	s_wait_loadcnt 0x0
	v_sub_co_u32 v2, vcc_lo, v2, s12
	s_wait_alu 0xfffd
	v_subrev_co_ci_u32_e64 v3, null, 0, v3, vcc_lo
	v_add_co_u32 v4, vcc_lo, s10, v4
	s_delay_alu instid0(VALU_DEP_2)
	v_cmp_lt_i64_e64 s2, v[0:1], v[2:3]
	s_wait_alu 0xfffd
	v_add_co_ci_u32_e64 v5, null, s11, v5, vcc_lo
	s_cbranch_scc1 .LBB126_23
; %bb.12:
	v_dual_mov_b32 v27, 0 :: v_dual_mov_b32 v28, 0
	v_dual_mov_b32 v29, 0 :: v_dual_mov_b32 v30, 0
	;; [unrolled: 1-line block ×3, first 2 shown]
	v_mov_b32_e32 v7, 0
	s_and_saveexec_b32 s3, s2
	s_cbranch_execz .LBB126_22
; %bb.13:
	v_or_b32_e32 v6, 8, v25
	v_not_b32_e32 v17, v13
	s_delay_alu instid0(VALU_DEP_2) | instskip(SKIP_3) | instid1(VALU_DEP_3)
	v_sub_co_u32 v6, s6, v6, s12
	s_wait_alu 0xf1ff
	v_sub_co_ci_u32_e64 v7, null, 0, 0, s6
	v_sub_co_u32 v18, s6, s12, v25
	v_add_co_u32 v15, vcc_lo, v6, v13
	s_wait_alu 0xfffd
	s_delay_alu instid0(VALU_DEP_3) | instskip(SKIP_3) | instid1(VALU_DEP_3)
	v_add_co_ci_u32_e64 v16, null, v7, v14, vcc_lo
	v_not_b32_e32 v6, v14
	s_wait_alu 0xf1ff
	v_sub_co_ci_u32_e64 v19, null, 0, 0, s6
	v_cmp_gt_i64_e32 vcc_lo, v[15:16], v[2:3]
	v_mov_b32_e32 v7, 0
	s_mov_b32 s6, exec_lo
	s_wait_alu 0xfffd
	v_dual_cndmask_b32 v16, v3, v16 :: v_dual_cndmask_b32 v15, v2, v15
	s_delay_alu instid0(VALU_DEP_2) | instskip(SKIP_4) | instid1(VALU_DEP_3)
	v_mov_b32_e32 v32, v7
	v_add_co_u32 v17, vcc_lo, v18, v17
	s_wait_alu 0xfffd
	v_add_co_ci_u32_e64 v6, null, v19, v6, vcc_lo
	v_dual_mov_b32 v31, v7 :: v_dual_mov_b32 v30, v7
	v_add_co_u32 v19, vcc_lo, v17, v15
	s_wait_alu 0xfffd
	s_delay_alu instid0(VALU_DEP_3)
	v_add_co_ci_u32_e64 v20, null, v6, v16, vcc_lo
	v_mov_b32_e32 v16, v5
	v_mov_b32_e32 v18, v1
	v_dual_mov_b32 v29, v7 :: v_dual_and_b32 v6, 24, v19
	v_dual_mov_b32 v28, v7 :: v_dual_mov_b32 v27, v7
	v_dual_mov_b32 v26, v7 :: v_dual_mov_b32 v15, v4
	v_mov_b32_e32 v17, v0
	s_delay_alu instid0(VALU_DEP_4)
	v_cmpx_ne_u64_e32 24, v[6:7]
	s_cbranch_execz .LBB126_17
; %bb.14:
	v_lshrrev_b32_e32 v6, 3, v19
	v_mov_b32_e32 v26, 0
	v_dual_mov_b32 v18, v1 :: v_dual_mov_b32 v17, v0
	v_dual_mov_b32 v16, v5 :: v_dual_mov_b32 v15, v4
	s_delay_alu instid0(VALU_DEP_4) | instskip(SKIP_2) | instid1(VALU_DEP_3)
	v_add_nc_u32_e32 v21, 1, v6
	v_lshlrev_b64_e32 v[6:7], 2, v[0:1]
	v_dual_mov_b32 v27, 0 :: v_dual_mov_b32 v28, 0
	v_dual_mov_b32 v30, 0 :: v_dual_and_b32 v23, 3, v21
	v_dual_mov_b32 v29, 0 :: v_dual_mov_b32 v32, 0
	s_delay_alu instid0(VALU_DEP_4) | instskip(NEXT) | instid1(VALU_DEP_3)
	v_add_co_u32 v21, vcc_lo, s8, v6
	v_sub_co_u32 v23, s7, 0, v23
	s_wait_alu 0xfffd
	v_add_co_ci_u32_e64 v22, null, s9, v7, vcc_lo
	s_wait_alu 0xf1ff
	v_sub_co_ci_u32_e64 v24, null, 0, 0, s7
	v_mov_b32_e32 v31, 0
	v_mov_b32_e32 v7, 0
	s_mov_b32 s7, 0
.LBB126_15:                             ; =>This Inner Loop Header: Depth=1
	global_load_b32 v6, v[21:22], off
	s_clause 0x3
	global_load_b128 v[33:36], v[15:16], off offset:48
	global_load_b128 v[37:40], v[15:16], off offset:32
	;; [unrolled: 1-line block ×3, first 2 shown]
	global_load_b128 v[45:48], v[15:16], off
	s_wait_loadcnt 0x4
	v_subrev_nc_u32_e32 v6, s12, v6
	s_delay_alu instid0(VALU_DEP_1) | instskip(NEXT) | instid1(VALU_DEP_1)
	v_lshlrev_b32_e32 v49, 2, v6
	v_ashrrev_i32_e32 v50, 31, v49
	s_delay_alu instid0(VALU_DEP_1) | instskip(SKIP_1) | instid1(VALU_DEP_1)
	v_lshlrev_b64_e32 v[49:50], 3, v[49:50]
	s_wait_kmcnt 0x0
	v_add_co_u32 v53, vcc_lo, s4, v49
	s_wait_alu 0xfffd
	s_delay_alu instid0(VALU_DEP_2)
	v_add_co_ci_u32_e64 v54, null, s5, v50, vcc_lo
	v_add_co_u32 v15, vcc_lo, 0x200, v15
	s_wait_alu 0xfffd
	v_add_co_ci_u32_e64 v16, null, 0, v16, vcc_lo
	s_clause 0x1
	global_load_b128 v[49:52], v[53:54], off
	global_load_b128 v[53:56], v[53:54], off offset:16
	v_add_co_u32 v17, vcc_lo, v17, 8
	s_wait_alu 0xfffd
	v_add_co_ci_u32_e64 v18, null, 0, v18, vcc_lo
	v_add_co_u32 v23, vcc_lo, v23, 1
	s_wait_alu 0xfffd
	v_add_co_ci_u32_e64 v24, null, 0, v24, vcc_lo
	;; [unrolled: 3-line block ×3, first 2 shown]
	s_delay_alu instid0(VALU_DEP_3)
	v_cmp_eq_u64_e32 vcc_lo, 0, v[23:24]
	s_wait_alu 0xfffe
	s_or_b32 s7, vcc_lo, s7
	s_wait_loadcnt 0x1
	v_fmac_f32_e32 v7, v33, v49
	v_fmac_f32_e32 v32, v37, v49
	s_delay_alu instid0(VALU_DEP_2) | instskip(NEXT) | instid1(VALU_DEP_2)
	v_dual_fmac_f32 v28, 0, v49 :: v_dual_fmac_f32 v7, 0x80000000, v50
	v_dual_fmac_f32 v27, v45, v49 :: v_dual_fmac_f32 v32, 0x80000000, v50
	s_delay_alu instid0(VALU_DEP_1) | instskip(NEXT) | instid1(VALU_DEP_1)
	v_dual_fmac_f32 v26, 0, v49 :: v_dual_fmac_f32 v27, 0x80000000, v50
	v_dual_fmac_f32 v31, 0, v49 :: v_dual_fmac_f32 v26, v45, v50
	v_fmac_f32_e32 v30, 0, v49
	s_delay_alu instid0(VALU_DEP_3) | instskip(SKIP_1) | instid1(VALU_DEP_4)
	v_dual_fmac_f32 v28, v41, v50 :: v_dual_fmac_f32 v27, v46, v51
	v_fmac_f32_e32 v29, v41, v49
	v_dual_fmac_f32 v31, v33, v50 :: v_dual_fmac_f32 v26, 0, v51
	s_delay_alu instid0(VALU_DEP_3) | instskip(NEXT) | instid1(VALU_DEP_3)
	v_fmac_f32_e32 v28, 0, v51
	v_dual_fmac_f32 v32, v38, v51 :: v_dual_fmac_f32 v29, 0x80000000, v50
	v_dual_fmac_f32 v30, v37, v50 :: v_dual_fmac_f32 v7, v34, v51
	s_delay_alu instid0(VALU_DEP_4) | instskip(NEXT) | instid1(VALU_DEP_3)
	v_dual_fmac_f32 v31, 0, v51 :: v_dual_fmac_f32 v26, v46, v52
	v_fmac_f32_e32 v29, v42, v51
	s_delay_alu instid0(VALU_DEP_3)
	v_dual_fmac_f32 v30, 0, v51 :: v_dual_fmac_f32 v27, 0x80000000, v52
	v_fmac_f32_e32 v28, v42, v52
	v_fmac_f32_e32 v32, 0x80000000, v52
	s_wait_loadcnt 0x0
	v_dual_fmac_f32 v29, 0x80000000, v52 :: v_dual_fmac_f32 v26, 0, v53
	v_fmac_f32_e32 v30, v38, v52
	s_delay_alu instid0(VALU_DEP_3) | instskip(SKIP_3) | instid1(VALU_DEP_3)
	v_dual_fmac_f32 v31, v34, v52 :: v_dual_fmac_f32 v32, v39, v53
	v_fmac_f32_e32 v27, v47, v53
	v_dual_fmac_f32 v7, 0x80000000, v52 :: v_dual_fmac_f32 v28, 0, v53
	v_fmac_f32_e32 v29, v43, v53
	v_dual_fmac_f32 v30, 0, v53 :: v_dual_fmac_f32 v27, 0x80000000, v54
	s_delay_alu instid0(VALU_DEP_3) | instskip(SKIP_1) | instid1(VALU_DEP_4)
	v_dual_fmac_f32 v7, v35, v53 :: v_dual_fmac_f32 v32, 0x80000000, v54
	v_dual_fmac_f32 v31, 0, v53 :: v_dual_fmac_f32 v26, v47, v54
	v_fmac_f32_e32 v29, 0x80000000, v54
	s_delay_alu instid0(VALU_DEP_4) | instskip(NEXT) | instid1(VALU_DEP_4)
	v_dual_fmac_f32 v28, v43, v54 :: v_dual_fmac_f32 v27, v48, v55
	v_fmac_f32_e32 v7, 0x80000000, v54
	s_delay_alu instid0(VALU_DEP_4) | instskip(SKIP_3) | instid1(VALU_DEP_4)
	v_dual_fmac_f32 v31, v35, v54 :: v_dual_fmac_f32 v32, v40, v55
	v_fmac_f32_e32 v26, 0, v55
	v_dual_fmac_f32 v30, v39, v54 :: v_dual_fmac_f32 v29, v44, v55
	v_fmac_f32_e32 v28, 0, v55
	v_dual_fmac_f32 v7, v36, v55 :: v_dual_fmac_f32 v32, 0x80000000, v56
	s_delay_alu instid0(VALU_DEP_3) | instskip(SKIP_3) | instid1(VALU_DEP_4)
	v_dual_fmac_f32 v30, 0, v55 :: v_dual_fmac_f32 v27, 0x80000000, v56
	v_dual_fmac_f32 v31, 0, v55 :: v_dual_fmac_f32 v26, v48, v56
	v_fmac_f32_e32 v29, 0x80000000, v56
	v_fmac_f32_e32 v28, v44, v56
	;; [unrolled: 1-line block ×5, first 2 shown]
	s_wait_alu 0xfffe
	s_and_not1_b32 exec_lo, exec_lo, s7
	s_cbranch_execnz .LBB126_15
; %bb.16:
	s_or_b32 exec_lo, exec_lo, s7
.LBB126_17:
	s_wait_alu 0xfffe
	s_or_b32 exec_lo, exec_lo, s6
	s_delay_alu instid0(SALU_CYCLE_1)
	s_mov_b32 s6, exec_lo
	v_cmpx_lt_u64_e32 23, v[19:20]
	s_cbranch_execz .LBB126_21
; %bb.18:
	v_lshlrev_b64_e32 v[19:20], 2, v[17:18]
	s_mov_b32 s7, 0
	s_delay_alu instid0(VALU_DEP_1) | instskip(SKIP_1) | instid1(VALU_DEP_2)
	v_add_co_u32 v6, vcc_lo, s8, v19
	s_wait_alu 0xfffd
	v_add_co_ci_u32_e64 v20, null, s9, v20, vcc_lo
	s_delay_alu instid0(VALU_DEP_2) | instskip(SKIP_1) | instid1(VALU_DEP_2)
	v_add_co_u32 v19, vcc_lo, v6, 64
	s_wait_alu 0xfffd
	v_add_co_ci_u32_e64 v20, null, 0, v20, vcc_lo
.LBB126_19:                             ; =>This Inner Loop Header: Depth=1
	s_clause 0x3
	global_load_b32 v6, v[19:20], off offset:-64
	global_load_b32 v93, v[19:20], off offset:-32
	global_load_b32 v94, v[19:20], off
	global_load_b32 v95, v[19:20], off offset:32
	s_clause 0xf
	global_load_b128 v[21:24], v[15:16], off offset:48
	global_load_b128 v[33:36], v[15:16], off offset:32
	;; [unrolled: 1-line block ×3, first 2 shown]
	global_load_b128 v[41:44], v[15:16], off
	global_load_b128 v[45:48], v[15:16], off offset:560
	global_load_b128 v[49:52], v[15:16], off offset:544
	;; [unrolled: 1-line block ×12, first 2 shown]
	s_wait_loadcnt 0x13
	v_subrev_nc_u32_e32 v6, s12, v6
	s_wait_loadcnt 0x12
	v_subrev_nc_u32_e32 v96, s12, v93
	;; [unrolled: 2-line block ×4, first 2 shown]
	v_lshlrev_b32_e32 v93, 2, v6
	v_lshlrev_b32_e32 v95, 2, v96
	;; [unrolled: 1-line block ×3, first 2 shown]
	s_delay_alu instid0(VALU_DEP_4) | instskip(NEXT) | instid1(VALU_DEP_4)
	v_lshlrev_b32_e32 v99, 2, v98
	v_ashrrev_i32_e32 v94, 31, v93
	s_delay_alu instid0(VALU_DEP_4) | instskip(NEXT) | instid1(VALU_DEP_4)
	v_ashrrev_i32_e32 v96, 31, v95
	v_ashrrev_i32_e32 v98, 31, v97
	s_delay_alu instid0(VALU_DEP_4) | instskip(NEXT) | instid1(VALU_DEP_4)
	v_ashrrev_i32_e32 v100, 31, v99
	v_lshlrev_b64_e32 v[93:94], 3, v[93:94]
	s_delay_alu instid0(VALU_DEP_4) | instskip(NEXT) | instid1(VALU_DEP_4)
	v_lshlrev_b64_e32 v[95:96], 3, v[95:96]
	v_lshlrev_b64_e32 v[97:98], 3, v[97:98]
	s_delay_alu instid0(VALU_DEP_4) | instskip(SKIP_1) | instid1(VALU_DEP_4)
	v_lshlrev_b64_e32 v[99:100], 3, v[99:100]
	s_wait_kmcnt 0x0
	v_add_co_u32 v101, vcc_lo, s4, v93
	s_wait_alu 0xfffd
	v_add_co_ci_u32_e64 v102, null, s5, v94, vcc_lo
	v_add_co_u32 v105, vcc_lo, s4, v95
	s_wait_alu 0xfffd
	v_add_co_ci_u32_e64 v106, null, s5, v96, vcc_lo
	;; [unrolled: 3-line block ×4, first 2 shown]
	s_clause 0x7
	global_load_b128 v[93:96], v[101:102], off
	global_load_b128 v[97:100], v[101:102], off offset:16
	global_load_b128 v[101:104], v[105:106], off
	global_load_b128 v[105:108], v[105:106], off offset:16
	;; [unrolled: 2-line block ×4, first 2 shown]
	v_add_co_u32 v17, vcc_lo, v17, 32
	s_wait_alu 0xfffd
	v_add_co_ci_u32_e64 v18, null, 0, v18, vcc_lo
	v_add_co_u32 v15, vcc_lo, 0x800, v15
	s_wait_alu 0xfffd
	v_add_co_ci_u32_e64 v16, null, 0, v16, vcc_lo
	;; [unrolled: 3-line block ×3, first 2 shown]
	v_cmp_ge_i64_e32 vcc_lo, v[17:18], v[2:3]
	s_wait_alu 0xfffe
	s_or_b32 s7, vcc_lo, s7
	s_wait_loadcnt 0x7
	v_fmac_f32_e32 v26, 0, v93
	v_fmac_f32_e32 v32, v33, v93
	;; [unrolled: 1-line block ×4, first 2 shown]
	s_delay_alu instid0(VALU_DEP_4) | instskip(NEXT) | instid1(VALU_DEP_4)
	v_dual_fmac_f32 v31, 0, v93 :: v_dual_fmac_f32 v26, v41, v94
	v_fmac_f32_e32 v32, 0x80000000, v94
	s_delay_alu instid0(VALU_DEP_4)
	v_dual_fmac_f32 v30, 0, v93 :: v_dual_fmac_f32 v27, 0x80000000, v94
	v_fmac_f32_e32 v7, v21, v93
	v_fmac_f32_e32 v28, v37, v94
	;; [unrolled: 1-line block ×5, first 2 shown]
	s_delay_alu instid0(VALU_DEP_4) | instskip(NEXT) | instid1(VALU_DEP_4)
	v_dual_fmac_f32 v29, v37, v93 :: v_dual_fmac_f32 v28, 0, v95
	v_dual_fmac_f32 v7, 0x80000000, v94 :: v_dual_fmac_f32 v26, v42, v96
	v_fmac_f32_e32 v30, v33, v94
	s_delay_alu instid0(VALU_DEP_3) | instskip(NEXT) | instid1(VALU_DEP_4)
	v_fmac_f32_e32 v29, 0x80000000, v94
	v_dual_fmac_f32 v31, v21, v94 :: v_dual_fmac_f32 v28, v38, v96
	s_delay_alu instid0(VALU_DEP_4)
	v_dual_fmac_f32 v7, v22, v95 :: v_dual_fmac_f32 v32, 0x80000000, v96
	s_wait_loadcnt 0x6
	v_dual_fmac_f32 v27, 0x80000000, v96 :: v_dual_fmac_f32 v26, 0, v97
	v_fmac_f32_e32 v30, 0, v95
	v_fmac_f32_e32 v29, v38, v95
	v_fmac_f32_e32 v31, 0, v95
	v_dual_fmac_f32 v7, 0x80000000, v96 :: v_dual_fmac_f32 v32, v35, v97
	v_fmac_f32_e32 v27, v43, v97
	s_delay_alu instid0(VALU_DEP_4) | instskip(SKIP_1) | instid1(VALU_DEP_4)
	v_dual_fmac_f32 v29, 0x80000000, v96 :: v_dual_fmac_f32 v28, 0, v97
	v_fmac_f32_e32 v30, v34, v96
	v_dual_fmac_f32 v31, v22, v96 :: v_dual_fmac_f32 v32, 0x80000000, v98
	s_delay_alu instid0(VALU_DEP_4) | instskip(SKIP_1) | instid1(VALU_DEP_4)
	v_fmac_f32_e32 v27, 0x80000000, v98
	v_fmac_f32_e32 v26, v43, v98
	v_fmac_f32_e32 v30, 0, v97
	s_delay_alu instid0(VALU_DEP_4) | instskip(NEXT) | instid1(VALU_DEP_4)
	v_dual_fmac_f32 v31, 0, v97 :: v_dual_fmac_f32 v32, v36, v99
	v_dual_fmac_f32 v28, v39, v98 :: v_dual_fmac_f32 v27, v44, v99
	v_fmac_f32_e32 v7, v23, v97
	v_dual_fmac_f32 v29, v39, v97 :: v_dual_fmac_f32 v26, 0, v99
	s_delay_alu instid0(VALU_DEP_3) | instskip(SKIP_1) | instid1(VALU_DEP_4)
	v_fmac_f32_e32 v28, 0, v99
	v_fmac_f32_e32 v30, v35, v98
	v_fmac_f32_e32 v7, 0x80000000, v98
	s_delay_alu instid0(VALU_DEP_4) | instskip(NEXT) | instid1(VALU_DEP_4)
	v_fmac_f32_e32 v29, 0x80000000, v98
	v_dual_fmac_f32 v31, v23, v98 :: v_dual_fmac_f32 v28, v40, v100
	v_fmac_f32_e32 v26, v44, v100
	s_delay_alu instid0(VALU_DEP_4)
	v_dual_fmac_f32 v7, v24, v99 :: v_dual_fmac_f32 v32, 0x80000000, v100
	v_dual_fmac_f32 v27, 0x80000000, v100 :: v_dual_fmac_f32 v30, 0, v99
	v_fmac_f32_e32 v29, v40, v99
	v_fmac_f32_e32 v31, 0, v99
	s_wait_loadcnt 0x5
	v_dual_fmac_f32 v7, 0x80000000, v100 :: v_dual_fmac_f32 v32, v49, v101
	v_fmac_f32_e32 v26, 0, v101
	v_fmac_f32_e32 v27, v57, v101
	v_dual_fmac_f32 v29, 0x80000000, v100 :: v_dual_fmac_f32 v28, 0, v101
	v_fmac_f32_e32 v30, v36, v100
	v_dual_fmac_f32 v31, v24, v100 :: v_dual_fmac_f32 v32, 0x80000000, v102
	s_delay_alu instid0(VALU_DEP_4) | instskip(SKIP_1) | instid1(VALU_DEP_4)
	v_fmac_f32_e32 v27, 0x80000000, v102
	v_fmac_f32_e32 v26, v57, v102
	v_fmac_f32_e32 v30, 0, v101
	s_delay_alu instid0(VALU_DEP_4) | instskip(NEXT) | instid1(VALU_DEP_4)
	v_dual_fmac_f32 v31, 0, v101 :: v_dual_fmac_f32 v32, v50, v103
	v_dual_fmac_f32 v28, v53, v102 :: v_dual_fmac_f32 v27, v58, v103
	v_fmac_f32_e32 v7, v45, v101
	v_dual_fmac_f32 v29, v53, v101 :: v_dual_fmac_f32 v26, 0, v103
	s_delay_alu instid0(VALU_DEP_3) | instskip(SKIP_1) | instid1(VALU_DEP_4)
	v_fmac_f32_e32 v28, 0, v103
	v_fmac_f32_e32 v30, v49, v102
	v_fmac_f32_e32 v7, 0x80000000, v102
	s_delay_alu instid0(VALU_DEP_4) | instskip(NEXT) | instid1(VALU_DEP_4)
	v_fmac_f32_e32 v29, 0x80000000, v102
	v_dual_fmac_f32 v31, v45, v102 :: v_dual_fmac_f32 v28, v54, v104
	v_fmac_f32_e32 v26, v58, v104
	s_delay_alu instid0(VALU_DEP_4)
	v_dual_fmac_f32 v7, v46, v103 :: v_dual_fmac_f32 v32, 0x80000000, v104
	v_dual_fmac_f32 v27, 0x80000000, v104 :: v_dual_fmac_f32 v30, 0, v103
	v_fmac_f32_e32 v29, v54, v103
	v_fmac_f32_e32 v31, 0, v103
	s_wait_loadcnt 0x4
	v_dual_fmac_f32 v7, 0x80000000, v104 :: v_dual_fmac_f32 v32, v51, v105
	v_fmac_f32_e32 v26, 0, v105
	v_fmac_f32_e32 v27, v59, v105
	;; [unrolled: 29-line block ×6, first 2 shown]
	v_dual_fmac_f32 v29, 0x80000000, v120 :: v_dual_fmac_f32 v28, 0, v121
	v_fmac_f32_e32 v30, v82, v120
	v_dual_fmac_f32 v31, v78, v120 :: v_dual_fmac_f32 v32, 0x80000000, v122
	s_delay_alu instid0(VALU_DEP_4)
	v_fmac_f32_e32 v27, 0x80000000, v122
	v_fmac_f32_e32 v26, v91, v122
	;; [unrolled: 1-line block ×4, first 2 shown]
	v_dual_fmac_f32 v31, 0, v121 :: v_dual_fmac_f32 v32, v84, v123
	v_dual_fmac_f32 v28, v87, v122 :: v_dual_fmac_f32 v27, v92, v123
	v_fmac_f32_e32 v7, v79, v121
	s_delay_alu instid0(VALU_DEP_4) | instskip(SKIP_1) | instid1(VALU_DEP_3)
	v_fmac_f32_e32 v30, v83, v122
	v_dual_fmac_f32 v26, 0, v123 :: v_dual_fmac_f32 v29, 0x80000000, v122
	v_dual_fmac_f32 v28, 0, v123 :: v_dual_fmac_f32 v7, 0x80000000, v122
	s_delay_alu instid0(VALU_DEP_3) | instskip(NEXT) | instid1(VALU_DEP_3)
	v_dual_fmac_f32 v31, v79, v122 :: v_dual_fmac_f32 v30, 0, v123
	v_fmac_f32_e32 v29, v88, v123
	s_delay_alu instid0(VALU_DEP_4) | instskip(NEXT) | instid1(VALU_DEP_4)
	v_fmac_f32_e32 v26, v92, v124
	v_dual_fmac_f32 v7, v80, v123 :: v_dual_fmac_f32 v32, 0x80000000, v124
	s_delay_alu instid0(VALU_DEP_4)
	v_dual_fmac_f32 v28, v88, v124 :: v_dual_fmac_f32 v31, 0, v123
	v_fmac_f32_e32 v30, v84, v124
	v_fmac_f32_e32 v27, 0x80000000, v124
	;; [unrolled: 1-line block ×5, first 2 shown]
	s_wait_alu 0xfffe
	s_and_not1_b32 exec_lo, exec_lo, s7
	s_cbranch_execnz .LBB126_19
; %bb.20:
	s_or_b32 exec_lo, exec_lo, s7
.LBB126_21:
	s_wait_alu 0xfffe
	s_or_b32 exec_lo, exec_lo, s6
.LBB126_22:
	s_wait_alu 0xfffe
	s_or_b32 exec_lo, exec_lo, s3
	s_cbranch_execz .LBB126_24
	s_branch .LBB126_35
.LBB126_23:
                                        ; implicit-def: $vgpr26
                                        ; implicit-def: $vgpr27
                                        ; implicit-def: $vgpr28
                                        ; implicit-def: $vgpr29
                                        ; implicit-def: $vgpr30
                                        ; implicit-def: $vgpr32
                                        ; implicit-def: $vgpr31
                                        ; implicit-def: $vgpr7
.LBB126_24:
	v_dual_mov_b32 v26, 0 :: v_dual_mov_b32 v27, 0
	v_dual_mov_b32 v28, 0 :: v_dual_mov_b32 v29, 0
	;; [unrolled: 1-line block ×4, first 2 shown]
	s_and_saveexec_b32 s3, s2
	s_cbranch_execz .LBB126_34
; %bb.25:
	v_or_b32_e32 v6, 8, v25
	s_delay_alu instid0(VALU_DEP_1) | instskip(SKIP_3) | instid1(VALU_DEP_3)
	v_sub_co_u32 v6, s2, v6, s12
	s_wait_alu 0xf1ff
	v_sub_co_ci_u32_e64 v7, null, 0, 0, s2
	v_sub_co_u32 v15, s2, s12, v25
	v_add_co_u32 v6, vcc_lo, v6, v13
	s_wait_alu 0xfffd
	s_delay_alu instid0(VALU_DEP_3)
	v_add_co_ci_u32_e64 v7, null, v7, v14, vcc_lo
	v_not_b32_e32 v13, v13
	v_not_b32_e32 v14, v14
	s_wait_alu 0xf1ff
	v_sub_co_ci_u32_e64 v16, null, 0, 0, s2
	v_cmp_gt_i64_e32 vcc_lo, v[6:7], v[2:3]
	v_add_co_u32 v13, s2, v15, v13
	s_wait_alu 0xf1ff
	s_delay_alu instid0(VALU_DEP_3) | instskip(SKIP_3) | instid1(VALU_DEP_1)
	v_add_co_ci_u32_e64 v14, null, v16, v14, s2
	s_mov_b32 s2, exec_lo
	s_wait_alu 0xfffd
	v_dual_cndmask_b32 v15, v3, v7 :: v_dual_cndmask_b32 v6, v2, v6
	v_add_co_u32 v13, vcc_lo, v13, v6
	v_mov_b32_e32 v7, 0
	s_wait_alu 0xfffd
	s_delay_alu instid0(VALU_DEP_3) | instskip(NEXT) | instid1(VALU_DEP_2)
	v_add_co_ci_u32_e64 v14, null, v14, v15, vcc_lo
	v_dual_mov_b32 v31, v7 :: v_dual_and_b32 v6, 24, v13
	v_mov_b32_e32 v32, v7
	v_dual_mov_b32 v30, v7 :: v_dual_mov_b32 v29, v7
	v_dual_mov_b32 v28, v7 :: v_dual_mov_b32 v27, v7
	v_mov_b32_e32 v26, v7
	v_cmpx_ne_u64_e32 24, v[6:7]
	s_cbranch_execz .LBB126_29
; %bb.26:
	v_lshrrev_b32_e32 v6, 3, v13
	v_dual_mov_b32 v26, 0 :: v_dual_mov_b32 v27, 0
	v_dual_mov_b32 v28, 0 :: v_dual_mov_b32 v29, 0
	s_delay_alu instid0(VALU_DEP_3) | instskip(SKIP_2) | instid1(VALU_DEP_3)
	v_dual_mov_b32 v30, 0 :: v_dual_add_nc_u32 v15, 1, v6
	v_lshlrev_b64_e32 v[6:7], 2, v[0:1]
	v_dual_mov_b32 v31, 0 :: v_dual_mov_b32 v32, 0
	v_and_b32_e32 v17, 3, v15
	s_delay_alu instid0(VALU_DEP_3) | instskip(SKIP_1) | instid1(VALU_DEP_4)
	v_add_co_u32 v15, vcc_lo, s8, v6
	s_wait_alu 0xfffd
	v_add_co_ci_u32_e64 v16, null, s9, v7, vcc_lo
	s_delay_alu instid0(VALU_DEP_3)
	v_sub_co_u32 v17, s6, 0, v17
	s_wait_alu 0xf1ff
	v_sub_co_ci_u32_e64 v18, null, 0, 0, s6
	v_mov_b32_e32 v7, 0
	s_mov_b32 s6, 0
.LBB126_27:                             ; =>This Inner Loop Header: Depth=1
	global_load_b32 v6, v[15:16], off
	s_clause 0x1
	global_load_b128 v[19:22], v[4:5], off offset:16
	global_load_b128 v[33:36], v[4:5], off
	s_wait_loadcnt 0x2
	v_subrev_nc_u32_e32 v6, s12, v6
	s_delay_alu instid0(VALU_DEP_1) | instskip(NEXT) | instid1(VALU_DEP_1)
	v_lshlrev_b32_e32 v23, 2, v6
	v_ashrrev_i32_e32 v24, 31, v23
	s_delay_alu instid0(VALU_DEP_1) | instskip(SKIP_1) | instid1(VALU_DEP_1)
	v_lshlrev_b64_e32 v[23:24], 3, v[23:24]
	s_wait_kmcnt 0x0
	v_add_co_u32 v23, vcc_lo, s4, v23
	s_wait_alu 0xfffd
	s_delay_alu instid0(VALU_DEP_2)
	v_add_co_ci_u32_e64 v24, null, s5, v24, vcc_lo
	s_clause 0x1
	global_load_b128 v[37:40], v[23:24], off
	global_load_b128 v[41:44], v[23:24], off offset:16
	s_clause 0x1
	global_load_b128 v[45:48], v[4:5], off offset:32
	global_load_b128 v[49:52], v[4:5], off offset:48
	v_add_co_u32 v4, vcc_lo, 0x200, v4
	s_wait_alu 0xfffd
	v_add_co_ci_u32_e64 v5, null, 0, v5, vcc_lo
	v_add_co_u32 v0, vcc_lo, v0, 8
	s_wait_alu 0xfffd
	v_add_co_ci_u32_e64 v1, null, 0, v1, vcc_lo
	v_add_co_u32 v17, vcc_lo, v17, 1
	s_wait_alu 0xfffd
	v_add_co_ci_u32_e64 v18, null, 0, v18, vcc_lo
	v_add_co_u32 v15, vcc_lo, v15, 32
	s_wait_alu 0xfffd
	v_add_co_ci_u32_e64 v16, null, 0, v16, vcc_lo
	s_delay_alu instid0(VALU_DEP_3)
	v_cmp_eq_u64_e32 vcc_lo, 0, v[17:18]
	s_wait_alu 0xfffe
	s_or_b32 s6, vcc_lo, s6
	s_wait_loadcnt 0x3
	v_fmac_f32_e32 v26, 0, v37
	v_fmac_f32_e32 v29, v34, v37
	;; [unrolled: 1-line block ×4, first 2 shown]
	s_delay_alu instid0(VALU_DEP_4) | instskip(NEXT) | instid1(VALU_DEP_4)
	v_fmac_f32_e32 v26, v33, v38
	v_dual_fmac_f32 v32, v35, v37 :: v_dual_fmac_f32 v29, 0x80000000, v38
	s_delay_alu instid0(VALU_DEP_4) | instskip(NEXT) | instid1(VALU_DEP_4)
	v_dual_fmac_f32 v7, v36, v37 :: v_dual_fmac_f32 v28, v34, v38
	v_fmac_f32_e32 v27, 0x80000000, v38
	s_delay_alu instid0(VALU_DEP_3) | instskip(NEXT) | instid1(VALU_DEP_3)
	v_fmac_f32_e32 v32, 0x80000000, v38
	v_dual_fmac_f32 v30, 0, v37 :: v_dual_fmac_f32 v7, 0x80000000, v38
	v_dual_fmac_f32 v31, 0, v37 :: v_dual_fmac_f32 v26, 0, v39
	s_delay_alu instid0(VALU_DEP_2) | instskip(NEXT) | instid1(VALU_DEP_2)
	v_dual_fmac_f32 v29, v20, v39 :: v_dual_fmac_f32 v30, v35, v38
	v_dual_fmac_f32 v28, 0, v39 :: v_dual_fmac_f32 v31, v36, v38
	s_delay_alu instid0(VALU_DEP_3) | instskip(NEXT) | instid1(VALU_DEP_3)
	v_fmac_f32_e32 v26, v19, v40
	v_dual_fmac_f32 v32, v21, v39 :: v_dual_fmac_f32 v29, 0x80000000, v40
	v_fmac_f32_e32 v7, v22, v39
	s_delay_alu instid0(VALU_DEP_4) | instskip(NEXT) | instid1(VALU_DEP_3)
	v_dual_fmac_f32 v27, v19, v39 :: v_dual_fmac_f32 v28, v20, v40
	v_fmac_f32_e32 v32, 0x80000000, v40
	s_delay_alu instid0(VALU_DEP_3) | instskip(SKIP_3) | instid1(VALU_DEP_2)
	v_dual_fmac_f32 v30, 0, v39 :: v_dual_fmac_f32 v7, 0x80000000, v40
	s_wait_loadcnt 0x2
	v_dual_fmac_f32 v31, 0, v39 :: v_dual_fmac_f32 v26, 0, v41
	s_wait_loadcnt 0x1
	v_dual_fmac_f32 v29, v46, v41 :: v_dual_fmac_f32 v30, v21, v40
	v_fmac_f32_e32 v27, 0x80000000, v40
	s_delay_alu instid0(VALU_DEP_3) | instskip(NEXT) | instid1(VALU_DEP_3)
	v_dual_fmac_f32 v31, v22, v40 :: v_dual_fmac_f32 v26, v45, v42
	v_dual_fmac_f32 v32, v47, v41 :: v_dual_fmac_f32 v29, 0x80000000, v42
	v_fmac_f32_e32 v7, v48, v41
	v_fmac_f32_e32 v28, 0, v41
	s_delay_alu instid0(VALU_DEP_3) | instskip(NEXT) | instid1(VALU_DEP_3)
	v_dual_fmac_f32 v27, v45, v41 :: v_dual_fmac_f32 v32, 0x80000000, v42
	v_dual_fmac_f32 v30, 0, v41 :: v_dual_fmac_f32 v7, 0x80000000, v42
	;; [unrolled: 1-line block ×3, first 2 shown]
	s_wait_loadcnt 0x0
	s_delay_alu instid0(VALU_DEP_2) | instskip(SKIP_1) | instid1(VALU_DEP_3)
	v_dual_fmac_f32 v29, v50, v43 :: v_dual_fmac_f32 v30, v47, v42
	v_fmac_f32_e32 v28, v46, v42
	v_fmac_f32_e32 v31, v48, v42
	v_dual_fmac_f32 v27, 0x80000000, v42 :: v_dual_fmac_f32 v26, v49, v44
	s_delay_alu instid0(VALU_DEP_4) | instskip(SKIP_2) | instid1(VALU_DEP_3)
	v_dual_fmac_f32 v32, v51, v43 :: v_dual_fmac_f32 v29, 0x80000000, v44
	v_fmac_f32_e32 v7, v52, v43
	v_fmac_f32_e32 v28, 0, v43
	v_dual_fmac_f32 v27, v49, v43 :: v_dual_fmac_f32 v32, 0x80000000, v44
	s_delay_alu instid0(VALU_DEP_3) | instskip(NEXT) | instid1(VALU_DEP_3)
	v_dual_fmac_f32 v30, 0, v43 :: v_dual_fmac_f32 v7, 0x80000000, v44
	v_dual_fmac_f32 v31, 0, v43 :: v_dual_fmac_f32 v28, v50, v44
	s_delay_alu instid0(VALU_DEP_3) | instskip(NEXT) | instid1(VALU_DEP_3)
	v_fmac_f32_e32 v27, 0x80000000, v44
	v_fmac_f32_e32 v30, v51, v44
	s_delay_alu instid0(VALU_DEP_3)
	v_fmac_f32_e32 v31, v52, v44
	s_wait_alu 0xfffe
	s_and_not1_b32 exec_lo, exec_lo, s6
	s_cbranch_execnz .LBB126_27
; %bb.28:
	s_or_b32 exec_lo, exec_lo, s6
.LBB126_29:
	s_wait_alu 0xfffe
	s_or_b32 exec_lo, exec_lo, s2
	s_delay_alu instid0(SALU_CYCLE_1)
	s_mov_b32 s2, exec_lo
	v_cmpx_lt_u64_e32 23, v[13:14]
	s_cbranch_execz .LBB126_33
; %bb.30:
	v_lshlrev_b64_e32 v[13:14], 2, v[0:1]
	s_mov_b32 s6, 0
	s_delay_alu instid0(VALU_DEP_1) | instskip(SKIP_1) | instid1(VALU_DEP_2)
	v_add_co_u32 v6, vcc_lo, s8, v13
	s_wait_alu 0xfffd
	v_add_co_ci_u32_e64 v14, null, s9, v14, vcc_lo
	s_delay_alu instid0(VALU_DEP_2) | instskip(SKIP_1) | instid1(VALU_DEP_2)
	v_add_co_u32 v13, vcc_lo, v6, 64
	s_wait_alu 0xfffd
	v_add_co_ci_u32_e64 v14, null, 0, v14, vcc_lo
.LBB126_31:                             ; =>This Inner Loop Header: Depth=1
	s_clause 0x3
	global_load_b32 v6, v[13:14], off offset:-64
	global_load_b32 v23, v[13:14], off offset:-32
	global_load_b32 v24, v[13:14], off
	global_load_b32 v81, v[13:14], off offset:32
	s_clause 0xd
	global_load_b128 v[15:18], v[4:5], off offset:48
	global_load_b128 v[19:22], v[4:5], off offset:32
	;; [unrolled: 1-line block ×3, first 2 shown]
	global_load_b128 v[37:40], v[4:5], off
	global_load_b128 v[41:44], v[4:5], off offset:560
	global_load_b128 v[45:48], v[4:5], off offset:544
	;; [unrolled: 1-line block ×10, first 2 shown]
	s_wait_loadcnt 0x11
	v_subrev_nc_u32_e32 v6, s12, v6
	s_wait_loadcnt 0x10
	v_subrev_nc_u32_e32 v82, s12, v23
	;; [unrolled: 2-line block ×4, first 2 shown]
	v_lshlrev_b32_e32 v23, 2, v6
	v_lshlrev_b32_e32 v81, 2, v82
	v_lshlrev_b32_e32 v83, 2, v24
	s_delay_alu instid0(VALU_DEP_4) | instskip(NEXT) | instid1(VALU_DEP_4)
	v_lshlrev_b32_e32 v85, 2, v84
	v_ashrrev_i32_e32 v24, 31, v23
	s_delay_alu instid0(VALU_DEP_4) | instskip(NEXT) | instid1(VALU_DEP_4)
	v_ashrrev_i32_e32 v82, 31, v81
	v_ashrrev_i32_e32 v84, 31, v83
	s_delay_alu instid0(VALU_DEP_4) | instskip(NEXT) | instid1(VALU_DEP_4)
	v_ashrrev_i32_e32 v86, 31, v85
	v_lshlrev_b64_e32 v[23:24], 3, v[23:24]
	s_delay_alu instid0(VALU_DEP_4) | instskip(NEXT) | instid1(VALU_DEP_4)
	v_lshlrev_b64_e32 v[81:82], 3, v[81:82]
	v_lshlrev_b64_e32 v[83:84], 3, v[83:84]
	s_delay_alu instid0(VALU_DEP_4) | instskip(SKIP_1) | instid1(VALU_DEP_4)
	v_lshlrev_b64_e32 v[85:86], 3, v[85:86]
	s_wait_kmcnt 0x0
	v_add_co_u32 v23, vcc_lo, s4, v23
	s_wait_alu 0xfffd
	v_add_co_ci_u32_e64 v24, null, s5, v24, vcc_lo
	v_add_co_u32 v93, vcc_lo, s4, v81
	s_wait_alu 0xfffd
	v_add_co_ci_u32_e64 v94, null, s5, v82, vcc_lo
	;; [unrolled: 3-line block ×4, first 2 shown]
	s_clause 0x6
	global_load_b128 v[81:84], v[23:24], off
	global_load_b128 v[85:88], v[23:24], off offset:16
	global_load_b128 v[89:92], v[93:94], off
	global_load_b128 v[93:96], v[93:94], off offset:16
	;; [unrolled: 2-line block ×4, first 2 shown]
	global_load_b128 v[113:116], v[113:114], off offset:16
	global_load_b128 v[117:120], v[4:5], off offset:1584
	v_add_co_u32 v4, vcc_lo, 0x800, v4
	s_wait_alu 0xfffd
	v_add_co_ci_u32_e64 v5, null, 0, v5, vcc_lo
	v_add_co_u32 v0, vcc_lo, v0, 32
	s_wait_alu 0xfffd
	v_add_co_ci_u32_e64 v1, null, 0, v1, vcc_lo
	v_add_co_u32 v13, vcc_lo, 0x80, v13
	s_wait_alu 0xfffd
	v_add_co_ci_u32_e64 v14, null, 0, v14, vcc_lo
	s_delay_alu instid0(VALU_DEP_3)
	v_cmp_ge_i64_e32 vcc_lo, v[0:1], v[2:3]
	s_wait_alu 0xfffe
	s_or_b32 s6, vcc_lo, s6
	s_wait_loadcnt 0x9
	v_fmac_f32_e32 v28, 0, v81
	v_fmac_f32_e32 v27, v37, v81
	;; [unrolled: 1-line block ×5, first 2 shown]
	v_dual_fmac_f32 v7, v40, v81 :: v_dual_fmac_f32 v28, v38, v82
	v_dual_fmac_f32 v30, 0, v81 :: v_dual_fmac_f32 v27, 0x80000000, v82
	;; [unrolled: 1-line block ×3, first 2 shown]
	s_delay_alu instid0(VALU_DEP_4) | instskip(NEXT) | instid1(VALU_DEP_3)
	v_fmac_f32_e32 v32, 0x80000000, v82
	v_fmac_f32_e32 v30, v39, v82
	;; [unrolled: 1-line block ×3, first 2 shown]
	s_delay_alu instid0(VALU_DEP_4) | instskip(NEXT) | instid1(VALU_DEP_3)
	v_dual_fmac_f32 v31, v40, v82 :: v_dual_fmac_f32 v28, 0, v83
	v_dual_fmac_f32 v7, 0x80000000, v82 :: v_dual_fmac_f32 v30, 0, v83
	v_fmac_f32_e32 v27, v33, v83
	v_fmac_f32_e32 v26, 0, v83
	v_fmac_f32_e32 v32, v35, v83
	v_fmac_f32_e32 v29, v34, v83
	v_dual_fmac_f32 v31, 0, v83 :: v_dual_fmac_f32 v30, v35, v84
	s_delay_alu instid0(VALU_DEP_3)
	v_dual_fmac_f32 v7, v36, v83 :: v_dual_fmac_f32 v32, 0x80000000, v84
	v_fmac_f32_e32 v26, v33, v84
	v_fmac_f32_e32 v28, v34, v84
	v_fmac_f32_e32 v27, 0x80000000, v84
	v_fmac_f32_e32 v31, v36, v84
	s_wait_loadcnt 0x8
	v_dual_fmac_f32 v29, 0x80000000, v84 :: v_dual_fmac_f32 v32, v21, v85
	v_dual_fmac_f32 v7, 0x80000000, v84 :: v_dual_fmac_f32 v30, 0, v85
	v_fmac_f32_e32 v26, 0, v85
	s_delay_alu instid0(VALU_DEP_3)
	v_fmac_f32_e32 v29, v20, v85
	v_fmac_f32_e32 v28, 0, v85
	;; [unrolled: 1-line block ×3, first 2 shown]
	v_dual_fmac_f32 v31, 0, v85 :: v_dual_fmac_f32 v30, v21, v86
	v_dual_fmac_f32 v7, v22, v85 :: v_dual_fmac_f32 v32, 0x80000000, v86
	v_fmac_f32_e32 v26, v19, v86
	v_fmac_f32_e32 v28, v20, v86
	;; [unrolled: 1-line block ×4, first 2 shown]
	v_dual_fmac_f32 v29, 0x80000000, v86 :: v_dual_fmac_f32 v32, v17, v87
	v_dual_fmac_f32 v7, 0x80000000, v86 :: v_dual_fmac_f32 v30, 0, v87
	v_fmac_f32_e32 v26, 0, v87
	s_delay_alu instid0(VALU_DEP_3)
	v_fmac_f32_e32 v29, v16, v87
	v_fmac_f32_e32 v28, 0, v87
	;; [unrolled: 1-line block ×3, first 2 shown]
	v_dual_fmac_f32 v31, 0, v87 :: v_dual_fmac_f32 v30, v17, v88
	v_dual_fmac_f32 v7, v18, v87 :: v_dual_fmac_f32 v32, 0x80000000, v88
	v_fmac_f32_e32 v26, v15, v88
	v_fmac_f32_e32 v28, v16, v88
	;; [unrolled: 1-line block ×4, first 2 shown]
	s_wait_loadcnt 0x7
	v_dual_fmac_f32 v29, 0x80000000, v88 :: v_dual_fmac_f32 v32, v55, v89
	v_dual_fmac_f32 v7, 0x80000000, v88 :: v_dual_fmac_f32 v30, 0, v89
	v_fmac_f32_e32 v26, 0, v89
	s_delay_alu instid0(VALU_DEP_3)
	v_fmac_f32_e32 v29, v54, v89
	v_fmac_f32_e32 v28, 0, v89
	v_fmac_f32_e32 v27, v53, v89
	v_dual_fmac_f32 v7, v56, v89 :: v_dual_fmac_f32 v32, 0x80000000, v90
	v_dual_fmac_f32 v31, 0, v89 :: v_dual_fmac_f32 v30, v55, v90
	v_fmac_f32_e32 v26, v53, v90
	v_fmac_f32_e32 v28, v54, v90
	v_fmac_f32_e32 v27, 0x80000000, v90
	v_fmac_f32_e32 v29, 0x80000000, v90
	v_dual_fmac_f32 v7, 0x80000000, v90 :: v_dual_fmac_f32 v32, v51, v91
	v_dual_fmac_f32 v31, v56, v90 :: v_dual_fmac_f32 v30, 0, v91
	v_fmac_f32_e32 v26, 0, v91
	v_fmac_f32_e32 v28, 0, v91
	v_fmac_f32_e32 v27, v49, v91
	v_fmac_f32_e32 v29, v50, v91
	v_dual_fmac_f32 v7, v52, v91 :: v_dual_fmac_f32 v32, 0x80000000, v92
	v_dual_fmac_f32 v31, 0, v91 :: v_dual_fmac_f32 v30, v51, v92
	v_fmac_f32_e32 v26, v49, v92
	v_fmac_f32_e32 v28, v50, v92
	v_fmac_f32_e32 v27, 0x80000000, v92
	v_fmac_f32_e32 v29, 0x80000000, v92
	s_wait_loadcnt 0x6
	v_dual_fmac_f32 v7, 0x80000000, v92 :: v_dual_fmac_f32 v32, v47, v93
	v_dual_fmac_f32 v31, v52, v92 :: v_dual_fmac_f32 v30, 0, v93
	v_fmac_f32_e32 v26, 0, v93
	v_fmac_f32_e32 v28, 0, v93
	v_fmac_f32_e32 v27, v45, v93
	v_fmac_f32_e32 v29, v46, v93
	v_dual_fmac_f32 v7, v48, v93 :: v_dual_fmac_f32 v32, 0x80000000, v94
	v_dual_fmac_f32 v31, 0, v93 :: v_dual_fmac_f32 v30, v47, v94
	v_fmac_f32_e32 v26, v45, v94
	v_fmac_f32_e32 v28, v46, v94
	v_fmac_f32_e32 v27, 0x80000000, v94
	v_fmac_f32_e32 v29, 0x80000000, v94
	v_dual_fmac_f32 v7, 0x80000000, v94 :: v_dual_fmac_f32 v32, v43, v95
	v_dual_fmac_f32 v31, v48, v94 :: v_dual_fmac_f32 v30, 0, v95
	v_fmac_f32_e32 v26, 0, v95
	v_fmac_f32_e32 v28, 0, v95
	v_fmac_f32_e32 v27, v41, v95
	v_fmac_f32_e32 v29, v42, v95
	v_dual_fmac_f32 v7, v44, v95 :: v_dual_fmac_f32 v32, 0x80000000, v96
	v_dual_fmac_f32 v31, 0, v95 :: v_dual_fmac_f32 v30, v43, v96
	v_fmac_f32_e32 v26, v41, v96
	v_fmac_f32_e32 v28, v42, v96
	v_fmac_f32_e32 v27, 0x80000000, v96
	v_fmac_f32_e32 v29, 0x80000000, v96
	s_wait_loadcnt 0x5
	v_dual_fmac_f32 v7, 0x80000000, v96 :: v_dual_fmac_f32 v32, v71, v97
	v_dual_fmac_f32 v31, v44, v96 :: v_dual_fmac_f32 v30, 0, v97
	v_fmac_f32_e32 v26, 0, v97
	;; [unrolled: 25-line block ×5, first 2 shown]
	v_fmac_f32_e32 v28, 0, v113
	v_fmac_f32_e32 v27, v109, v113
	;; [unrolled: 1-line block ×3, first 2 shown]
	v_dual_fmac_f32 v7, v112, v113 :: v_dual_fmac_f32 v32, 0x80000000, v114
	v_dual_fmac_f32 v31, 0, v113 :: v_dual_fmac_f32 v30, v111, v114
	v_fmac_f32_e32 v26, v109, v114
	v_fmac_f32_e32 v28, v110, v114
	v_fmac_f32_e32 v27, 0x80000000, v114
	v_fmac_f32_e32 v29, 0x80000000, v114
	s_wait_loadcnt 0x0
	v_dual_fmac_f32 v7, 0x80000000, v114 :: v_dual_fmac_f32 v32, v119, v115
	v_dual_fmac_f32 v31, v112, v114 :: v_dual_fmac_f32 v30, 0, v115
	v_fmac_f32_e32 v26, 0, v115
	v_fmac_f32_e32 v28, 0, v115
	;; [unrolled: 1-line block ×4, first 2 shown]
	v_dual_fmac_f32 v7, v120, v115 :: v_dual_fmac_f32 v32, 0x80000000, v116
	v_dual_fmac_f32 v31, 0, v115 :: v_dual_fmac_f32 v30, v119, v116
	v_fmac_f32_e32 v26, v117, v116
	s_delay_alu instid0(VALU_DEP_4)
	v_fmac_f32_e32 v29, 0x80000000, v116
	v_fmac_f32_e32 v28, v118, v116
	;; [unrolled: 1-line block ×5, first 2 shown]
	s_wait_alu 0xfffe
	s_and_not1_b32 exec_lo, exec_lo, s6
	s_cbranch_execnz .LBB126_31
; %bb.32:
	s_or_b32 exec_lo, exec_lo, s6
.LBB126_33:
	s_wait_alu 0xfffe
	s_or_b32 exec_lo, exec_lo, s2
.LBB126_34:
	s_wait_alu 0xfffe
	s_or_b32 exec_lo, exec_lo, s3
.LBB126_35:
	v_mbcnt_lo_u32_b32 v0, -1, 0
	s_delay_alu instid0(VALU_DEP_1) | instskip(SKIP_2) | instid1(VALU_DEP_3)
	v_xor_b32_e32 v1, 4, v0
	v_xor_b32_e32 v15, 2, v0
	;; [unrolled: 1-line block ×3, first 2 shown]
	v_cmp_gt_i32_e32 vcc_lo, 32, v1
	s_wait_alu 0xfffd
	v_cndmask_b32_e32 v1, v0, v1, vcc_lo
	v_cmp_gt_i32_e32 vcc_lo, 32, v15
	s_delay_alu instid0(VALU_DEP_2)
	v_lshlrev_b32_e32 v1, 2, v1
	ds_bpermute_b32 v4, v1, v29
	s_wait_dscnt 0x0
	v_add_f32_e32 v4, v29, v4
	ds_bpermute_b32 v2, v1, v27
	ds_bpermute_b32 v3, v1, v26
	;; [unrolled: 1-line block ×7, first 2 shown]
	s_wait_alu 0xfffd
	v_cndmask_b32_e32 v15, v0, v15, vcc_lo
	v_cmp_gt_i32_e32 vcc_lo, 32, v22
	s_wait_alu 0xfffd
	v_cndmask_b32_e32 v0, v0, v22, vcc_lo
	v_cmp_eq_u32_e32 vcc_lo, 7, v25
	s_delay_alu instid0(VALU_DEP_2)
	v_lshlrev_b32_e32 v22, 2, v0
	s_wait_dscnt 0x5
	v_dual_add_f32 v2, v27, v2 :: v_dual_add_f32 v3, v26, v3
	s_wait_dscnt 0x4
	v_add_f32_e32 v5, v28, v5
	s_wait_dscnt 0x2
	v_dual_add_f32 v6, v32, v6 :: v_dual_add_f32 v13, v30, v13
	s_wait_dscnt 0x1
	v_add_f32_e32 v7, v7, v14
	s_wait_dscnt 0x0
	v_dual_add_f32 v14, v31, v1 :: v_dual_lshlrev_b32 v15, 2, v15
	ds_bpermute_b32 v1, v15, v2
	ds_bpermute_b32 v16, v15, v3
	;; [unrolled: 1-line block ×6, first 2 shown]
	s_wait_dscnt 0x5
	v_add_f32_e32 v0, v2, v1
	ds_bpermute_b32 v21, v15, v7
	ds_bpermute_b32 v15, v15, v14
	s_wait_dscnt 0x5
	v_dual_add_f32 v1, v3, v16 :: v_dual_add_f32 v2, v4, v17
	s_wait_dscnt 0x3
	v_dual_add_f32 v3, v5, v18 :: v_dual_add_f32 v4, v6, v19
	s_wait_dscnt 0x2
	v_add_f32_e32 v5, v13, v20
	ds_bpermute_b32 v13, v22, v0
	ds_bpermute_b32 v16, v22, v3
	ds_bpermute_b32 v17, v22, v4
	s_wait_dscnt 0x3
	v_dual_add_f32 v6, v7, v21 :: v_dual_add_f32 v7, v14, v15
	ds_bpermute_b32 v14, v22, v1
	ds_bpermute_b32 v15, v22, v2
	ds_bpermute_b32 v18, v22, v5
	ds_bpermute_b32 v19, v22, v6
	ds_bpermute_b32 v20, v22, v7
	s_and_b32 exec_lo, exec_lo, vcc_lo
	s_cbranch_execz .LBB126_8
; %bb.36:
	s_load_b64 s[2:3], s[0:1], 0x50
	s_wait_dscnt 0x4
	v_dual_add_f32 v13, v0, v13 :: v_dual_add_f32 v0, v1, v14
	s_wait_dscnt 0x3
	v_dual_add_f32 v14, v2, v15 :: v_dual_add_f32 v1, v3, v16
	;; [unrolled: 2-line block ×4, first 2 shown]
	v_mul_f32_e64 v4, v0, -v11
	v_mul_f32_e32 v5, v10, v0
	v_mul_f32_e64 v6, v1, -v11
	v_dual_mul_f32 v7, v10, v1 :: v_dual_lshlrev_b32 v12, 2, v12
	v_mul_f32_e64 v0, v2, -v11
	v_mul_f32_e32 v1, v10, v2
	v_mul_f32_e64 v2, v3, -v11
	v_mul_f32_e32 v3, v10, v3
	v_cmp_eq_f32_e32 vcc_lo, 0, v8
	v_cmp_eq_f32_e64 s0, 0, v9
	v_dual_fmac_f32 v4, v10, v13 :: v_dual_fmac_f32 v7, v11, v14
	v_dual_fmac_f32 v5, v11, v13 :: v_dual_fmac_f32 v6, v10, v14
	;; [unrolled: 1-line block ×4, first 2 shown]
	s_and_b32 s0, vcc_lo, s0
	s_wait_alu 0xfffe
	s_and_saveexec_b32 s1, s0
	s_wait_alu 0xfffe
	s_xor_b32 s0, exec_lo, s1
	s_cbranch_execz .LBB126_38
; %bb.37:
	v_ashrrev_i32_e32 v13, 31, v12
	s_delay_alu instid0(VALU_DEP_1) | instskip(SKIP_1) | instid1(VALU_DEP_1)
	v_lshlrev_b64_e32 v[8:9], 3, v[12:13]
                                        ; implicit-def: $vgpr12
	s_wait_kmcnt 0x0
	v_add_co_u32 v8, vcc_lo, s2, v8
	s_wait_alu 0xfffd
	s_delay_alu instid0(VALU_DEP_2)
	v_add_co_ci_u32_e64 v9, null, s3, v9, vcc_lo
	s_clause 0x1
	global_store_b128 v[8:9], v[4:7], off
	global_store_b128 v[8:9], v[0:3], off offset:16
                                        ; implicit-def: $vgpr8_vgpr9
                                        ; implicit-def: $vgpr4
                                        ; implicit-def: $vgpr0
.LBB126_38:
	s_wait_alu 0xfffe
	s_and_not1_saveexec_b32 s0, s0
	s_cbranch_execz .LBB126_8
; %bb.39:
	v_ashrrev_i32_e32 v13, 31, v12
	s_delay_alu instid0(VALU_DEP_1) | instskip(SKIP_1) | instid1(VALU_DEP_1)
	v_lshlrev_b64_e32 v[10:11], 3, v[12:13]
	s_wait_kmcnt 0x0
	v_add_co_u32 v18, vcc_lo, s2, v10
	s_wait_alu 0xfffd
	s_delay_alu instid0(VALU_DEP_2)
	v_add_co_ci_u32_e64 v19, null, s3, v11, vcc_lo
	s_clause 0x1
	global_load_b128 v[10:13], v[18:19], off
	global_load_b128 v[14:17], v[18:19], off offset:16
	s_wait_loadcnt 0x1
	v_dual_fmac_f32 v4, v8, v10 :: v_dual_fmac_f32 v7, v9, v12
	v_dual_fmac_f32 v5, v9, v10 :: v_dual_fmac_f32 v6, v8, v12
	s_wait_loadcnt 0x0
	v_dual_fmac_f32 v0, v8, v14 :: v_dual_fmac_f32 v3, v9, v16
	v_dual_fmac_f32 v1, v9, v14 :: v_dual_fmac_f32 v2, v8, v16
	v_fma_f32 v4, -v9, v11, v4
	v_fmac_f32_e32 v5, v8, v11
	v_fma_f32 v6, -v9, v13, v6
	v_fmac_f32_e32 v7, v8, v13
	;; [unrolled: 2-line block ×4, first 2 shown]
	s_clause 0x1
	global_store_b128 v[18:19], v[4:7], off
	global_store_b128 v[18:19], v[0:3], off offset:16
	s_nop 0
	s_sendmsg sendmsg(MSG_DEALLOC_VGPRS)
	s_endpgm
	.section	.rodata,"a",@progbits
	.p2align	6, 0x0
	.amdhsa_kernel _ZN9rocsparseL18bsrxmvn_4x4_kernelILj128ELj8E21rocsparse_complex_numIfElifS2_S2_EEvT3_20rocsparse_direction_NS_24const_host_device_scalarIT1_EES3_PKS3_PKT2_SC_S9_PKT4_PKT5_S7_PT6_21rocsparse_index_base_b
		.amdhsa_group_segment_fixed_size 0
		.amdhsa_private_segment_fixed_size 0
		.amdhsa_kernarg_size 96
		.amdhsa_user_sgpr_count 2
		.amdhsa_user_sgpr_dispatch_ptr 0
		.amdhsa_user_sgpr_queue_ptr 0
		.amdhsa_user_sgpr_kernarg_segment_ptr 1
		.amdhsa_user_sgpr_dispatch_id 0
		.amdhsa_user_sgpr_private_segment_size 0
		.amdhsa_wavefront_size32 1
		.amdhsa_uses_dynamic_stack 0
		.amdhsa_enable_private_segment 0
		.amdhsa_system_sgpr_workgroup_id_x 1
		.amdhsa_system_sgpr_workgroup_id_y 0
		.amdhsa_system_sgpr_workgroup_id_z 0
		.amdhsa_system_sgpr_workgroup_info 0
		.amdhsa_system_vgpr_workitem_id 0
		.amdhsa_next_free_vgpr 125
		.amdhsa_next_free_sgpr 14
		.amdhsa_reserve_vcc 1
		.amdhsa_float_round_mode_32 0
		.amdhsa_float_round_mode_16_64 0
		.amdhsa_float_denorm_mode_32 3
		.amdhsa_float_denorm_mode_16_64 3
		.amdhsa_fp16_overflow 0
		.amdhsa_workgroup_processor_mode 1
		.amdhsa_memory_ordered 1
		.amdhsa_forward_progress 1
		.amdhsa_inst_pref_size 62
		.amdhsa_round_robin_scheduling 0
		.amdhsa_exception_fp_ieee_invalid_op 0
		.amdhsa_exception_fp_denorm_src 0
		.amdhsa_exception_fp_ieee_div_zero 0
		.amdhsa_exception_fp_ieee_overflow 0
		.amdhsa_exception_fp_ieee_underflow 0
		.amdhsa_exception_fp_ieee_inexact 0
		.amdhsa_exception_int_div_zero 0
	.end_amdhsa_kernel
	.section	.text._ZN9rocsparseL18bsrxmvn_4x4_kernelILj128ELj8E21rocsparse_complex_numIfElifS2_S2_EEvT3_20rocsparse_direction_NS_24const_host_device_scalarIT1_EES3_PKS3_PKT2_SC_S9_PKT4_PKT5_S7_PT6_21rocsparse_index_base_b,"axG",@progbits,_ZN9rocsparseL18bsrxmvn_4x4_kernelILj128ELj8E21rocsparse_complex_numIfElifS2_S2_EEvT3_20rocsparse_direction_NS_24const_host_device_scalarIT1_EES3_PKS3_PKT2_SC_S9_PKT4_PKT5_S7_PT6_21rocsparse_index_base_b,comdat
.Lfunc_end126:
	.size	_ZN9rocsparseL18bsrxmvn_4x4_kernelILj128ELj8E21rocsparse_complex_numIfElifS2_S2_EEvT3_20rocsparse_direction_NS_24const_host_device_scalarIT1_EES3_PKS3_PKT2_SC_S9_PKT4_PKT5_S7_PT6_21rocsparse_index_base_b, .Lfunc_end126-_ZN9rocsparseL18bsrxmvn_4x4_kernelILj128ELj8E21rocsparse_complex_numIfElifS2_S2_EEvT3_20rocsparse_direction_NS_24const_host_device_scalarIT1_EES3_PKS3_PKT2_SC_S9_PKT4_PKT5_S7_PT6_21rocsparse_index_base_b
                                        ; -- End function
	.set _ZN9rocsparseL18bsrxmvn_4x4_kernelILj128ELj8E21rocsparse_complex_numIfElifS2_S2_EEvT3_20rocsparse_direction_NS_24const_host_device_scalarIT1_EES3_PKS3_PKT2_SC_S9_PKT4_PKT5_S7_PT6_21rocsparse_index_base_b.num_vgpr, 125
	.set _ZN9rocsparseL18bsrxmvn_4x4_kernelILj128ELj8E21rocsparse_complex_numIfElifS2_S2_EEvT3_20rocsparse_direction_NS_24const_host_device_scalarIT1_EES3_PKS3_PKT2_SC_S9_PKT4_PKT5_S7_PT6_21rocsparse_index_base_b.num_agpr, 0
	.set _ZN9rocsparseL18bsrxmvn_4x4_kernelILj128ELj8E21rocsparse_complex_numIfElifS2_S2_EEvT3_20rocsparse_direction_NS_24const_host_device_scalarIT1_EES3_PKS3_PKT2_SC_S9_PKT4_PKT5_S7_PT6_21rocsparse_index_base_b.numbered_sgpr, 14
	.set _ZN9rocsparseL18bsrxmvn_4x4_kernelILj128ELj8E21rocsparse_complex_numIfElifS2_S2_EEvT3_20rocsparse_direction_NS_24const_host_device_scalarIT1_EES3_PKS3_PKT2_SC_S9_PKT4_PKT5_S7_PT6_21rocsparse_index_base_b.num_named_barrier, 0
	.set _ZN9rocsparseL18bsrxmvn_4x4_kernelILj128ELj8E21rocsparse_complex_numIfElifS2_S2_EEvT3_20rocsparse_direction_NS_24const_host_device_scalarIT1_EES3_PKS3_PKT2_SC_S9_PKT4_PKT5_S7_PT6_21rocsparse_index_base_b.private_seg_size, 0
	.set _ZN9rocsparseL18bsrxmvn_4x4_kernelILj128ELj8E21rocsparse_complex_numIfElifS2_S2_EEvT3_20rocsparse_direction_NS_24const_host_device_scalarIT1_EES3_PKS3_PKT2_SC_S9_PKT4_PKT5_S7_PT6_21rocsparse_index_base_b.uses_vcc, 1
	.set _ZN9rocsparseL18bsrxmvn_4x4_kernelILj128ELj8E21rocsparse_complex_numIfElifS2_S2_EEvT3_20rocsparse_direction_NS_24const_host_device_scalarIT1_EES3_PKS3_PKT2_SC_S9_PKT4_PKT5_S7_PT6_21rocsparse_index_base_b.uses_flat_scratch, 0
	.set _ZN9rocsparseL18bsrxmvn_4x4_kernelILj128ELj8E21rocsparse_complex_numIfElifS2_S2_EEvT3_20rocsparse_direction_NS_24const_host_device_scalarIT1_EES3_PKS3_PKT2_SC_S9_PKT4_PKT5_S7_PT6_21rocsparse_index_base_b.has_dyn_sized_stack, 0
	.set _ZN9rocsparseL18bsrxmvn_4x4_kernelILj128ELj8E21rocsparse_complex_numIfElifS2_S2_EEvT3_20rocsparse_direction_NS_24const_host_device_scalarIT1_EES3_PKS3_PKT2_SC_S9_PKT4_PKT5_S7_PT6_21rocsparse_index_base_b.has_recursion, 0
	.set _ZN9rocsparseL18bsrxmvn_4x4_kernelILj128ELj8E21rocsparse_complex_numIfElifS2_S2_EEvT3_20rocsparse_direction_NS_24const_host_device_scalarIT1_EES3_PKS3_PKT2_SC_S9_PKT4_PKT5_S7_PT6_21rocsparse_index_base_b.has_indirect_call, 0
	.section	.AMDGPU.csdata,"",@progbits
; Kernel info:
; codeLenInByte = 7812
; TotalNumSgprs: 16
; NumVgprs: 125
; ScratchSize: 0
; MemoryBound: 0
; FloatMode: 240
; IeeeMode: 1
; LDSByteSize: 0 bytes/workgroup (compile time only)
; SGPRBlocks: 0
; VGPRBlocks: 15
; NumSGPRsForWavesPerEU: 16
; NumVGPRsForWavesPerEU: 125
; Occupancy: 10
; WaveLimiterHint : 1
; COMPUTE_PGM_RSRC2:SCRATCH_EN: 0
; COMPUTE_PGM_RSRC2:USER_SGPR: 2
; COMPUTE_PGM_RSRC2:TRAP_HANDLER: 0
; COMPUTE_PGM_RSRC2:TGID_X_EN: 1
; COMPUTE_PGM_RSRC2:TGID_Y_EN: 0
; COMPUTE_PGM_RSRC2:TGID_Z_EN: 0
; COMPUTE_PGM_RSRC2:TIDIG_COMP_CNT: 0
	.section	.text._ZN9rocsparseL18bsrxmvn_4x4_kernelILj128ELj16E21rocsparse_complex_numIfElifS2_S2_EEvT3_20rocsparse_direction_NS_24const_host_device_scalarIT1_EES3_PKS3_PKT2_SC_S9_PKT4_PKT5_S7_PT6_21rocsparse_index_base_b,"axG",@progbits,_ZN9rocsparseL18bsrxmvn_4x4_kernelILj128ELj16E21rocsparse_complex_numIfElifS2_S2_EEvT3_20rocsparse_direction_NS_24const_host_device_scalarIT1_EES3_PKS3_PKT2_SC_S9_PKT4_PKT5_S7_PT6_21rocsparse_index_base_b,comdat
	.globl	_ZN9rocsparseL18bsrxmvn_4x4_kernelILj128ELj16E21rocsparse_complex_numIfElifS2_S2_EEvT3_20rocsparse_direction_NS_24const_host_device_scalarIT1_EES3_PKS3_PKT2_SC_S9_PKT4_PKT5_S7_PT6_21rocsparse_index_base_b ; -- Begin function _ZN9rocsparseL18bsrxmvn_4x4_kernelILj128ELj16E21rocsparse_complex_numIfElifS2_S2_EEvT3_20rocsparse_direction_NS_24const_host_device_scalarIT1_EES3_PKS3_PKT2_SC_S9_PKT4_PKT5_S7_PT6_21rocsparse_index_base_b
	.p2align	8
	.type	_ZN9rocsparseL18bsrxmvn_4x4_kernelILj128ELj16E21rocsparse_complex_numIfElifS2_S2_EEvT3_20rocsparse_direction_NS_24const_host_device_scalarIT1_EES3_PKS3_PKT2_SC_S9_PKT4_PKT5_S7_PT6_21rocsparse_index_base_b,@function
_ZN9rocsparseL18bsrxmvn_4x4_kernelILj128ELj16E21rocsparse_complex_numIfElifS2_S2_EEvT3_20rocsparse_direction_NS_24const_host_device_scalarIT1_EES3_PKS3_PKT2_SC_S9_PKT4_PKT5_S7_PT6_21rocsparse_index_base_b: ; @_ZN9rocsparseL18bsrxmvn_4x4_kernelILj128ELj16E21rocsparse_complex_numIfElifS2_S2_EEvT3_20rocsparse_direction_NS_24const_host_device_scalarIT1_EES3_PKS3_PKT2_SC_S9_PKT4_PKT5_S7_PT6_21rocsparse_index_base_b
; %bb.0:
	s_clause 0x2
	s_load_b64 s[12:13], s[0:1], 0x58
	s_load_b64 s[2:3], s[0:1], 0x8
	;; [unrolled: 1-line block ×3, first 2 shown]
	s_add_nc_u64 s[6:7], s[0:1], 8
	s_wait_kmcnt 0x0
	s_bitcmp1_b32 s13, 0
	s_cselect_b32 s2, s6, s2
	s_cselect_b32 s3, s7, s3
	s_delay_alu instid0(SALU_CYCLE_1)
	v_dual_mov_b32 v1, s2 :: v_dual_mov_b32 v2, s3
	s_add_nc_u64 s[2:3], s[0:1], 0x48
	s_wait_alu 0xfffe
	s_cselect_b32 s2, s2, s4
	s_cselect_b32 s3, s3, s5
	flat_load_b64 v[10:11], v[1:2]
	s_wait_alu 0xfffe
	v_dual_mov_b32 v1, s2 :: v_dual_mov_b32 v2, s3
	flat_load_b64 v[8:9], v[1:2]
	s_wait_loadcnt_dscnt 0x101
	v_cmp_eq_f32_e32 vcc_lo, 0, v10
	v_cmp_eq_f32_e64 s2, 0, v11
	s_and_b32 s4, vcc_lo, s2
	s_mov_b32 s2, -1
	s_and_saveexec_b32 s3, s4
	s_cbranch_execz .LBB127_2
; %bb.1:
	s_wait_loadcnt_dscnt 0x0
	v_cmp_neq_f32_e32 vcc_lo, 1.0, v8
	v_cmp_neq_f32_e64 s2, 0, v9
	s_wait_alu 0xfffe
	s_or_b32 s2, vcc_lo, s2
	s_wait_alu 0xfffe
	s_or_not1_b32 s2, s2, exec_lo
.LBB127_2:
	s_wait_alu 0xfffe
	s_or_b32 exec_lo, exec_lo, s3
	s_and_saveexec_b32 s3, s2
	s_cbranch_execz .LBB127_8
; %bb.3:
	s_clause 0x1
	s_load_b64 s[4:5], s[0:1], 0x18
	s_load_b64 s[2:3], s[0:1], 0x0
	v_lshrrev_b32_e32 v1, 4, v0
	s_delay_alu instid0(VALU_DEP_1)
	v_lshl_or_b32 v12, ttmp9, 3, v1
	s_wait_kmcnt 0x0
	s_cmp_lg_u64 s[4:5], 0
	s_cbranch_scc0 .LBB127_9
; %bb.4:
	s_load_b32 s6, s[0:1], 0x10
	s_mov_b32 s7, 0
                                        ; implicit-def: $vgpr1
	s_wait_kmcnt 0x0
	v_cmp_gt_i32_e32 vcc_lo, s6, v12
	s_mov_b32 s6, 0
	s_and_saveexec_b32 s8, vcc_lo
	s_delay_alu instid0(SALU_CYCLE_1)
	s_xor_b32 s8, exec_lo, s8
	s_cbranch_execz .LBB127_6
; %bb.5:
	v_ashrrev_i32_e32 v13, 31, v12
	s_mov_b32 s6, exec_lo
	s_delay_alu instid0(VALU_DEP_1) | instskip(NEXT) | instid1(VALU_DEP_1)
	v_lshlrev_b64_e32 v[1:2], 2, v[12:13]
	v_add_co_u32 v1, vcc_lo, s4, v1
	s_delay_alu instid0(VALU_DEP_1)
	v_add_co_ci_u32_e64 v2, null, s5, v2, vcc_lo
	global_load_b32 v1, v[1:2], off
	s_wait_loadcnt 0x0
	v_subrev_nc_u32_e32 v1, s12, v1
.LBB127_6:
	s_or_b32 exec_lo, exec_lo, s8
	s_delay_alu instid0(SALU_CYCLE_1)
	s_and_b32 vcc_lo, exec_lo, s7
	s_wait_alu 0xfffe
	s_cbranch_vccz .LBB127_10
.LBB127_7:
	v_cmp_gt_i32_e32 vcc_lo, s2, v12
	s_and_not1_b32 s2, s6, exec_lo
	s_and_b32 s4, vcc_lo, exec_lo
	s_wait_alu 0xfffe
	s_or_b32 s6, s2, s4
	s_wait_alu 0xfffe
	s_and_b32 exec_lo, exec_lo, s6
	s_cbranch_execnz .LBB127_11
.LBB127_8:
	s_nop 0
	s_sendmsg sendmsg(MSG_DEALLOC_VGPRS)
	s_endpgm
.LBB127_9:
	s_mov_b32 s6, 0
                                        ; implicit-def: $vgpr1
	s_cbranch_execnz .LBB127_7
.LBB127_10:
	v_mov_b32_e32 v12, v1
	s_and_b32 exec_lo, exec_lo, s6
	s_cbranch_execz .LBB127_8
.LBB127_11:
	s_load_b256 s[4:11], s[0:1], 0x20
	s_delay_alu instid0(VALU_DEP_1) | instskip(SKIP_1) | instid1(VALU_DEP_2)
	v_ashrrev_i32_e32 v13, 31, v12
	v_dual_mov_b32 v26, 0 :: v_dual_and_b32 v25, 15, v0
	v_lshlrev_b64_e32 v[1:2], 3, v[12:13]
	s_wait_kmcnt 0x0
	s_delay_alu instid0(VALU_DEP_1) | instskip(SKIP_1) | instid1(VALU_DEP_2)
	v_add_co_u32 v3, vcc_lo, s4, v1
	s_wait_alu 0xfffd
	v_add_co_ci_u32_e64 v4, null, s5, v2, vcc_lo
	v_add_co_u32 v1, vcc_lo, s6, v1
	s_wait_alu 0xfffd
	v_add_co_ci_u32_e64 v2, null, s7, v2, vcc_lo
	v_add_co_u32 v5, vcc_lo, v3, 8
	global_load_b64 v[13:14], v[3:4], off
	s_wait_alu 0xfffd
	v_add_co_ci_u32_e64 v6, null, 0, v4, vcc_lo
	s_cmp_eq_u64 s[6:7], 0
	s_load_b64 s[4:5], s[0:1], 0x40
	s_cselect_b32 vcc_lo, -1, 0
	s_cmp_eq_u32 s3, 1
	s_wait_alu 0xfffe
	v_dual_cndmask_b32 v2, v2, v6 :: v_dual_cndmask_b32 v1, v1, v5
	global_load_b64 v[2:3], v[1:2], off
	s_wait_loadcnt 0x1
	v_sub_co_u32 v0, vcc_lo, v13, s12
	s_wait_alu 0xfffd
	v_subrev_co_ci_u32_e64 v1, null, 0, v14, vcc_lo
	s_delay_alu instid0(VALU_DEP_2) | instskip(SKIP_1) | instid1(VALU_DEP_2)
	v_add_co_u32 v0, vcc_lo, v0, v25
	s_wait_alu 0xfffd
	v_add_co_ci_u32_e64 v1, null, 0, v1, vcc_lo
	s_delay_alu instid0(VALU_DEP_1) | instskip(SKIP_4) | instid1(VALU_DEP_3)
	v_lshlrev_b64_e32 v[4:5], 6, v[0:1]
	s_wait_loadcnt 0x0
	v_sub_co_u32 v2, vcc_lo, v2, s12
	s_wait_alu 0xfffd
	v_subrev_co_ci_u32_e64 v3, null, 0, v3, vcc_lo
	v_add_co_u32 v4, vcc_lo, s10, v4
	s_delay_alu instid0(VALU_DEP_2)
	v_cmp_lt_i64_e64 s2, v[0:1], v[2:3]
	s_wait_alu 0xfffd
	v_add_co_ci_u32_e64 v5, null, s11, v5, vcc_lo
	s_cbranch_scc1 .LBB127_23
; %bb.12:
	v_dual_mov_b32 v27, 0 :: v_dual_mov_b32 v28, 0
	v_dual_mov_b32 v29, 0 :: v_dual_mov_b32 v30, 0
	;; [unrolled: 1-line block ×3, first 2 shown]
	v_mov_b32_e32 v7, 0
	s_and_saveexec_b32 s3, s2
	s_cbranch_execz .LBB127_22
; %bb.13:
	v_or_b32_e32 v6, 16, v25
	v_not_b32_e32 v17, v13
	s_delay_alu instid0(VALU_DEP_2) | instskip(SKIP_3) | instid1(VALU_DEP_3)
	v_sub_co_u32 v6, s6, v6, s12
	s_wait_alu 0xf1ff
	v_sub_co_ci_u32_e64 v7, null, 0, 0, s6
	v_sub_co_u32 v18, s6, s12, v25
	v_add_co_u32 v15, vcc_lo, v6, v13
	s_wait_alu 0xfffd
	s_delay_alu instid0(VALU_DEP_3) | instskip(SKIP_3) | instid1(VALU_DEP_3)
	v_add_co_ci_u32_e64 v16, null, v7, v14, vcc_lo
	v_not_b32_e32 v6, v14
	s_wait_alu 0xf1ff
	v_sub_co_ci_u32_e64 v19, null, 0, 0, s6
	v_cmp_gt_i64_e32 vcc_lo, v[15:16], v[2:3]
	v_mov_b32_e32 v7, 0
	s_mov_b32 s6, exec_lo
	s_wait_alu 0xfffd
	v_dual_cndmask_b32 v16, v3, v16 :: v_dual_cndmask_b32 v15, v2, v15
	s_delay_alu instid0(VALU_DEP_2) | instskip(SKIP_4) | instid1(VALU_DEP_3)
	v_mov_b32_e32 v32, v7
	v_add_co_u32 v17, vcc_lo, v18, v17
	s_wait_alu 0xfffd
	v_add_co_ci_u32_e64 v6, null, v19, v6, vcc_lo
	v_dual_mov_b32 v31, v7 :: v_dual_mov_b32 v30, v7
	v_add_co_u32 v19, vcc_lo, v17, v15
	s_wait_alu 0xfffd
	s_delay_alu instid0(VALU_DEP_3)
	v_add_co_ci_u32_e64 v20, null, v6, v16, vcc_lo
	v_mov_b32_e32 v16, v5
	v_mov_b32_e32 v18, v1
	v_dual_mov_b32 v29, v7 :: v_dual_and_b32 v6, 48, v19
	v_dual_mov_b32 v28, v7 :: v_dual_mov_b32 v27, v7
	v_dual_mov_b32 v26, v7 :: v_dual_mov_b32 v15, v4
	v_mov_b32_e32 v17, v0
	s_delay_alu instid0(VALU_DEP_4)
	v_cmpx_ne_u64_e32 48, v[6:7]
	s_cbranch_execz .LBB127_17
; %bb.14:
	v_lshrrev_b32_e32 v6, 4, v19
	v_mov_b32_e32 v26, 0
	v_dual_mov_b32 v18, v1 :: v_dual_mov_b32 v17, v0
	v_dual_mov_b32 v16, v5 :: v_dual_mov_b32 v15, v4
	s_delay_alu instid0(VALU_DEP_4) | instskip(SKIP_2) | instid1(VALU_DEP_3)
	v_add_nc_u32_e32 v21, 1, v6
	v_lshlrev_b64_e32 v[6:7], 2, v[0:1]
	v_dual_mov_b32 v27, 0 :: v_dual_mov_b32 v28, 0
	v_dual_mov_b32 v30, 0 :: v_dual_and_b32 v23, 3, v21
	v_dual_mov_b32 v29, 0 :: v_dual_mov_b32 v32, 0
	s_delay_alu instid0(VALU_DEP_4) | instskip(NEXT) | instid1(VALU_DEP_3)
	v_add_co_u32 v21, vcc_lo, s8, v6
	v_sub_co_u32 v23, s7, 0, v23
	s_wait_alu 0xfffd
	v_add_co_ci_u32_e64 v22, null, s9, v7, vcc_lo
	s_wait_alu 0xf1ff
	v_sub_co_ci_u32_e64 v24, null, 0, 0, s7
	v_mov_b32_e32 v31, 0
	v_mov_b32_e32 v7, 0
	s_mov_b32 s7, 0
.LBB127_15:                             ; =>This Inner Loop Header: Depth=1
	global_load_b32 v6, v[21:22], off
	s_clause 0x3
	global_load_b128 v[33:36], v[15:16], off offset:48
	global_load_b128 v[37:40], v[15:16], off offset:32
	;; [unrolled: 1-line block ×3, first 2 shown]
	global_load_b128 v[45:48], v[15:16], off
	s_wait_loadcnt 0x4
	v_subrev_nc_u32_e32 v6, s12, v6
	s_delay_alu instid0(VALU_DEP_1) | instskip(NEXT) | instid1(VALU_DEP_1)
	v_lshlrev_b32_e32 v49, 2, v6
	v_ashrrev_i32_e32 v50, 31, v49
	s_delay_alu instid0(VALU_DEP_1) | instskip(SKIP_1) | instid1(VALU_DEP_1)
	v_lshlrev_b64_e32 v[49:50], 3, v[49:50]
	s_wait_kmcnt 0x0
	v_add_co_u32 v53, vcc_lo, s4, v49
	s_wait_alu 0xfffd
	s_delay_alu instid0(VALU_DEP_2)
	v_add_co_ci_u32_e64 v54, null, s5, v50, vcc_lo
	v_add_co_u32 v15, vcc_lo, 0x400, v15
	s_wait_alu 0xfffd
	v_add_co_ci_u32_e64 v16, null, 0, v16, vcc_lo
	s_clause 0x1
	global_load_b128 v[49:52], v[53:54], off
	global_load_b128 v[53:56], v[53:54], off offset:16
	v_add_co_u32 v17, vcc_lo, v17, 16
	s_wait_alu 0xfffd
	v_add_co_ci_u32_e64 v18, null, 0, v18, vcc_lo
	v_add_co_u32 v23, vcc_lo, v23, 1
	s_wait_alu 0xfffd
	v_add_co_ci_u32_e64 v24, null, 0, v24, vcc_lo
	;; [unrolled: 3-line block ×3, first 2 shown]
	s_delay_alu instid0(VALU_DEP_3)
	v_cmp_eq_u64_e32 vcc_lo, 0, v[23:24]
	s_wait_alu 0xfffe
	s_or_b32 s7, vcc_lo, s7
	s_wait_loadcnt 0x1
	v_fmac_f32_e32 v7, v33, v49
	v_fmac_f32_e32 v32, v37, v49
	s_delay_alu instid0(VALU_DEP_2) | instskip(NEXT) | instid1(VALU_DEP_2)
	v_dual_fmac_f32 v28, 0, v49 :: v_dual_fmac_f32 v7, 0x80000000, v50
	v_dual_fmac_f32 v27, v45, v49 :: v_dual_fmac_f32 v32, 0x80000000, v50
	s_delay_alu instid0(VALU_DEP_1) | instskip(NEXT) | instid1(VALU_DEP_1)
	v_dual_fmac_f32 v26, 0, v49 :: v_dual_fmac_f32 v27, 0x80000000, v50
	v_dual_fmac_f32 v31, 0, v49 :: v_dual_fmac_f32 v26, v45, v50
	v_fmac_f32_e32 v30, 0, v49
	s_delay_alu instid0(VALU_DEP_3) | instskip(SKIP_1) | instid1(VALU_DEP_4)
	v_dual_fmac_f32 v28, v41, v50 :: v_dual_fmac_f32 v27, v46, v51
	v_fmac_f32_e32 v29, v41, v49
	v_dual_fmac_f32 v31, v33, v50 :: v_dual_fmac_f32 v26, 0, v51
	s_delay_alu instid0(VALU_DEP_3) | instskip(NEXT) | instid1(VALU_DEP_3)
	v_fmac_f32_e32 v28, 0, v51
	v_dual_fmac_f32 v32, v38, v51 :: v_dual_fmac_f32 v29, 0x80000000, v50
	v_dual_fmac_f32 v30, v37, v50 :: v_dual_fmac_f32 v7, v34, v51
	s_delay_alu instid0(VALU_DEP_4) | instskip(NEXT) | instid1(VALU_DEP_3)
	v_dual_fmac_f32 v31, 0, v51 :: v_dual_fmac_f32 v26, v46, v52
	v_fmac_f32_e32 v29, v42, v51
	s_delay_alu instid0(VALU_DEP_3)
	v_dual_fmac_f32 v30, 0, v51 :: v_dual_fmac_f32 v27, 0x80000000, v52
	v_fmac_f32_e32 v28, v42, v52
	v_fmac_f32_e32 v32, 0x80000000, v52
	s_wait_loadcnt 0x0
	v_dual_fmac_f32 v29, 0x80000000, v52 :: v_dual_fmac_f32 v26, 0, v53
	v_fmac_f32_e32 v30, v38, v52
	s_delay_alu instid0(VALU_DEP_3) | instskip(SKIP_3) | instid1(VALU_DEP_3)
	v_dual_fmac_f32 v31, v34, v52 :: v_dual_fmac_f32 v32, v39, v53
	v_fmac_f32_e32 v27, v47, v53
	v_dual_fmac_f32 v7, 0x80000000, v52 :: v_dual_fmac_f32 v28, 0, v53
	v_fmac_f32_e32 v29, v43, v53
	v_dual_fmac_f32 v30, 0, v53 :: v_dual_fmac_f32 v27, 0x80000000, v54
	s_delay_alu instid0(VALU_DEP_3) | instskip(SKIP_1) | instid1(VALU_DEP_4)
	v_dual_fmac_f32 v7, v35, v53 :: v_dual_fmac_f32 v32, 0x80000000, v54
	v_dual_fmac_f32 v31, 0, v53 :: v_dual_fmac_f32 v26, v47, v54
	v_fmac_f32_e32 v29, 0x80000000, v54
	s_delay_alu instid0(VALU_DEP_4) | instskip(NEXT) | instid1(VALU_DEP_4)
	v_dual_fmac_f32 v28, v43, v54 :: v_dual_fmac_f32 v27, v48, v55
	v_fmac_f32_e32 v7, 0x80000000, v54
	s_delay_alu instid0(VALU_DEP_4) | instskip(SKIP_3) | instid1(VALU_DEP_4)
	v_dual_fmac_f32 v31, v35, v54 :: v_dual_fmac_f32 v32, v40, v55
	v_fmac_f32_e32 v26, 0, v55
	v_dual_fmac_f32 v30, v39, v54 :: v_dual_fmac_f32 v29, v44, v55
	v_fmac_f32_e32 v28, 0, v55
	v_dual_fmac_f32 v7, v36, v55 :: v_dual_fmac_f32 v32, 0x80000000, v56
	s_delay_alu instid0(VALU_DEP_3) | instskip(SKIP_3) | instid1(VALU_DEP_4)
	v_dual_fmac_f32 v30, 0, v55 :: v_dual_fmac_f32 v27, 0x80000000, v56
	v_dual_fmac_f32 v31, 0, v55 :: v_dual_fmac_f32 v26, v48, v56
	v_fmac_f32_e32 v29, 0x80000000, v56
	v_fmac_f32_e32 v28, v44, v56
	;; [unrolled: 1-line block ×5, first 2 shown]
	s_wait_alu 0xfffe
	s_and_not1_b32 exec_lo, exec_lo, s7
	s_cbranch_execnz .LBB127_15
; %bb.16:
	s_or_b32 exec_lo, exec_lo, s7
.LBB127_17:
	s_wait_alu 0xfffe
	s_or_b32 exec_lo, exec_lo, s6
	s_delay_alu instid0(SALU_CYCLE_1)
	s_mov_b32 s6, exec_lo
	v_cmpx_lt_u64_e32 47, v[19:20]
	s_cbranch_execz .LBB127_21
; %bb.18:
	v_lshlrev_b64_e32 v[19:20], 2, v[17:18]
	s_mov_b32 s7, 0
	s_delay_alu instid0(VALU_DEP_1) | instskip(SKIP_1) | instid1(VALU_DEP_2)
	v_add_co_u32 v6, vcc_lo, s8, v19
	s_wait_alu 0xfffd
	v_add_co_ci_u32_e64 v20, null, s9, v20, vcc_lo
	s_delay_alu instid0(VALU_DEP_2) | instskip(SKIP_1) | instid1(VALU_DEP_2)
	v_add_co_u32 v19, vcc_lo, 0x80, v6
	s_wait_alu 0xfffd
	v_add_co_ci_u32_e64 v20, null, 0, v20, vcc_lo
.LBB127_19:                             ; =>This Inner Loop Header: Depth=1
	s_clause 0x3
	global_load_b32 v6, v[19:20], off offset:-128
	global_load_b32 v93, v[19:20], off offset:-64
	global_load_b32 v94, v[19:20], off
	global_load_b32 v95, v[19:20], off offset:64
	s_clause 0xf
	global_load_b128 v[21:24], v[15:16], off offset:48
	global_load_b128 v[33:36], v[15:16], off offset:32
	;; [unrolled: 1-line block ×3, first 2 shown]
	global_load_b128 v[41:44], v[15:16], off
	global_load_b128 v[45:48], v[15:16], off offset:1072
	global_load_b128 v[49:52], v[15:16], off offset:1056
	global_load_b128 v[53:56], v[15:16], off offset:1040
	global_load_b128 v[57:60], v[15:16], off offset:1024
	global_load_b128 v[61:64], v[15:16], off offset:2096
	global_load_b128 v[65:68], v[15:16], off offset:2080
	global_load_b128 v[69:72], v[15:16], off offset:2064
	global_load_b128 v[73:76], v[15:16], off offset:2048
	global_load_b128 v[77:80], v[15:16], off offset:3120
	global_load_b128 v[81:84], v[15:16], off offset:3104
	global_load_b128 v[85:88], v[15:16], off offset:3088
	global_load_b128 v[89:92], v[15:16], off offset:3072
	s_wait_loadcnt 0x13
	v_subrev_nc_u32_e32 v6, s12, v6
	s_wait_loadcnt 0x12
	v_subrev_nc_u32_e32 v96, s12, v93
	;; [unrolled: 2-line block ×4, first 2 shown]
	v_lshlrev_b32_e32 v93, 2, v6
	v_lshlrev_b32_e32 v95, 2, v96
	;; [unrolled: 1-line block ×3, first 2 shown]
	s_delay_alu instid0(VALU_DEP_4) | instskip(NEXT) | instid1(VALU_DEP_4)
	v_lshlrev_b32_e32 v99, 2, v98
	v_ashrrev_i32_e32 v94, 31, v93
	s_delay_alu instid0(VALU_DEP_4) | instskip(NEXT) | instid1(VALU_DEP_4)
	v_ashrrev_i32_e32 v96, 31, v95
	v_ashrrev_i32_e32 v98, 31, v97
	s_delay_alu instid0(VALU_DEP_4) | instskip(NEXT) | instid1(VALU_DEP_4)
	v_ashrrev_i32_e32 v100, 31, v99
	v_lshlrev_b64_e32 v[93:94], 3, v[93:94]
	s_delay_alu instid0(VALU_DEP_4) | instskip(NEXT) | instid1(VALU_DEP_4)
	v_lshlrev_b64_e32 v[95:96], 3, v[95:96]
	v_lshlrev_b64_e32 v[97:98], 3, v[97:98]
	s_delay_alu instid0(VALU_DEP_4) | instskip(SKIP_1) | instid1(VALU_DEP_4)
	v_lshlrev_b64_e32 v[99:100], 3, v[99:100]
	s_wait_kmcnt 0x0
	v_add_co_u32 v101, vcc_lo, s4, v93
	s_wait_alu 0xfffd
	v_add_co_ci_u32_e64 v102, null, s5, v94, vcc_lo
	v_add_co_u32 v105, vcc_lo, s4, v95
	s_wait_alu 0xfffd
	v_add_co_ci_u32_e64 v106, null, s5, v96, vcc_lo
	;; [unrolled: 3-line block ×4, first 2 shown]
	s_clause 0x7
	global_load_b128 v[93:96], v[101:102], off
	global_load_b128 v[97:100], v[101:102], off offset:16
	global_load_b128 v[101:104], v[105:106], off
	global_load_b128 v[105:108], v[105:106], off offset:16
	;; [unrolled: 2-line block ×4, first 2 shown]
	v_add_co_u32 v17, vcc_lo, v17, 64
	s_wait_alu 0xfffd
	v_add_co_ci_u32_e64 v18, null, 0, v18, vcc_lo
	v_add_co_u32 v15, vcc_lo, 0x1000, v15
	s_wait_alu 0xfffd
	v_add_co_ci_u32_e64 v16, null, 0, v16, vcc_lo
	;; [unrolled: 3-line block ×3, first 2 shown]
	v_cmp_ge_i64_e32 vcc_lo, v[17:18], v[2:3]
	s_wait_alu 0xfffe
	s_or_b32 s7, vcc_lo, s7
	s_wait_loadcnt 0x7
	v_fmac_f32_e32 v26, 0, v93
	v_fmac_f32_e32 v32, v33, v93
	;; [unrolled: 1-line block ×4, first 2 shown]
	s_delay_alu instid0(VALU_DEP_4) | instskip(NEXT) | instid1(VALU_DEP_4)
	v_dual_fmac_f32 v31, 0, v93 :: v_dual_fmac_f32 v26, v41, v94
	v_fmac_f32_e32 v32, 0x80000000, v94
	s_delay_alu instid0(VALU_DEP_4)
	v_dual_fmac_f32 v30, 0, v93 :: v_dual_fmac_f32 v27, 0x80000000, v94
	v_fmac_f32_e32 v7, v21, v93
	v_fmac_f32_e32 v28, v37, v94
	;; [unrolled: 1-line block ×5, first 2 shown]
	s_delay_alu instid0(VALU_DEP_4) | instskip(NEXT) | instid1(VALU_DEP_4)
	v_dual_fmac_f32 v29, v37, v93 :: v_dual_fmac_f32 v28, 0, v95
	v_dual_fmac_f32 v7, 0x80000000, v94 :: v_dual_fmac_f32 v26, v42, v96
	v_fmac_f32_e32 v30, v33, v94
	s_delay_alu instid0(VALU_DEP_3) | instskip(NEXT) | instid1(VALU_DEP_4)
	v_fmac_f32_e32 v29, 0x80000000, v94
	v_dual_fmac_f32 v31, v21, v94 :: v_dual_fmac_f32 v28, v38, v96
	s_delay_alu instid0(VALU_DEP_4)
	v_dual_fmac_f32 v7, v22, v95 :: v_dual_fmac_f32 v32, 0x80000000, v96
	s_wait_loadcnt 0x6
	v_dual_fmac_f32 v27, 0x80000000, v96 :: v_dual_fmac_f32 v26, 0, v97
	v_fmac_f32_e32 v30, 0, v95
	v_fmac_f32_e32 v29, v38, v95
	;; [unrolled: 1-line block ×3, first 2 shown]
	v_dual_fmac_f32 v7, 0x80000000, v96 :: v_dual_fmac_f32 v32, v35, v97
	v_fmac_f32_e32 v27, v43, v97
	s_delay_alu instid0(VALU_DEP_4) | instskip(SKIP_1) | instid1(VALU_DEP_4)
	v_dual_fmac_f32 v29, 0x80000000, v96 :: v_dual_fmac_f32 v28, 0, v97
	v_fmac_f32_e32 v30, v34, v96
	v_dual_fmac_f32 v31, v22, v96 :: v_dual_fmac_f32 v32, 0x80000000, v98
	s_delay_alu instid0(VALU_DEP_4) | instskip(SKIP_1) | instid1(VALU_DEP_4)
	v_fmac_f32_e32 v27, 0x80000000, v98
	v_fmac_f32_e32 v26, v43, v98
	v_fmac_f32_e32 v30, 0, v97
	s_delay_alu instid0(VALU_DEP_4) | instskip(NEXT) | instid1(VALU_DEP_4)
	v_dual_fmac_f32 v31, 0, v97 :: v_dual_fmac_f32 v32, v36, v99
	v_dual_fmac_f32 v28, v39, v98 :: v_dual_fmac_f32 v27, v44, v99
	v_fmac_f32_e32 v7, v23, v97
	v_dual_fmac_f32 v29, v39, v97 :: v_dual_fmac_f32 v26, 0, v99
	s_delay_alu instid0(VALU_DEP_3) | instskip(SKIP_1) | instid1(VALU_DEP_4)
	v_fmac_f32_e32 v28, 0, v99
	v_fmac_f32_e32 v30, v35, v98
	v_fmac_f32_e32 v7, 0x80000000, v98
	s_delay_alu instid0(VALU_DEP_4) | instskip(NEXT) | instid1(VALU_DEP_4)
	v_fmac_f32_e32 v29, 0x80000000, v98
	v_dual_fmac_f32 v31, v23, v98 :: v_dual_fmac_f32 v28, v40, v100
	v_fmac_f32_e32 v26, v44, v100
	s_delay_alu instid0(VALU_DEP_4)
	v_dual_fmac_f32 v7, v24, v99 :: v_dual_fmac_f32 v32, 0x80000000, v100
	v_dual_fmac_f32 v27, 0x80000000, v100 :: v_dual_fmac_f32 v30, 0, v99
	v_fmac_f32_e32 v29, v40, v99
	v_fmac_f32_e32 v31, 0, v99
	s_wait_loadcnt 0x5
	v_dual_fmac_f32 v7, 0x80000000, v100 :: v_dual_fmac_f32 v32, v49, v101
	v_fmac_f32_e32 v26, 0, v101
	v_fmac_f32_e32 v27, v57, v101
	v_dual_fmac_f32 v29, 0x80000000, v100 :: v_dual_fmac_f32 v28, 0, v101
	v_fmac_f32_e32 v30, v36, v100
	v_dual_fmac_f32 v31, v24, v100 :: v_dual_fmac_f32 v32, 0x80000000, v102
	s_delay_alu instid0(VALU_DEP_4) | instskip(SKIP_1) | instid1(VALU_DEP_4)
	v_fmac_f32_e32 v27, 0x80000000, v102
	v_fmac_f32_e32 v26, v57, v102
	v_fmac_f32_e32 v30, 0, v101
	s_delay_alu instid0(VALU_DEP_4) | instskip(NEXT) | instid1(VALU_DEP_4)
	v_dual_fmac_f32 v31, 0, v101 :: v_dual_fmac_f32 v32, v50, v103
	v_dual_fmac_f32 v28, v53, v102 :: v_dual_fmac_f32 v27, v58, v103
	v_fmac_f32_e32 v7, v45, v101
	v_dual_fmac_f32 v29, v53, v101 :: v_dual_fmac_f32 v26, 0, v103
	s_delay_alu instid0(VALU_DEP_3) | instskip(SKIP_1) | instid1(VALU_DEP_4)
	v_fmac_f32_e32 v28, 0, v103
	v_fmac_f32_e32 v30, v49, v102
	v_fmac_f32_e32 v7, 0x80000000, v102
	s_delay_alu instid0(VALU_DEP_4) | instskip(NEXT) | instid1(VALU_DEP_4)
	v_fmac_f32_e32 v29, 0x80000000, v102
	v_dual_fmac_f32 v31, v45, v102 :: v_dual_fmac_f32 v28, v54, v104
	v_fmac_f32_e32 v26, v58, v104
	s_delay_alu instid0(VALU_DEP_4)
	v_dual_fmac_f32 v7, v46, v103 :: v_dual_fmac_f32 v32, 0x80000000, v104
	v_dual_fmac_f32 v27, 0x80000000, v104 :: v_dual_fmac_f32 v30, 0, v103
	v_fmac_f32_e32 v29, v54, v103
	v_fmac_f32_e32 v31, 0, v103
	s_wait_loadcnt 0x4
	v_dual_fmac_f32 v7, 0x80000000, v104 :: v_dual_fmac_f32 v32, v51, v105
	v_fmac_f32_e32 v26, 0, v105
	v_fmac_f32_e32 v27, v59, v105
	;; [unrolled: 29-line block ×6, first 2 shown]
	v_dual_fmac_f32 v29, 0x80000000, v120 :: v_dual_fmac_f32 v28, 0, v121
	v_fmac_f32_e32 v30, v82, v120
	v_dual_fmac_f32 v31, v78, v120 :: v_dual_fmac_f32 v32, 0x80000000, v122
	s_delay_alu instid0(VALU_DEP_4)
	v_fmac_f32_e32 v27, 0x80000000, v122
	v_fmac_f32_e32 v26, v91, v122
	;; [unrolled: 1-line block ×4, first 2 shown]
	v_dual_fmac_f32 v31, 0, v121 :: v_dual_fmac_f32 v32, v84, v123
	v_dual_fmac_f32 v28, v87, v122 :: v_dual_fmac_f32 v27, v92, v123
	v_fmac_f32_e32 v7, v79, v121
	s_delay_alu instid0(VALU_DEP_4) | instskip(SKIP_1) | instid1(VALU_DEP_3)
	v_fmac_f32_e32 v30, v83, v122
	v_dual_fmac_f32 v26, 0, v123 :: v_dual_fmac_f32 v29, 0x80000000, v122
	v_dual_fmac_f32 v28, 0, v123 :: v_dual_fmac_f32 v7, 0x80000000, v122
	s_delay_alu instid0(VALU_DEP_3) | instskip(NEXT) | instid1(VALU_DEP_3)
	v_dual_fmac_f32 v31, v79, v122 :: v_dual_fmac_f32 v30, 0, v123
	v_fmac_f32_e32 v29, v88, v123
	s_delay_alu instid0(VALU_DEP_4) | instskip(NEXT) | instid1(VALU_DEP_4)
	v_fmac_f32_e32 v26, v92, v124
	v_dual_fmac_f32 v7, v80, v123 :: v_dual_fmac_f32 v32, 0x80000000, v124
	s_delay_alu instid0(VALU_DEP_4)
	v_dual_fmac_f32 v28, v88, v124 :: v_dual_fmac_f32 v31, 0, v123
	v_fmac_f32_e32 v30, v84, v124
	v_fmac_f32_e32 v27, 0x80000000, v124
	v_fmac_f32_e32 v29, 0x80000000, v124
	v_fmac_f32_e32 v7, 0x80000000, v124
	v_fmac_f32_e32 v31, v80, v124
	s_wait_alu 0xfffe
	s_and_not1_b32 exec_lo, exec_lo, s7
	s_cbranch_execnz .LBB127_19
; %bb.20:
	s_or_b32 exec_lo, exec_lo, s7
.LBB127_21:
	s_wait_alu 0xfffe
	s_or_b32 exec_lo, exec_lo, s6
.LBB127_22:
	s_wait_alu 0xfffe
	s_or_b32 exec_lo, exec_lo, s3
	s_cbranch_execz .LBB127_24
	s_branch .LBB127_35
.LBB127_23:
                                        ; implicit-def: $vgpr26
                                        ; implicit-def: $vgpr27
                                        ; implicit-def: $vgpr28
                                        ; implicit-def: $vgpr29
                                        ; implicit-def: $vgpr30
                                        ; implicit-def: $vgpr32
                                        ; implicit-def: $vgpr31
                                        ; implicit-def: $vgpr7
.LBB127_24:
	v_dual_mov_b32 v26, 0 :: v_dual_mov_b32 v27, 0
	v_dual_mov_b32 v28, 0 :: v_dual_mov_b32 v29, 0
	;; [unrolled: 1-line block ×4, first 2 shown]
	s_and_saveexec_b32 s3, s2
	s_cbranch_execz .LBB127_34
; %bb.25:
	v_or_b32_e32 v6, 16, v25
	s_delay_alu instid0(VALU_DEP_1) | instskip(SKIP_3) | instid1(VALU_DEP_3)
	v_sub_co_u32 v6, s2, v6, s12
	s_wait_alu 0xf1ff
	v_sub_co_ci_u32_e64 v7, null, 0, 0, s2
	v_sub_co_u32 v15, s2, s12, v25
	v_add_co_u32 v6, vcc_lo, v6, v13
	s_wait_alu 0xfffd
	s_delay_alu instid0(VALU_DEP_3)
	v_add_co_ci_u32_e64 v7, null, v7, v14, vcc_lo
	v_not_b32_e32 v13, v13
	v_not_b32_e32 v14, v14
	s_wait_alu 0xf1ff
	v_sub_co_ci_u32_e64 v16, null, 0, 0, s2
	v_cmp_gt_i64_e32 vcc_lo, v[6:7], v[2:3]
	v_add_co_u32 v13, s2, v15, v13
	s_wait_alu 0xf1ff
	s_delay_alu instid0(VALU_DEP_3) | instskip(SKIP_3) | instid1(VALU_DEP_1)
	v_add_co_ci_u32_e64 v14, null, v16, v14, s2
	s_mov_b32 s2, exec_lo
	s_wait_alu 0xfffd
	v_dual_cndmask_b32 v15, v3, v7 :: v_dual_cndmask_b32 v6, v2, v6
	v_add_co_u32 v13, vcc_lo, v13, v6
	v_mov_b32_e32 v7, 0
	s_wait_alu 0xfffd
	s_delay_alu instid0(VALU_DEP_3) | instskip(NEXT) | instid1(VALU_DEP_2)
	v_add_co_ci_u32_e64 v14, null, v14, v15, vcc_lo
	v_dual_mov_b32 v31, v7 :: v_dual_and_b32 v6, 48, v13
	v_mov_b32_e32 v32, v7
	v_dual_mov_b32 v30, v7 :: v_dual_mov_b32 v29, v7
	v_dual_mov_b32 v28, v7 :: v_dual_mov_b32 v27, v7
	v_mov_b32_e32 v26, v7
	v_cmpx_ne_u64_e32 48, v[6:7]
	s_cbranch_execz .LBB127_29
; %bb.26:
	v_lshrrev_b32_e32 v6, 4, v13
	v_dual_mov_b32 v26, 0 :: v_dual_mov_b32 v27, 0
	v_dual_mov_b32 v28, 0 :: v_dual_mov_b32 v29, 0
	s_delay_alu instid0(VALU_DEP_3) | instskip(SKIP_2) | instid1(VALU_DEP_3)
	v_dual_mov_b32 v30, 0 :: v_dual_add_nc_u32 v15, 1, v6
	v_lshlrev_b64_e32 v[6:7], 2, v[0:1]
	v_dual_mov_b32 v31, 0 :: v_dual_mov_b32 v32, 0
	v_and_b32_e32 v17, 3, v15
	s_delay_alu instid0(VALU_DEP_3) | instskip(SKIP_1) | instid1(VALU_DEP_4)
	v_add_co_u32 v15, vcc_lo, s8, v6
	s_wait_alu 0xfffd
	v_add_co_ci_u32_e64 v16, null, s9, v7, vcc_lo
	s_delay_alu instid0(VALU_DEP_3)
	v_sub_co_u32 v17, s6, 0, v17
	s_wait_alu 0xf1ff
	v_sub_co_ci_u32_e64 v18, null, 0, 0, s6
	v_mov_b32_e32 v7, 0
	s_mov_b32 s6, 0
.LBB127_27:                             ; =>This Inner Loop Header: Depth=1
	global_load_b32 v6, v[15:16], off
	s_clause 0x1
	global_load_b128 v[19:22], v[4:5], off offset:16
	global_load_b128 v[33:36], v[4:5], off
	s_wait_loadcnt 0x2
	v_subrev_nc_u32_e32 v6, s12, v6
	s_delay_alu instid0(VALU_DEP_1) | instskip(NEXT) | instid1(VALU_DEP_1)
	v_lshlrev_b32_e32 v23, 2, v6
	v_ashrrev_i32_e32 v24, 31, v23
	s_delay_alu instid0(VALU_DEP_1) | instskip(SKIP_1) | instid1(VALU_DEP_1)
	v_lshlrev_b64_e32 v[23:24], 3, v[23:24]
	s_wait_kmcnt 0x0
	v_add_co_u32 v23, vcc_lo, s4, v23
	s_wait_alu 0xfffd
	s_delay_alu instid0(VALU_DEP_2)
	v_add_co_ci_u32_e64 v24, null, s5, v24, vcc_lo
	s_clause 0x1
	global_load_b128 v[37:40], v[23:24], off
	global_load_b128 v[41:44], v[23:24], off offset:16
	s_clause 0x1
	global_load_b128 v[45:48], v[4:5], off offset:32
	global_load_b128 v[49:52], v[4:5], off offset:48
	v_add_co_u32 v4, vcc_lo, 0x400, v4
	s_wait_alu 0xfffd
	v_add_co_ci_u32_e64 v5, null, 0, v5, vcc_lo
	v_add_co_u32 v0, vcc_lo, v0, 16
	s_wait_alu 0xfffd
	v_add_co_ci_u32_e64 v1, null, 0, v1, vcc_lo
	;; [unrolled: 3-line block ×4, first 2 shown]
	s_delay_alu instid0(VALU_DEP_3)
	v_cmp_eq_u64_e32 vcc_lo, 0, v[17:18]
	s_wait_alu 0xfffe
	s_or_b32 s6, vcc_lo, s6
	s_wait_loadcnt 0x3
	v_fmac_f32_e32 v26, 0, v37
	v_fmac_f32_e32 v29, v34, v37
	;; [unrolled: 1-line block ×4, first 2 shown]
	s_delay_alu instid0(VALU_DEP_4) | instskip(NEXT) | instid1(VALU_DEP_4)
	v_fmac_f32_e32 v26, v33, v38
	v_dual_fmac_f32 v32, v35, v37 :: v_dual_fmac_f32 v29, 0x80000000, v38
	s_delay_alu instid0(VALU_DEP_4) | instskip(NEXT) | instid1(VALU_DEP_4)
	v_dual_fmac_f32 v7, v36, v37 :: v_dual_fmac_f32 v28, v34, v38
	v_fmac_f32_e32 v27, 0x80000000, v38
	s_delay_alu instid0(VALU_DEP_3) | instskip(NEXT) | instid1(VALU_DEP_3)
	v_fmac_f32_e32 v32, 0x80000000, v38
	v_dual_fmac_f32 v30, 0, v37 :: v_dual_fmac_f32 v7, 0x80000000, v38
	v_dual_fmac_f32 v31, 0, v37 :: v_dual_fmac_f32 v26, 0, v39
	s_delay_alu instid0(VALU_DEP_2) | instskip(NEXT) | instid1(VALU_DEP_2)
	v_dual_fmac_f32 v29, v20, v39 :: v_dual_fmac_f32 v30, v35, v38
	v_dual_fmac_f32 v28, 0, v39 :: v_dual_fmac_f32 v31, v36, v38
	s_delay_alu instid0(VALU_DEP_3) | instskip(NEXT) | instid1(VALU_DEP_3)
	v_fmac_f32_e32 v26, v19, v40
	v_dual_fmac_f32 v32, v21, v39 :: v_dual_fmac_f32 v29, 0x80000000, v40
	v_fmac_f32_e32 v7, v22, v39
	s_delay_alu instid0(VALU_DEP_4) | instskip(NEXT) | instid1(VALU_DEP_3)
	v_dual_fmac_f32 v27, v19, v39 :: v_dual_fmac_f32 v28, v20, v40
	v_fmac_f32_e32 v32, 0x80000000, v40
	s_delay_alu instid0(VALU_DEP_3) | instskip(SKIP_3) | instid1(VALU_DEP_2)
	v_dual_fmac_f32 v30, 0, v39 :: v_dual_fmac_f32 v7, 0x80000000, v40
	s_wait_loadcnt 0x2
	v_dual_fmac_f32 v31, 0, v39 :: v_dual_fmac_f32 v26, 0, v41
	s_wait_loadcnt 0x1
	v_dual_fmac_f32 v29, v46, v41 :: v_dual_fmac_f32 v30, v21, v40
	v_fmac_f32_e32 v27, 0x80000000, v40
	s_delay_alu instid0(VALU_DEP_3) | instskip(NEXT) | instid1(VALU_DEP_3)
	v_dual_fmac_f32 v31, v22, v40 :: v_dual_fmac_f32 v26, v45, v42
	v_dual_fmac_f32 v32, v47, v41 :: v_dual_fmac_f32 v29, 0x80000000, v42
	v_fmac_f32_e32 v7, v48, v41
	v_fmac_f32_e32 v28, 0, v41
	s_delay_alu instid0(VALU_DEP_3) | instskip(NEXT) | instid1(VALU_DEP_3)
	v_dual_fmac_f32 v27, v45, v41 :: v_dual_fmac_f32 v32, 0x80000000, v42
	v_dual_fmac_f32 v30, 0, v41 :: v_dual_fmac_f32 v7, 0x80000000, v42
	;; [unrolled: 1-line block ×3, first 2 shown]
	s_wait_loadcnt 0x0
	s_delay_alu instid0(VALU_DEP_2) | instskip(SKIP_1) | instid1(VALU_DEP_3)
	v_dual_fmac_f32 v29, v50, v43 :: v_dual_fmac_f32 v30, v47, v42
	v_fmac_f32_e32 v28, v46, v42
	v_fmac_f32_e32 v31, v48, v42
	v_dual_fmac_f32 v27, 0x80000000, v42 :: v_dual_fmac_f32 v26, v49, v44
	s_delay_alu instid0(VALU_DEP_4) | instskip(SKIP_2) | instid1(VALU_DEP_3)
	v_dual_fmac_f32 v32, v51, v43 :: v_dual_fmac_f32 v29, 0x80000000, v44
	v_fmac_f32_e32 v7, v52, v43
	v_fmac_f32_e32 v28, 0, v43
	v_dual_fmac_f32 v27, v49, v43 :: v_dual_fmac_f32 v32, 0x80000000, v44
	s_delay_alu instid0(VALU_DEP_3) | instskip(NEXT) | instid1(VALU_DEP_3)
	v_dual_fmac_f32 v30, 0, v43 :: v_dual_fmac_f32 v7, 0x80000000, v44
	v_dual_fmac_f32 v31, 0, v43 :: v_dual_fmac_f32 v28, v50, v44
	s_delay_alu instid0(VALU_DEP_3) | instskip(NEXT) | instid1(VALU_DEP_3)
	v_fmac_f32_e32 v27, 0x80000000, v44
	v_fmac_f32_e32 v30, v51, v44
	s_delay_alu instid0(VALU_DEP_3)
	v_fmac_f32_e32 v31, v52, v44
	s_wait_alu 0xfffe
	s_and_not1_b32 exec_lo, exec_lo, s6
	s_cbranch_execnz .LBB127_27
; %bb.28:
	s_or_b32 exec_lo, exec_lo, s6
.LBB127_29:
	s_wait_alu 0xfffe
	s_or_b32 exec_lo, exec_lo, s2
	s_delay_alu instid0(SALU_CYCLE_1)
	s_mov_b32 s2, exec_lo
	v_cmpx_lt_u64_e32 47, v[13:14]
	s_cbranch_execz .LBB127_33
; %bb.30:
	v_lshlrev_b64_e32 v[13:14], 2, v[0:1]
	s_mov_b32 s6, 0
	s_delay_alu instid0(VALU_DEP_1) | instskip(SKIP_1) | instid1(VALU_DEP_2)
	v_add_co_u32 v6, vcc_lo, s8, v13
	s_wait_alu 0xfffd
	v_add_co_ci_u32_e64 v14, null, s9, v14, vcc_lo
	s_delay_alu instid0(VALU_DEP_2) | instskip(SKIP_1) | instid1(VALU_DEP_2)
	v_add_co_u32 v13, vcc_lo, 0x80, v6
	s_wait_alu 0xfffd
	v_add_co_ci_u32_e64 v14, null, 0, v14, vcc_lo
.LBB127_31:                             ; =>This Inner Loop Header: Depth=1
	s_clause 0x3
	global_load_b32 v6, v[13:14], off offset:-128
	global_load_b32 v23, v[13:14], off offset:-64
	global_load_b32 v24, v[13:14], off
	global_load_b32 v81, v[13:14], off offset:64
	s_clause 0xd
	global_load_b128 v[15:18], v[4:5], off offset:48
	global_load_b128 v[19:22], v[4:5], off offset:32
	;; [unrolled: 1-line block ×3, first 2 shown]
	global_load_b128 v[37:40], v[4:5], off
	global_load_b128 v[41:44], v[4:5], off offset:1072
	global_load_b128 v[45:48], v[4:5], off offset:1056
	;; [unrolled: 1-line block ×10, first 2 shown]
	s_wait_loadcnt 0x11
	v_subrev_nc_u32_e32 v6, s12, v6
	s_wait_loadcnt 0x10
	v_subrev_nc_u32_e32 v82, s12, v23
	;; [unrolled: 2-line block ×4, first 2 shown]
	v_lshlrev_b32_e32 v23, 2, v6
	v_lshlrev_b32_e32 v81, 2, v82
	v_lshlrev_b32_e32 v83, 2, v24
	s_delay_alu instid0(VALU_DEP_4) | instskip(NEXT) | instid1(VALU_DEP_4)
	v_lshlrev_b32_e32 v85, 2, v84
	v_ashrrev_i32_e32 v24, 31, v23
	s_delay_alu instid0(VALU_DEP_4) | instskip(NEXT) | instid1(VALU_DEP_4)
	v_ashrrev_i32_e32 v82, 31, v81
	v_ashrrev_i32_e32 v84, 31, v83
	s_delay_alu instid0(VALU_DEP_4) | instskip(NEXT) | instid1(VALU_DEP_4)
	v_ashrrev_i32_e32 v86, 31, v85
	v_lshlrev_b64_e32 v[23:24], 3, v[23:24]
	s_delay_alu instid0(VALU_DEP_4) | instskip(NEXT) | instid1(VALU_DEP_4)
	v_lshlrev_b64_e32 v[81:82], 3, v[81:82]
	v_lshlrev_b64_e32 v[83:84], 3, v[83:84]
	s_delay_alu instid0(VALU_DEP_4) | instskip(SKIP_1) | instid1(VALU_DEP_4)
	v_lshlrev_b64_e32 v[85:86], 3, v[85:86]
	s_wait_kmcnt 0x0
	v_add_co_u32 v23, vcc_lo, s4, v23
	s_wait_alu 0xfffd
	v_add_co_ci_u32_e64 v24, null, s5, v24, vcc_lo
	v_add_co_u32 v93, vcc_lo, s4, v81
	s_wait_alu 0xfffd
	v_add_co_ci_u32_e64 v94, null, s5, v82, vcc_lo
	;; [unrolled: 3-line block ×4, first 2 shown]
	s_clause 0x6
	global_load_b128 v[81:84], v[23:24], off
	global_load_b128 v[85:88], v[23:24], off offset:16
	global_load_b128 v[89:92], v[93:94], off
	global_load_b128 v[93:96], v[93:94], off offset:16
	;; [unrolled: 2-line block ×4, first 2 shown]
	global_load_b128 v[113:116], v[113:114], off offset:16
	global_load_b128 v[117:120], v[4:5], off offset:3120
	v_add_co_u32 v4, vcc_lo, 0x1000, v4
	s_wait_alu 0xfffd
	v_add_co_ci_u32_e64 v5, null, 0, v5, vcc_lo
	v_add_co_u32 v0, vcc_lo, v0, 64
	s_wait_alu 0xfffd
	v_add_co_ci_u32_e64 v1, null, 0, v1, vcc_lo
	;; [unrolled: 3-line block ×3, first 2 shown]
	s_delay_alu instid0(VALU_DEP_3)
	v_cmp_ge_i64_e32 vcc_lo, v[0:1], v[2:3]
	s_wait_alu 0xfffe
	s_or_b32 s6, vcc_lo, s6
	s_wait_loadcnt 0x9
	v_fmac_f32_e32 v28, 0, v81
	v_fmac_f32_e32 v27, v37, v81
	;; [unrolled: 1-line block ×5, first 2 shown]
	v_dual_fmac_f32 v7, v40, v81 :: v_dual_fmac_f32 v28, v38, v82
	v_dual_fmac_f32 v30, 0, v81 :: v_dual_fmac_f32 v27, 0x80000000, v82
	;; [unrolled: 1-line block ×3, first 2 shown]
	s_delay_alu instid0(VALU_DEP_4) | instskip(NEXT) | instid1(VALU_DEP_3)
	v_fmac_f32_e32 v32, 0x80000000, v82
	v_fmac_f32_e32 v30, v39, v82
	;; [unrolled: 1-line block ×3, first 2 shown]
	s_delay_alu instid0(VALU_DEP_4) | instskip(NEXT) | instid1(VALU_DEP_3)
	v_dual_fmac_f32 v31, v40, v82 :: v_dual_fmac_f32 v28, 0, v83
	v_dual_fmac_f32 v7, 0x80000000, v82 :: v_dual_fmac_f32 v30, 0, v83
	v_fmac_f32_e32 v27, v33, v83
	v_fmac_f32_e32 v26, 0, v83
	;; [unrolled: 1-line block ×4, first 2 shown]
	v_dual_fmac_f32 v31, 0, v83 :: v_dual_fmac_f32 v30, v35, v84
	s_delay_alu instid0(VALU_DEP_3)
	v_dual_fmac_f32 v7, v36, v83 :: v_dual_fmac_f32 v32, 0x80000000, v84
	v_fmac_f32_e32 v26, v33, v84
	v_fmac_f32_e32 v28, v34, v84
	;; [unrolled: 1-line block ×4, first 2 shown]
	s_wait_loadcnt 0x8
	v_dual_fmac_f32 v29, 0x80000000, v84 :: v_dual_fmac_f32 v32, v21, v85
	v_dual_fmac_f32 v7, 0x80000000, v84 :: v_dual_fmac_f32 v30, 0, v85
	v_fmac_f32_e32 v26, 0, v85
	s_delay_alu instid0(VALU_DEP_3)
	v_fmac_f32_e32 v29, v20, v85
	v_fmac_f32_e32 v28, 0, v85
	;; [unrolled: 1-line block ×3, first 2 shown]
	v_dual_fmac_f32 v31, 0, v85 :: v_dual_fmac_f32 v30, v21, v86
	v_dual_fmac_f32 v7, v22, v85 :: v_dual_fmac_f32 v32, 0x80000000, v86
	v_fmac_f32_e32 v26, v19, v86
	v_fmac_f32_e32 v28, v20, v86
	;; [unrolled: 1-line block ×4, first 2 shown]
	v_dual_fmac_f32 v29, 0x80000000, v86 :: v_dual_fmac_f32 v32, v17, v87
	v_dual_fmac_f32 v7, 0x80000000, v86 :: v_dual_fmac_f32 v30, 0, v87
	v_fmac_f32_e32 v26, 0, v87
	s_delay_alu instid0(VALU_DEP_3)
	v_fmac_f32_e32 v29, v16, v87
	v_fmac_f32_e32 v28, 0, v87
	v_fmac_f32_e32 v27, v15, v87
	v_dual_fmac_f32 v31, 0, v87 :: v_dual_fmac_f32 v30, v17, v88
	v_dual_fmac_f32 v7, v18, v87 :: v_dual_fmac_f32 v32, 0x80000000, v88
	v_fmac_f32_e32 v26, v15, v88
	v_fmac_f32_e32 v28, v16, v88
	v_fmac_f32_e32 v27, 0x80000000, v88
	v_fmac_f32_e32 v31, v18, v88
	s_wait_loadcnt 0x7
	v_dual_fmac_f32 v29, 0x80000000, v88 :: v_dual_fmac_f32 v32, v55, v89
	v_dual_fmac_f32 v7, 0x80000000, v88 :: v_dual_fmac_f32 v30, 0, v89
	v_fmac_f32_e32 v26, 0, v89
	s_delay_alu instid0(VALU_DEP_3)
	v_fmac_f32_e32 v29, v54, v89
	v_fmac_f32_e32 v28, 0, v89
	v_fmac_f32_e32 v27, v53, v89
	v_dual_fmac_f32 v7, v56, v89 :: v_dual_fmac_f32 v32, 0x80000000, v90
	v_dual_fmac_f32 v31, 0, v89 :: v_dual_fmac_f32 v30, v55, v90
	v_fmac_f32_e32 v26, v53, v90
	v_fmac_f32_e32 v28, v54, v90
	v_fmac_f32_e32 v27, 0x80000000, v90
	v_fmac_f32_e32 v29, 0x80000000, v90
	v_dual_fmac_f32 v7, 0x80000000, v90 :: v_dual_fmac_f32 v32, v51, v91
	v_dual_fmac_f32 v31, v56, v90 :: v_dual_fmac_f32 v30, 0, v91
	v_fmac_f32_e32 v26, 0, v91
	v_fmac_f32_e32 v28, 0, v91
	v_fmac_f32_e32 v27, v49, v91
	v_fmac_f32_e32 v29, v50, v91
	v_dual_fmac_f32 v7, v52, v91 :: v_dual_fmac_f32 v32, 0x80000000, v92
	v_dual_fmac_f32 v31, 0, v91 :: v_dual_fmac_f32 v30, v51, v92
	v_fmac_f32_e32 v26, v49, v92
	v_fmac_f32_e32 v28, v50, v92
	v_fmac_f32_e32 v27, 0x80000000, v92
	v_fmac_f32_e32 v29, 0x80000000, v92
	s_wait_loadcnt 0x6
	v_dual_fmac_f32 v7, 0x80000000, v92 :: v_dual_fmac_f32 v32, v47, v93
	v_dual_fmac_f32 v31, v52, v92 :: v_dual_fmac_f32 v30, 0, v93
	v_fmac_f32_e32 v26, 0, v93
	v_fmac_f32_e32 v28, 0, v93
	v_fmac_f32_e32 v27, v45, v93
	v_fmac_f32_e32 v29, v46, v93
	v_dual_fmac_f32 v7, v48, v93 :: v_dual_fmac_f32 v32, 0x80000000, v94
	v_dual_fmac_f32 v31, 0, v93 :: v_dual_fmac_f32 v30, v47, v94
	v_fmac_f32_e32 v26, v45, v94
	v_fmac_f32_e32 v28, v46, v94
	v_fmac_f32_e32 v27, 0x80000000, v94
	v_fmac_f32_e32 v29, 0x80000000, v94
	v_dual_fmac_f32 v7, 0x80000000, v94 :: v_dual_fmac_f32 v32, v43, v95
	v_dual_fmac_f32 v31, v48, v94 :: v_dual_fmac_f32 v30, 0, v95
	v_fmac_f32_e32 v26, 0, v95
	v_fmac_f32_e32 v28, 0, v95
	v_fmac_f32_e32 v27, v41, v95
	v_fmac_f32_e32 v29, v42, v95
	v_dual_fmac_f32 v7, v44, v95 :: v_dual_fmac_f32 v32, 0x80000000, v96
	v_dual_fmac_f32 v31, 0, v95 :: v_dual_fmac_f32 v30, v43, v96
	v_fmac_f32_e32 v26, v41, v96
	v_fmac_f32_e32 v28, v42, v96
	v_fmac_f32_e32 v27, 0x80000000, v96
	v_fmac_f32_e32 v29, 0x80000000, v96
	s_wait_loadcnt 0x5
	v_dual_fmac_f32 v7, 0x80000000, v96 :: v_dual_fmac_f32 v32, v71, v97
	v_dual_fmac_f32 v31, v44, v96 :: v_dual_fmac_f32 v30, 0, v97
	v_fmac_f32_e32 v26, 0, v97
	;; [unrolled: 25-line block ×5, first 2 shown]
	v_fmac_f32_e32 v28, 0, v113
	v_fmac_f32_e32 v27, v109, v113
	;; [unrolled: 1-line block ×3, first 2 shown]
	v_dual_fmac_f32 v7, v112, v113 :: v_dual_fmac_f32 v32, 0x80000000, v114
	v_dual_fmac_f32 v31, 0, v113 :: v_dual_fmac_f32 v30, v111, v114
	v_fmac_f32_e32 v26, v109, v114
	v_fmac_f32_e32 v28, v110, v114
	;; [unrolled: 1-line block ×4, first 2 shown]
	s_wait_loadcnt 0x0
	v_dual_fmac_f32 v7, 0x80000000, v114 :: v_dual_fmac_f32 v32, v119, v115
	v_dual_fmac_f32 v31, v112, v114 :: v_dual_fmac_f32 v30, 0, v115
	v_fmac_f32_e32 v26, 0, v115
	v_fmac_f32_e32 v28, 0, v115
	;; [unrolled: 1-line block ×4, first 2 shown]
	v_dual_fmac_f32 v7, v120, v115 :: v_dual_fmac_f32 v32, 0x80000000, v116
	v_dual_fmac_f32 v31, 0, v115 :: v_dual_fmac_f32 v30, v119, v116
	v_fmac_f32_e32 v26, v117, v116
	s_delay_alu instid0(VALU_DEP_4)
	v_fmac_f32_e32 v29, 0x80000000, v116
	v_fmac_f32_e32 v28, v118, v116
	;; [unrolled: 1-line block ×5, first 2 shown]
	s_wait_alu 0xfffe
	s_and_not1_b32 exec_lo, exec_lo, s6
	s_cbranch_execnz .LBB127_31
; %bb.32:
	s_or_b32 exec_lo, exec_lo, s6
.LBB127_33:
	s_wait_alu 0xfffe
	s_or_b32 exec_lo, exec_lo, s2
.LBB127_34:
	s_wait_alu 0xfffe
	s_or_b32 exec_lo, exec_lo, s3
.LBB127_35:
	v_mbcnt_lo_u32_b32 v0, -1, 0
	s_delay_alu instid0(VALU_DEP_1) | instskip(SKIP_2) | instid1(VALU_DEP_3)
	v_xor_b32_e32 v1, 8, v0
	v_xor_b32_e32 v15, 4, v0
	;; [unrolled: 1-line block ×3, first 2 shown]
	v_cmp_gt_i32_e32 vcc_lo, 32, v1
	s_wait_alu 0xfffd
	v_cndmask_b32_e32 v1, v0, v1, vcc_lo
	v_cmp_gt_i32_e32 vcc_lo, 32, v15
	s_delay_alu instid0(VALU_DEP_2)
	v_lshlrev_b32_e32 v1, 2, v1
	s_wait_alu 0xfffd
	v_cndmask_b32_e32 v15, v0, v15, vcc_lo
	v_cmp_gt_i32_e32 vcc_lo, 32, v22
	ds_bpermute_b32 v4, v1, v29
	s_wait_alu 0xfffd
	v_cndmask_b32_e32 v22, v0, v22, vcc_lo
	s_delay_alu instid0(VALU_DEP_1)
	v_lshlrev_b32_e32 v22, 2, v22
	s_wait_dscnt 0x0
	v_add_f32_e32 v4, v29, v4
	ds_bpermute_b32 v3, v1, v26
	ds_bpermute_b32 v6, v1, v32
	;; [unrolled: 1-line block ×4, first 2 shown]
	v_lshlrev_b32_e32 v15, 2, v15
	ds_bpermute_b32 v5, v1, v28
	ds_bpermute_b32 v13, v1, v30
	;; [unrolled: 1-line block ×3, first 2 shown]
	s_wait_dscnt 0x5
	v_dual_add_f32 v3, v26, v3 :: v_dual_add_f32 v6, v32, v6
	s_wait_dscnt 0x4
	v_add_f32_e32 v2, v27, v2
	ds_bpermute_b32 v17, v15, v4
	s_wait_dscnt 0x4
	v_add_f32_e32 v7, v7, v14
	ds_bpermute_b32 v16, v15, v3
	ds_bpermute_b32 v19, v15, v6
	;; [unrolled: 1-line block ×3, first 2 shown]
	s_wait_dscnt 0x6
	v_add_f32_e32 v5, v28, v5
	s_wait_dscnt 0x4
	v_add_f32_e32 v1, v31, v1
	;; [unrolled: 2-line block ×3, first 2 shown]
	ds_bpermute_b32 v21, v15, v7
	s_wait_dscnt 0x2
	v_dual_add_f32 v3, v3, v16 :: v_dual_add_f32 v6, v6, v19
	v_add_f32_e32 v13, v30, v13
	s_wait_dscnt 0x1
	v_add_f32_e32 v2, v2, v14
	ds_bpermute_b32 v18, v15, v5
	ds_bpermute_b32 v16, v22, v4
	;; [unrolled: 1-line block ×4, first 2 shown]
	s_wait_dscnt 0x4
	v_add_f32_e32 v7, v7, v21
	s_wait_dscnt 0x3
	v_add_f32_e32 v5, v5, v18
	ds_bpermute_b32 v18, v22, v6
	s_wait_dscnt 0x1
	v_add_f32_e32 v14, v1, v15
	ds_bpermute_b32 v1, v22, v2
	v_add_f32_e32 v13, v13, v20
	ds_bpermute_b32 v15, v22, v3
	ds_bpermute_b32 v17, v22, v5
	;; [unrolled: 1-line block ×5, first 2 shown]
	v_xor_b32_e32 v22, 1, v0
	s_delay_alu instid0(VALU_DEP_1) | instskip(SKIP_3) | instid1(VALU_DEP_2)
	v_cmp_gt_i32_e32 vcc_lo, 32, v22
	s_wait_alu 0xfffd
	v_cndmask_b32_e32 v0, v0, v22, vcc_lo
	v_cmp_eq_u32_e32 vcc_lo, 15, v25
	v_lshlrev_b32_e32 v22, 2, v0
	s_wait_dscnt 0x4
	v_dual_add_f32 v0, v2, v1 :: v_dual_add_f32 v1, v3, v15
	s_wait_dscnt 0x3
	v_dual_add_f32 v2, v4, v16 :: v_dual_add_f32 v3, v5, v17
	;; [unrolled: 2-line block ×3, first 2 shown]
	v_dual_add_f32 v6, v7, v20 :: v_dual_add_f32 v7, v14, v21
	ds_bpermute_b32 v13, v22, v0
	ds_bpermute_b32 v14, v22, v1
	;; [unrolled: 1-line block ×8, first 2 shown]
	s_and_b32 exec_lo, exec_lo, vcc_lo
	s_cbranch_execz .LBB127_8
; %bb.36:
	s_load_b64 s[2:3], s[0:1], 0x50
	s_wait_dscnt 0x6
	v_dual_add_f32 v13, v0, v13 :: v_dual_add_f32 v0, v1, v14
	s_wait_dscnt 0x4
	v_dual_add_f32 v14, v2, v15 :: v_dual_add_f32 v1, v3, v16
	;; [unrolled: 2-line block ×4, first 2 shown]
	v_mul_f32_e64 v4, v0, -v11
	v_mul_f32_e32 v5, v10, v0
	v_mul_f32_e64 v6, v1, -v11
	v_dual_mul_f32 v7, v10, v1 :: v_dual_lshlrev_b32 v12, 2, v12
	v_mul_f32_e64 v0, v2, -v11
	v_mul_f32_e32 v1, v10, v2
	v_mul_f32_e64 v2, v3, -v11
	v_mul_f32_e32 v3, v10, v3
	v_cmp_eq_f32_e32 vcc_lo, 0, v8
	v_cmp_eq_f32_e64 s0, 0, v9
	v_dual_fmac_f32 v4, v10, v13 :: v_dual_fmac_f32 v7, v11, v14
	v_dual_fmac_f32 v5, v11, v13 :: v_dual_fmac_f32 v6, v10, v14
	;; [unrolled: 1-line block ×4, first 2 shown]
	s_and_b32 s0, vcc_lo, s0
	s_wait_alu 0xfffe
	s_and_saveexec_b32 s1, s0
	s_wait_alu 0xfffe
	s_xor_b32 s0, exec_lo, s1
	s_cbranch_execz .LBB127_38
; %bb.37:
	v_ashrrev_i32_e32 v13, 31, v12
	s_delay_alu instid0(VALU_DEP_1) | instskip(SKIP_1) | instid1(VALU_DEP_1)
	v_lshlrev_b64_e32 v[8:9], 3, v[12:13]
                                        ; implicit-def: $vgpr12
	s_wait_kmcnt 0x0
	v_add_co_u32 v8, vcc_lo, s2, v8
	s_wait_alu 0xfffd
	s_delay_alu instid0(VALU_DEP_2)
	v_add_co_ci_u32_e64 v9, null, s3, v9, vcc_lo
	s_clause 0x1
	global_store_b128 v[8:9], v[4:7], off
	global_store_b128 v[8:9], v[0:3], off offset:16
                                        ; implicit-def: $vgpr8_vgpr9
                                        ; implicit-def: $vgpr4
                                        ; implicit-def: $vgpr0
.LBB127_38:
	s_wait_alu 0xfffe
	s_and_not1_saveexec_b32 s0, s0
	s_cbranch_execz .LBB127_8
; %bb.39:
	v_ashrrev_i32_e32 v13, 31, v12
	s_delay_alu instid0(VALU_DEP_1) | instskip(SKIP_1) | instid1(VALU_DEP_1)
	v_lshlrev_b64_e32 v[10:11], 3, v[12:13]
	s_wait_kmcnt 0x0
	v_add_co_u32 v18, vcc_lo, s2, v10
	s_wait_alu 0xfffd
	s_delay_alu instid0(VALU_DEP_2)
	v_add_co_ci_u32_e64 v19, null, s3, v11, vcc_lo
	s_clause 0x1
	global_load_b128 v[10:13], v[18:19], off
	global_load_b128 v[14:17], v[18:19], off offset:16
	s_wait_loadcnt 0x1
	v_dual_fmac_f32 v4, v8, v10 :: v_dual_fmac_f32 v7, v9, v12
	v_dual_fmac_f32 v5, v9, v10 :: v_dual_fmac_f32 v6, v8, v12
	s_wait_loadcnt 0x0
	v_dual_fmac_f32 v0, v8, v14 :: v_dual_fmac_f32 v3, v9, v16
	v_dual_fmac_f32 v1, v9, v14 :: v_dual_fmac_f32 v2, v8, v16
	v_fma_f32 v4, -v9, v11, v4
	v_fmac_f32_e32 v5, v8, v11
	v_fma_f32 v6, -v9, v13, v6
	v_fmac_f32_e32 v7, v8, v13
	;; [unrolled: 2-line block ×4, first 2 shown]
	s_clause 0x1
	global_store_b128 v[18:19], v[4:7], off
	global_store_b128 v[18:19], v[0:3], off offset:16
	s_nop 0
	s_sendmsg sendmsg(MSG_DEALLOC_VGPRS)
	s_endpgm
	.section	.rodata,"a",@progbits
	.p2align	6, 0x0
	.amdhsa_kernel _ZN9rocsparseL18bsrxmvn_4x4_kernelILj128ELj16E21rocsparse_complex_numIfElifS2_S2_EEvT3_20rocsparse_direction_NS_24const_host_device_scalarIT1_EES3_PKS3_PKT2_SC_S9_PKT4_PKT5_S7_PT6_21rocsparse_index_base_b
		.amdhsa_group_segment_fixed_size 0
		.amdhsa_private_segment_fixed_size 0
		.amdhsa_kernarg_size 96
		.amdhsa_user_sgpr_count 2
		.amdhsa_user_sgpr_dispatch_ptr 0
		.amdhsa_user_sgpr_queue_ptr 0
		.amdhsa_user_sgpr_kernarg_segment_ptr 1
		.amdhsa_user_sgpr_dispatch_id 0
		.amdhsa_user_sgpr_private_segment_size 0
		.amdhsa_wavefront_size32 1
		.amdhsa_uses_dynamic_stack 0
		.amdhsa_enable_private_segment 0
		.amdhsa_system_sgpr_workgroup_id_x 1
		.amdhsa_system_sgpr_workgroup_id_y 0
		.amdhsa_system_sgpr_workgroup_id_z 0
		.amdhsa_system_sgpr_workgroup_info 0
		.amdhsa_system_vgpr_workitem_id 0
		.amdhsa_next_free_vgpr 125
		.amdhsa_next_free_sgpr 14
		.amdhsa_reserve_vcc 1
		.amdhsa_float_round_mode_32 0
		.amdhsa_float_round_mode_16_64 0
		.amdhsa_float_denorm_mode_32 3
		.amdhsa_float_denorm_mode_16_64 3
		.amdhsa_fp16_overflow 0
		.amdhsa_workgroup_processor_mode 1
		.amdhsa_memory_ordered 1
		.amdhsa_forward_progress 1
		.amdhsa_inst_pref_size 63
		.amdhsa_round_robin_scheduling 0
		.amdhsa_exception_fp_ieee_invalid_op 0
		.amdhsa_exception_fp_denorm_src 0
		.amdhsa_exception_fp_ieee_div_zero 0
		.amdhsa_exception_fp_ieee_overflow 0
		.amdhsa_exception_fp_ieee_underflow 0
		.amdhsa_exception_fp_ieee_inexact 0
		.amdhsa_exception_int_div_zero 0
	.end_amdhsa_kernel
	.section	.text._ZN9rocsparseL18bsrxmvn_4x4_kernelILj128ELj16E21rocsparse_complex_numIfElifS2_S2_EEvT3_20rocsparse_direction_NS_24const_host_device_scalarIT1_EES3_PKS3_PKT2_SC_S9_PKT4_PKT5_S7_PT6_21rocsparse_index_base_b,"axG",@progbits,_ZN9rocsparseL18bsrxmvn_4x4_kernelILj128ELj16E21rocsparse_complex_numIfElifS2_S2_EEvT3_20rocsparse_direction_NS_24const_host_device_scalarIT1_EES3_PKS3_PKT2_SC_S9_PKT4_PKT5_S7_PT6_21rocsparse_index_base_b,comdat
.Lfunc_end127:
	.size	_ZN9rocsparseL18bsrxmvn_4x4_kernelILj128ELj16E21rocsparse_complex_numIfElifS2_S2_EEvT3_20rocsparse_direction_NS_24const_host_device_scalarIT1_EES3_PKS3_PKT2_SC_S9_PKT4_PKT5_S7_PT6_21rocsparse_index_base_b, .Lfunc_end127-_ZN9rocsparseL18bsrxmvn_4x4_kernelILj128ELj16E21rocsparse_complex_numIfElifS2_S2_EEvT3_20rocsparse_direction_NS_24const_host_device_scalarIT1_EES3_PKS3_PKT2_SC_S9_PKT4_PKT5_S7_PT6_21rocsparse_index_base_b
                                        ; -- End function
	.set _ZN9rocsparseL18bsrxmvn_4x4_kernelILj128ELj16E21rocsparse_complex_numIfElifS2_S2_EEvT3_20rocsparse_direction_NS_24const_host_device_scalarIT1_EES3_PKS3_PKT2_SC_S9_PKT4_PKT5_S7_PT6_21rocsparse_index_base_b.num_vgpr, 125
	.set _ZN9rocsparseL18bsrxmvn_4x4_kernelILj128ELj16E21rocsparse_complex_numIfElifS2_S2_EEvT3_20rocsparse_direction_NS_24const_host_device_scalarIT1_EES3_PKS3_PKT2_SC_S9_PKT4_PKT5_S7_PT6_21rocsparse_index_base_b.num_agpr, 0
	.set _ZN9rocsparseL18bsrxmvn_4x4_kernelILj128ELj16E21rocsparse_complex_numIfElifS2_S2_EEvT3_20rocsparse_direction_NS_24const_host_device_scalarIT1_EES3_PKS3_PKT2_SC_S9_PKT4_PKT5_S7_PT6_21rocsparse_index_base_b.numbered_sgpr, 14
	.set _ZN9rocsparseL18bsrxmvn_4x4_kernelILj128ELj16E21rocsparse_complex_numIfElifS2_S2_EEvT3_20rocsparse_direction_NS_24const_host_device_scalarIT1_EES3_PKS3_PKT2_SC_S9_PKT4_PKT5_S7_PT6_21rocsparse_index_base_b.num_named_barrier, 0
	.set _ZN9rocsparseL18bsrxmvn_4x4_kernelILj128ELj16E21rocsparse_complex_numIfElifS2_S2_EEvT3_20rocsparse_direction_NS_24const_host_device_scalarIT1_EES3_PKS3_PKT2_SC_S9_PKT4_PKT5_S7_PT6_21rocsparse_index_base_b.private_seg_size, 0
	.set _ZN9rocsparseL18bsrxmvn_4x4_kernelILj128ELj16E21rocsparse_complex_numIfElifS2_S2_EEvT3_20rocsparse_direction_NS_24const_host_device_scalarIT1_EES3_PKS3_PKT2_SC_S9_PKT4_PKT5_S7_PT6_21rocsparse_index_base_b.uses_vcc, 1
	.set _ZN9rocsparseL18bsrxmvn_4x4_kernelILj128ELj16E21rocsparse_complex_numIfElifS2_S2_EEvT3_20rocsparse_direction_NS_24const_host_device_scalarIT1_EES3_PKS3_PKT2_SC_S9_PKT4_PKT5_S7_PT6_21rocsparse_index_base_b.uses_flat_scratch, 0
	.set _ZN9rocsparseL18bsrxmvn_4x4_kernelILj128ELj16E21rocsparse_complex_numIfElifS2_S2_EEvT3_20rocsparse_direction_NS_24const_host_device_scalarIT1_EES3_PKS3_PKT2_SC_S9_PKT4_PKT5_S7_PT6_21rocsparse_index_base_b.has_dyn_sized_stack, 0
	.set _ZN9rocsparseL18bsrxmvn_4x4_kernelILj128ELj16E21rocsparse_complex_numIfElifS2_S2_EEvT3_20rocsparse_direction_NS_24const_host_device_scalarIT1_EES3_PKS3_PKT2_SC_S9_PKT4_PKT5_S7_PT6_21rocsparse_index_base_b.has_recursion, 0
	.set _ZN9rocsparseL18bsrxmvn_4x4_kernelILj128ELj16E21rocsparse_complex_numIfElifS2_S2_EEvT3_20rocsparse_direction_NS_24const_host_device_scalarIT1_EES3_PKS3_PKT2_SC_S9_PKT4_PKT5_S7_PT6_21rocsparse_index_base_b.has_indirect_call, 0
	.section	.AMDGPU.csdata,"",@progbits
; Kernel info:
; codeLenInByte = 7956
; TotalNumSgprs: 16
; NumVgprs: 125
; ScratchSize: 0
; MemoryBound: 0
; FloatMode: 240
; IeeeMode: 1
; LDSByteSize: 0 bytes/workgroup (compile time only)
; SGPRBlocks: 0
; VGPRBlocks: 15
; NumSGPRsForWavesPerEU: 16
; NumVGPRsForWavesPerEU: 125
; Occupancy: 10
; WaveLimiterHint : 1
; COMPUTE_PGM_RSRC2:SCRATCH_EN: 0
; COMPUTE_PGM_RSRC2:USER_SGPR: 2
; COMPUTE_PGM_RSRC2:TRAP_HANDLER: 0
; COMPUTE_PGM_RSRC2:TGID_X_EN: 1
; COMPUTE_PGM_RSRC2:TGID_Y_EN: 0
; COMPUTE_PGM_RSRC2:TGID_Z_EN: 0
; COMPUTE_PGM_RSRC2:TIDIG_COMP_CNT: 0
	.section	.text._ZN9rocsparseL18bsrxmvn_4x4_kernelILj128ELj32E21rocsparse_complex_numIfElifS2_S2_EEvT3_20rocsparse_direction_NS_24const_host_device_scalarIT1_EES3_PKS3_PKT2_SC_S9_PKT4_PKT5_S7_PT6_21rocsparse_index_base_b,"axG",@progbits,_ZN9rocsparseL18bsrxmvn_4x4_kernelILj128ELj32E21rocsparse_complex_numIfElifS2_S2_EEvT3_20rocsparse_direction_NS_24const_host_device_scalarIT1_EES3_PKS3_PKT2_SC_S9_PKT4_PKT5_S7_PT6_21rocsparse_index_base_b,comdat
	.globl	_ZN9rocsparseL18bsrxmvn_4x4_kernelILj128ELj32E21rocsparse_complex_numIfElifS2_S2_EEvT3_20rocsparse_direction_NS_24const_host_device_scalarIT1_EES3_PKS3_PKT2_SC_S9_PKT4_PKT5_S7_PT6_21rocsparse_index_base_b ; -- Begin function _ZN9rocsparseL18bsrxmvn_4x4_kernelILj128ELj32E21rocsparse_complex_numIfElifS2_S2_EEvT3_20rocsparse_direction_NS_24const_host_device_scalarIT1_EES3_PKS3_PKT2_SC_S9_PKT4_PKT5_S7_PT6_21rocsparse_index_base_b
	.p2align	8
	.type	_ZN9rocsparseL18bsrxmvn_4x4_kernelILj128ELj32E21rocsparse_complex_numIfElifS2_S2_EEvT3_20rocsparse_direction_NS_24const_host_device_scalarIT1_EES3_PKS3_PKT2_SC_S9_PKT4_PKT5_S7_PT6_21rocsparse_index_base_b,@function
_ZN9rocsparseL18bsrxmvn_4x4_kernelILj128ELj32E21rocsparse_complex_numIfElifS2_S2_EEvT3_20rocsparse_direction_NS_24const_host_device_scalarIT1_EES3_PKS3_PKT2_SC_S9_PKT4_PKT5_S7_PT6_21rocsparse_index_base_b: ; @_ZN9rocsparseL18bsrxmvn_4x4_kernelILj128ELj32E21rocsparse_complex_numIfElifS2_S2_EEvT3_20rocsparse_direction_NS_24const_host_device_scalarIT1_EES3_PKS3_PKT2_SC_S9_PKT4_PKT5_S7_PT6_21rocsparse_index_base_b
; %bb.0:
	s_clause 0x2
	s_load_b64 s[12:13], s[0:1], 0x58
	s_load_b64 s[2:3], s[0:1], 0x8
	;; [unrolled: 1-line block ×3, first 2 shown]
	s_add_nc_u64 s[6:7], s[0:1], 8
	s_wait_kmcnt 0x0
	s_bitcmp1_b32 s13, 0
	s_cselect_b32 s2, s6, s2
	s_cselect_b32 s3, s7, s3
	s_delay_alu instid0(SALU_CYCLE_1)
	v_dual_mov_b32 v1, s2 :: v_dual_mov_b32 v2, s3
	s_add_nc_u64 s[2:3], s[0:1], 0x48
	s_wait_alu 0xfffe
	s_cselect_b32 s2, s2, s4
	s_cselect_b32 s3, s3, s5
	flat_load_b64 v[10:11], v[1:2]
	s_wait_alu 0xfffe
	v_dual_mov_b32 v1, s2 :: v_dual_mov_b32 v2, s3
	flat_load_b64 v[8:9], v[1:2]
	s_wait_loadcnt_dscnt 0x101
	v_cmp_eq_f32_e32 vcc_lo, 0, v10
	v_cmp_eq_f32_e64 s2, 0, v11
	s_and_b32 s4, vcc_lo, s2
	s_mov_b32 s2, -1
	s_and_saveexec_b32 s3, s4
	s_cbranch_execz .LBB128_2
; %bb.1:
	s_wait_loadcnt_dscnt 0x0
	v_cmp_neq_f32_e32 vcc_lo, 1.0, v8
	v_cmp_neq_f32_e64 s2, 0, v9
	s_wait_alu 0xfffe
	s_or_b32 s2, vcc_lo, s2
	s_wait_alu 0xfffe
	s_or_not1_b32 s2, s2, exec_lo
.LBB128_2:
	s_wait_alu 0xfffe
	s_or_b32 exec_lo, exec_lo, s3
	s_and_saveexec_b32 s3, s2
	s_cbranch_execz .LBB128_8
; %bb.3:
	s_clause 0x1
	s_load_b64 s[4:5], s[0:1], 0x18
	s_load_b64 s[2:3], s[0:1], 0x0
	v_lshrrev_b32_e32 v1, 5, v0
	s_delay_alu instid0(VALU_DEP_1)
	v_lshl_or_b32 v12, ttmp9, 2, v1
	s_wait_kmcnt 0x0
	s_cmp_lg_u64 s[4:5], 0
	s_cbranch_scc0 .LBB128_9
; %bb.4:
	s_load_b32 s6, s[0:1], 0x10
	s_mov_b32 s7, 0
                                        ; implicit-def: $vgpr1
	s_wait_kmcnt 0x0
	v_cmp_gt_i32_e32 vcc_lo, s6, v12
	s_mov_b32 s6, 0
	s_and_saveexec_b32 s8, vcc_lo
	s_delay_alu instid0(SALU_CYCLE_1)
	s_xor_b32 s8, exec_lo, s8
	s_cbranch_execz .LBB128_6
; %bb.5:
	v_ashrrev_i32_e32 v13, 31, v12
	s_mov_b32 s6, exec_lo
	s_delay_alu instid0(VALU_DEP_1) | instskip(NEXT) | instid1(VALU_DEP_1)
	v_lshlrev_b64_e32 v[1:2], 2, v[12:13]
	v_add_co_u32 v1, vcc_lo, s4, v1
	s_delay_alu instid0(VALU_DEP_1)
	v_add_co_ci_u32_e64 v2, null, s5, v2, vcc_lo
	global_load_b32 v1, v[1:2], off
	s_wait_loadcnt 0x0
	v_subrev_nc_u32_e32 v1, s12, v1
.LBB128_6:
	s_or_b32 exec_lo, exec_lo, s8
	s_delay_alu instid0(SALU_CYCLE_1)
	s_and_b32 vcc_lo, exec_lo, s7
	s_wait_alu 0xfffe
	s_cbranch_vccz .LBB128_10
.LBB128_7:
	v_cmp_gt_i32_e32 vcc_lo, s2, v12
	s_and_not1_b32 s2, s6, exec_lo
	s_and_b32 s4, vcc_lo, exec_lo
	s_wait_alu 0xfffe
	s_or_b32 s6, s2, s4
	s_wait_alu 0xfffe
	s_and_b32 exec_lo, exec_lo, s6
	s_cbranch_execnz .LBB128_11
.LBB128_8:
	s_nop 0
	s_sendmsg sendmsg(MSG_DEALLOC_VGPRS)
	s_endpgm
.LBB128_9:
	s_mov_b32 s6, 0
                                        ; implicit-def: $vgpr1
	s_cbranch_execnz .LBB128_7
.LBB128_10:
	v_mov_b32_e32 v12, v1
	s_and_b32 exec_lo, exec_lo, s6
	s_cbranch_execz .LBB128_8
.LBB128_11:
	s_load_b256 s[4:11], s[0:1], 0x20
	s_delay_alu instid0(VALU_DEP_1) | instskip(SKIP_1) | instid1(VALU_DEP_2)
	v_ashrrev_i32_e32 v13, 31, v12
	v_dual_mov_b32 v26, 0 :: v_dual_and_b32 v25, 31, v0
	v_lshlrev_b64_e32 v[1:2], 3, v[12:13]
	s_wait_kmcnt 0x0
	s_delay_alu instid0(VALU_DEP_1) | instskip(SKIP_1) | instid1(VALU_DEP_2)
	v_add_co_u32 v3, vcc_lo, s4, v1
	s_wait_alu 0xfffd
	v_add_co_ci_u32_e64 v4, null, s5, v2, vcc_lo
	v_add_co_u32 v1, vcc_lo, s6, v1
	s_wait_alu 0xfffd
	v_add_co_ci_u32_e64 v2, null, s7, v2, vcc_lo
	v_add_co_u32 v5, vcc_lo, v3, 8
	global_load_b64 v[13:14], v[3:4], off
	s_wait_alu 0xfffd
	v_add_co_ci_u32_e64 v6, null, 0, v4, vcc_lo
	s_cmp_eq_u64 s[6:7], 0
	s_load_b64 s[4:5], s[0:1], 0x40
	s_cselect_b32 vcc_lo, -1, 0
	s_cmp_eq_u32 s3, 1
	s_wait_alu 0xfffe
	v_dual_cndmask_b32 v2, v2, v6 :: v_dual_cndmask_b32 v1, v1, v5
	global_load_b64 v[2:3], v[1:2], off
	s_wait_loadcnt 0x1
	v_sub_co_u32 v0, vcc_lo, v13, s12
	s_wait_alu 0xfffd
	v_subrev_co_ci_u32_e64 v1, null, 0, v14, vcc_lo
	s_delay_alu instid0(VALU_DEP_2) | instskip(SKIP_1) | instid1(VALU_DEP_2)
	v_add_co_u32 v0, vcc_lo, v0, v25
	s_wait_alu 0xfffd
	v_add_co_ci_u32_e64 v1, null, 0, v1, vcc_lo
	s_delay_alu instid0(VALU_DEP_1) | instskip(SKIP_4) | instid1(VALU_DEP_3)
	v_lshlrev_b64_e32 v[4:5], 6, v[0:1]
	s_wait_loadcnt 0x0
	v_sub_co_u32 v2, vcc_lo, v2, s12
	s_wait_alu 0xfffd
	v_subrev_co_ci_u32_e64 v3, null, 0, v3, vcc_lo
	v_add_co_u32 v6, vcc_lo, s10, v4
	s_delay_alu instid0(VALU_DEP_2)
	v_cmp_lt_i64_e64 s2, v[0:1], v[2:3]
	s_wait_alu 0xfffd
	v_add_co_ci_u32_e64 v7, null, s11, v5, vcc_lo
	s_cbranch_scc1 .LBB128_23
; %bb.12:
	v_dual_mov_b32 v27, 0 :: v_dual_mov_b32 v28, 0
	v_dual_mov_b32 v29, 0 :: v_dual_mov_b32 v30, 0
	;; [unrolled: 1-line block ×3, first 2 shown]
	v_mov_b32_e32 v5, 0
	s_and_saveexec_b32 s3, s2
	s_cbranch_execz .LBB128_22
; %bb.13:
	v_or_b32_e32 v4, 32, v25
	v_not_b32_e32 v17, v13
	s_delay_alu instid0(VALU_DEP_2) | instskip(SKIP_3) | instid1(VALU_DEP_3)
	v_sub_co_u32 v4, s6, v4, s12
	s_wait_alu 0xf1ff
	v_sub_co_ci_u32_e64 v5, null, 0, 0, s6
	v_sub_co_u32 v18, s6, s12, v25
	v_add_co_u32 v15, vcc_lo, v4, v13
	s_wait_alu 0xfffd
	s_delay_alu instid0(VALU_DEP_3) | instskip(SKIP_3) | instid1(VALU_DEP_3)
	v_add_co_ci_u32_e64 v16, null, v5, v14, vcc_lo
	v_not_b32_e32 v4, v14
	s_wait_alu 0xf1ff
	v_sub_co_ci_u32_e64 v19, null, 0, 0, s6
	v_cmp_gt_i64_e32 vcc_lo, v[15:16], v[2:3]
	v_mov_b32_e32 v5, 0
	s_mov_b32 s6, exec_lo
	s_wait_alu 0xfffd
	v_dual_cndmask_b32 v16, v3, v16 :: v_dual_cndmask_b32 v15, v2, v15
	s_delay_alu instid0(VALU_DEP_2) | instskip(SKIP_4) | instid1(VALU_DEP_3)
	v_mov_b32_e32 v32, v5
	v_add_co_u32 v17, vcc_lo, v18, v17
	s_wait_alu 0xfffd
	v_add_co_ci_u32_e64 v4, null, v19, v4, vcc_lo
	v_dual_mov_b32 v31, v5 :: v_dual_mov_b32 v30, v5
	v_add_co_u32 v19, vcc_lo, v17, v15
	s_wait_alu 0xfffd
	s_delay_alu instid0(VALU_DEP_3)
	v_add_co_ci_u32_e64 v20, null, v4, v16, vcc_lo
	v_mov_b32_e32 v16, v7
	v_mov_b32_e32 v18, v1
	v_dual_mov_b32 v29, v5 :: v_dual_and_b32 v4, 0x60, v19
	v_dual_mov_b32 v28, v5 :: v_dual_mov_b32 v27, v5
	v_dual_mov_b32 v26, v5 :: v_dual_mov_b32 v15, v6
	v_mov_b32_e32 v17, v0
	s_delay_alu instid0(VALU_DEP_4)
	v_cmpx_ne_u64_e32 0x60, v[4:5]
	s_cbranch_execz .LBB128_17
; %bb.14:
	v_lshrrev_b32_e32 v4, 5, v19
	v_mov_b32_e32 v26, 0
	v_dual_mov_b32 v18, v1 :: v_dual_mov_b32 v17, v0
	v_dual_mov_b32 v16, v7 :: v_dual_mov_b32 v15, v6
	s_delay_alu instid0(VALU_DEP_4) | instskip(SKIP_2) | instid1(VALU_DEP_3)
	v_add_nc_u32_e32 v21, 1, v4
	v_lshlrev_b64_e32 v[4:5], 2, v[0:1]
	v_dual_mov_b32 v27, 0 :: v_dual_mov_b32 v28, 0
	v_dual_mov_b32 v30, 0 :: v_dual_and_b32 v23, 3, v21
	v_dual_mov_b32 v29, 0 :: v_dual_mov_b32 v32, 0
	s_delay_alu instid0(VALU_DEP_4) | instskip(NEXT) | instid1(VALU_DEP_3)
	v_add_co_u32 v21, vcc_lo, s8, v4
	v_sub_co_u32 v23, s7, 0, v23
	s_wait_alu 0xfffd
	v_add_co_ci_u32_e64 v22, null, s9, v5, vcc_lo
	s_wait_alu 0xf1ff
	v_sub_co_ci_u32_e64 v24, null, 0, 0, s7
	v_mov_b32_e32 v31, 0
	v_mov_b32_e32 v5, 0
	s_mov_b32 s7, 0
.LBB128_15:                             ; =>This Inner Loop Header: Depth=1
	global_load_b32 v4, v[21:22], off
	s_clause 0x3
	global_load_b128 v[33:36], v[15:16], off offset:48
	global_load_b128 v[37:40], v[15:16], off offset:32
	global_load_b128 v[41:44], v[15:16], off offset:16
	global_load_b128 v[45:48], v[15:16], off
	s_wait_loadcnt 0x4
	v_subrev_nc_u32_e32 v4, s12, v4
	s_delay_alu instid0(VALU_DEP_1) | instskip(NEXT) | instid1(VALU_DEP_1)
	v_lshlrev_b32_e32 v49, 2, v4
	v_ashrrev_i32_e32 v50, 31, v49
	s_delay_alu instid0(VALU_DEP_1) | instskip(SKIP_1) | instid1(VALU_DEP_1)
	v_lshlrev_b64_e32 v[49:50], 3, v[49:50]
	s_wait_kmcnt 0x0
	v_add_co_u32 v53, vcc_lo, s4, v49
	s_wait_alu 0xfffd
	s_delay_alu instid0(VALU_DEP_2)
	v_add_co_ci_u32_e64 v54, null, s5, v50, vcc_lo
	v_add_co_u32 v15, vcc_lo, 0x800, v15
	s_wait_alu 0xfffd
	v_add_co_ci_u32_e64 v16, null, 0, v16, vcc_lo
	s_clause 0x1
	global_load_b128 v[49:52], v[53:54], off
	global_load_b128 v[53:56], v[53:54], off offset:16
	v_add_co_u32 v17, vcc_lo, v17, 32
	s_wait_alu 0xfffd
	v_add_co_ci_u32_e64 v18, null, 0, v18, vcc_lo
	v_add_co_u32 v23, vcc_lo, v23, 1
	s_wait_alu 0xfffd
	v_add_co_ci_u32_e64 v24, null, 0, v24, vcc_lo
	;; [unrolled: 3-line block ×3, first 2 shown]
	s_delay_alu instid0(VALU_DEP_3) | instskip(SKIP_4) | instid1(VALU_DEP_1)
	v_cmp_eq_u64_e32 vcc_lo, 0, v[23:24]
	s_wait_alu 0xfffe
	s_or_b32 s7, vcc_lo, s7
	s_wait_loadcnt 0x1
	v_fmac_f32_e32 v5, v33, v49
	v_dual_fmac_f32 v32, v37, v49 :: v_dual_fmac_f32 v5, 0x80000000, v50
	s_delay_alu instid0(VALU_DEP_1) | instskip(NEXT) | instid1(VALU_DEP_1)
	v_dual_fmac_f32 v27, v45, v49 :: v_dual_fmac_f32 v32, 0x80000000, v50
	v_dual_fmac_f32 v26, 0, v49 :: v_dual_fmac_f32 v27, 0x80000000, v50
	s_delay_alu instid0(VALU_DEP_1) | instskip(SKIP_1) | instid1(VALU_DEP_3)
	v_fmac_f32_e32 v26, v45, v50
	v_fmac_f32_e32 v29, v41, v49
	;; [unrolled: 1-line block ×4, first 2 shown]
	s_delay_alu instid0(VALU_DEP_4) | instskip(NEXT) | instid1(VALU_DEP_4)
	v_fmac_f32_e32 v26, 0, v51
	v_dual_fmac_f32 v28, 0, v49 :: v_dual_fmac_f32 v29, 0x80000000, v50
	v_fmac_f32_e32 v31, 0, v49
	v_fmac_f32_e32 v27, 0x80000000, v52
	s_delay_alu instid0(VALU_DEP_4) | instskip(NEXT) | instid1(VALU_DEP_4)
	v_fmac_f32_e32 v26, v46, v52
	v_fmac_f32_e32 v28, v41, v50
	s_delay_alu instid0(VALU_DEP_4) | instskip(SKIP_1) | instid1(VALU_DEP_3)
	v_dual_fmac_f32 v30, 0, v49 :: v_dual_fmac_f32 v31, v33, v50
	v_dual_fmac_f32 v29, v42, v51 :: v_dual_fmac_f32 v32, 0x80000000, v52
	v_fmac_f32_e32 v28, 0, v51
	s_delay_alu instid0(VALU_DEP_3) | instskip(SKIP_2) | instid1(VALU_DEP_2)
	v_dual_fmac_f32 v30, v37, v50 :: v_dual_fmac_f32 v5, v34, v51
	s_wait_loadcnt 0x0
	v_dual_fmac_f32 v26, 0, v53 :: v_dual_fmac_f32 v31, 0, v51
	v_dual_fmac_f32 v29, 0x80000000, v52 :: v_dual_fmac_f32 v30, 0, v51
	;; [unrolled: 1-line block ×3, first 2 shown]
	v_fmac_f32_e32 v5, 0x80000000, v52
	s_delay_alu instid0(VALU_DEP_4) | instskip(NEXT) | instid1(VALU_DEP_4)
	v_dual_fmac_f32 v31, v34, v52 :: v_dual_fmac_f32 v32, v39, v53
	v_dual_fmac_f32 v30, v38, v52 :: v_dual_fmac_f32 v29, v43, v53
	s_delay_alu instid0(VALU_DEP_4) | instskip(NEXT) | instid1(VALU_DEP_3)
	v_fmac_f32_e32 v28, 0, v53
	v_dual_fmac_f32 v5, v35, v53 :: v_dual_fmac_f32 v32, 0x80000000, v54
	s_delay_alu instid0(VALU_DEP_3) | instskip(SKIP_2) | instid1(VALU_DEP_3)
	v_dual_fmac_f32 v30, 0, v53 :: v_dual_fmac_f32 v27, 0x80000000, v54
	v_dual_fmac_f32 v31, 0, v53 :: v_dual_fmac_f32 v26, v47, v54
	v_fmac_f32_e32 v29, 0x80000000, v54
	v_dual_fmac_f32 v28, v43, v54 :: v_dual_fmac_f32 v27, v48, v55
	v_fmac_f32_e32 v5, 0x80000000, v54
	s_delay_alu instid0(VALU_DEP_4) | instskip(SKIP_3) | instid1(VALU_DEP_4)
	v_dual_fmac_f32 v31, v35, v54 :: v_dual_fmac_f32 v32, v40, v55
	v_fmac_f32_e32 v26, 0, v55
	v_dual_fmac_f32 v30, v39, v54 :: v_dual_fmac_f32 v29, v44, v55
	v_fmac_f32_e32 v28, 0, v55
	v_dual_fmac_f32 v5, v36, v55 :: v_dual_fmac_f32 v32, 0x80000000, v56
	s_delay_alu instid0(VALU_DEP_3) | instskip(SKIP_3) | instid1(VALU_DEP_4)
	v_dual_fmac_f32 v30, 0, v55 :: v_dual_fmac_f32 v27, 0x80000000, v56
	v_dual_fmac_f32 v31, 0, v55 :: v_dual_fmac_f32 v26, v48, v56
	v_fmac_f32_e32 v29, 0x80000000, v56
	v_fmac_f32_e32 v28, v44, v56
	;; [unrolled: 1-line block ×5, first 2 shown]
	s_wait_alu 0xfffe
	s_and_not1_b32 exec_lo, exec_lo, s7
	s_cbranch_execnz .LBB128_15
; %bb.16:
	s_or_b32 exec_lo, exec_lo, s7
.LBB128_17:
	s_wait_alu 0xfffe
	s_or_b32 exec_lo, exec_lo, s6
	s_delay_alu instid0(SALU_CYCLE_1)
	s_mov_b32 s6, exec_lo
	v_cmpx_lt_u64_e32 0x5f, v[19:20]
	s_cbranch_execz .LBB128_21
; %bb.18:
	v_lshlrev_b64_e32 v[19:20], 2, v[17:18]
	s_mov_b32 s7, 0
	s_delay_alu instid0(VALU_DEP_1) | instskip(SKIP_1) | instid1(VALU_DEP_2)
	v_add_co_u32 v4, vcc_lo, s8, v19
	s_wait_alu 0xfffd
	v_add_co_ci_u32_e64 v20, null, s9, v20, vcc_lo
	s_delay_alu instid0(VALU_DEP_2) | instskip(SKIP_1) | instid1(VALU_DEP_2)
	v_add_co_u32 v19, vcc_lo, 0x100, v4
	s_wait_alu 0xfffd
	v_add_co_ci_u32_e64 v20, null, 0, v20, vcc_lo
.LBB128_19:                             ; =>This Inner Loop Header: Depth=1
	s_clause 0x3
	global_load_b32 v4, v[19:20], off offset:-256
	global_load_b32 v93, v[19:20], off offset:-128
	global_load_b32 v94, v[19:20], off
	global_load_b32 v95, v[19:20], off offset:128
	s_clause 0xf
	global_load_b128 v[21:24], v[15:16], off offset:48
	global_load_b128 v[33:36], v[15:16], off offset:32
	;; [unrolled: 1-line block ×3, first 2 shown]
	global_load_b128 v[41:44], v[15:16], off
	global_load_b128 v[45:48], v[15:16], off offset:2096
	global_load_b128 v[49:52], v[15:16], off offset:2080
	;; [unrolled: 1-line block ×12, first 2 shown]
	s_wait_loadcnt 0x13
	v_subrev_nc_u32_e32 v4, s12, v4
	s_wait_loadcnt 0x12
	v_subrev_nc_u32_e32 v96, s12, v93
	;; [unrolled: 2-line block ×4, first 2 shown]
	v_lshlrev_b32_e32 v93, 2, v4
	v_lshlrev_b32_e32 v95, 2, v96
	v_lshlrev_b32_e32 v97, 2, v94
	s_delay_alu instid0(VALU_DEP_4) | instskip(NEXT) | instid1(VALU_DEP_4)
	v_lshlrev_b32_e32 v99, 2, v98
	v_ashrrev_i32_e32 v94, 31, v93
	s_delay_alu instid0(VALU_DEP_4) | instskip(NEXT) | instid1(VALU_DEP_4)
	v_ashrrev_i32_e32 v96, 31, v95
	v_ashrrev_i32_e32 v98, 31, v97
	s_delay_alu instid0(VALU_DEP_4) | instskip(NEXT) | instid1(VALU_DEP_4)
	v_ashrrev_i32_e32 v100, 31, v99
	v_lshlrev_b64_e32 v[93:94], 3, v[93:94]
	s_delay_alu instid0(VALU_DEP_4) | instskip(NEXT) | instid1(VALU_DEP_4)
	v_lshlrev_b64_e32 v[95:96], 3, v[95:96]
	v_lshlrev_b64_e32 v[97:98], 3, v[97:98]
	s_delay_alu instid0(VALU_DEP_4) | instskip(SKIP_1) | instid1(VALU_DEP_4)
	v_lshlrev_b64_e32 v[99:100], 3, v[99:100]
	s_wait_kmcnt 0x0
	v_add_co_u32 v101, vcc_lo, s4, v93
	s_wait_alu 0xfffd
	v_add_co_ci_u32_e64 v102, null, s5, v94, vcc_lo
	v_add_co_u32 v105, vcc_lo, s4, v95
	s_wait_alu 0xfffd
	v_add_co_ci_u32_e64 v106, null, s5, v96, vcc_lo
	;; [unrolled: 3-line block ×4, first 2 shown]
	s_clause 0x7
	global_load_b128 v[93:96], v[101:102], off
	global_load_b128 v[97:100], v[101:102], off offset:16
	global_load_b128 v[101:104], v[105:106], off
	global_load_b128 v[105:108], v[105:106], off offset:16
	;; [unrolled: 2-line block ×4, first 2 shown]
	v_add_co_u32 v17, vcc_lo, 0x80, v17
	s_wait_alu 0xfffd
	v_add_co_ci_u32_e64 v18, null, 0, v18, vcc_lo
	v_add_co_u32 v15, vcc_lo, 0x2000, v15
	s_wait_alu 0xfffd
	v_add_co_ci_u32_e64 v16, null, 0, v16, vcc_lo
	;; [unrolled: 3-line block ×3, first 2 shown]
	v_cmp_ge_i64_e32 vcc_lo, v[17:18], v[2:3]
	s_wait_alu 0xfffe
	s_or_b32 s7, vcc_lo, s7
	s_wait_loadcnt 0x7
	v_fmac_f32_e32 v26, 0, v93
	v_fmac_f32_e32 v28, 0, v93
	;; [unrolled: 1-line block ×4, first 2 shown]
	s_delay_alu instid0(VALU_DEP_4) | instskip(SKIP_4) | instid1(VALU_DEP_4)
	v_dual_fmac_f32 v31, 0, v93 :: v_dual_fmac_f32 v26, v41, v94
	v_fmac_f32_e32 v29, v37, v93
	v_fmac_f32_e32 v28, v37, v94
	v_dual_fmac_f32 v5, v21, v93 :: v_dual_fmac_f32 v32, 0x80000000, v94
	v_dual_fmac_f32 v30, 0, v93 :: v_dual_fmac_f32 v27, 0x80000000, v94
	;; [unrolled: 1-line block ×3, first 2 shown]
	s_delay_alu instid0(VALU_DEP_3) | instskip(NEXT) | instid1(VALU_DEP_3)
	v_fmac_f32_e32 v32, v34, v95
	v_dual_fmac_f32 v30, v33, v94 :: v_dual_fmac_f32 v27, v42, v95
	s_delay_alu instid0(VALU_DEP_3) | instskip(SKIP_1) | instid1(VALU_DEP_3)
	v_dual_fmac_f32 v31, v21, v94 :: v_dual_fmac_f32 v26, v42, v96
	v_dual_fmac_f32 v28, 0, v95 :: v_dual_fmac_f32 v5, 0x80000000, v94
	v_fmac_f32_e32 v30, 0, v95
	v_dual_fmac_f32 v29, v38, v95 :: v_dual_fmac_f32 v32, 0x80000000, v96
	s_delay_alu instid0(VALU_DEP_3) | instskip(SKIP_4) | instid1(VALU_DEP_3)
	v_dual_fmac_f32 v31, 0, v95 :: v_dual_fmac_f32 v28, v38, v96
	s_wait_loadcnt 0x6
	v_dual_fmac_f32 v5, v22, v95 :: v_dual_fmac_f32 v26, 0, v97
	v_fmac_f32_e32 v27, 0x80000000, v96
	v_dual_fmac_f32 v29, 0x80000000, v96 :: v_dual_fmac_f32 v32, v35, v97
	v_dual_fmac_f32 v31, v22, v96 :: v_dual_fmac_f32 v26, v43, v98
	v_fmac_f32_e32 v28, 0, v97
	s_delay_alu instid0(VALU_DEP_4) | instskip(SKIP_2) | instid1(VALU_DEP_3)
	v_dual_fmac_f32 v30, v34, v96 :: v_dual_fmac_f32 v27, v43, v97
	v_fmac_f32_e32 v5, 0x80000000, v96
	v_dual_fmac_f32 v29, v39, v97 :: v_dual_fmac_f32 v32, 0x80000000, v98
	v_fmac_f32_e32 v30, 0, v97
	v_dual_fmac_f32 v31, 0, v97 :: v_dual_fmac_f32 v28, v39, v98
	s_delay_alu instid0(VALU_DEP_4) | instskip(SKIP_2) | instid1(VALU_DEP_3)
	v_dual_fmac_f32 v5, v23, v97 :: v_dual_fmac_f32 v26, 0, v99
	v_fmac_f32_e32 v27, 0x80000000, v98
	v_dual_fmac_f32 v29, 0x80000000, v98 :: v_dual_fmac_f32 v32, v36, v99
	v_dual_fmac_f32 v31, v23, v98 :: v_dual_fmac_f32 v26, v44, v100
	v_fmac_f32_e32 v28, 0, v99
	s_delay_alu instid0(VALU_DEP_4) | instskip(SKIP_2) | instid1(VALU_DEP_3)
	v_dual_fmac_f32 v30, v35, v98 :: v_dual_fmac_f32 v27, v44, v99
	v_fmac_f32_e32 v5, 0x80000000, v98
	v_dual_fmac_f32 v29, v40, v99 :: v_dual_fmac_f32 v32, 0x80000000, v100
	v_fmac_f32_e32 v30, 0, v99
	v_dual_fmac_f32 v31, 0, v99 :: v_dual_fmac_f32 v28, v40, v100
	s_wait_loadcnt 0x5
	v_dual_fmac_f32 v5, v24, v99 :: v_dual_fmac_f32 v26, 0, v101
	v_fmac_f32_e32 v27, 0x80000000, v100
	v_dual_fmac_f32 v29, 0x80000000, v100 :: v_dual_fmac_f32 v32, v49, v101
	s_delay_alu instid0(VALU_DEP_3) | instskip(SKIP_1) | instid1(VALU_DEP_4)
	v_dual_fmac_f32 v31, v24, v100 :: v_dual_fmac_f32 v26, v57, v102
	v_fmac_f32_e32 v28, 0, v101
	v_dual_fmac_f32 v30, v36, v100 :: v_dual_fmac_f32 v27, v57, v101
	v_fmac_f32_e32 v5, 0x80000000, v100
	v_dual_fmac_f32 v29, v53, v101 :: v_dual_fmac_f32 v32, 0x80000000, v102
	s_delay_alu instid0(VALU_DEP_3) | instskip(SKIP_1) | instid1(VALU_DEP_4)
	v_fmac_f32_e32 v30, 0, v101
	v_dual_fmac_f32 v31, 0, v101 :: v_dual_fmac_f32 v28, v53, v102
	v_dual_fmac_f32 v5, v45, v101 :: v_dual_fmac_f32 v26, 0, v103
	v_fmac_f32_e32 v27, 0x80000000, v102
	v_dual_fmac_f32 v29, 0x80000000, v102 :: v_dual_fmac_f32 v32, v50, v103
	s_delay_alu instid0(VALU_DEP_3) | instskip(SKIP_1) | instid1(VALU_DEP_4)
	v_dual_fmac_f32 v31, v45, v102 :: v_dual_fmac_f32 v26, v58, v104
	v_fmac_f32_e32 v28, 0, v103
	v_dual_fmac_f32 v30, v49, v102 :: v_dual_fmac_f32 v27, v58, v103
	v_fmac_f32_e32 v5, 0x80000000, v102
	v_dual_fmac_f32 v29, v54, v103 :: v_dual_fmac_f32 v32, 0x80000000, v104
	s_delay_alu instid0(VALU_DEP_3)
	v_fmac_f32_e32 v30, 0, v103
	v_dual_fmac_f32 v31, 0, v103 :: v_dual_fmac_f32 v28, v54, v104
	s_wait_loadcnt 0x4
	v_dual_fmac_f32 v5, v46, v103 :: v_dual_fmac_f32 v26, 0, v105
	v_fmac_f32_e32 v27, 0x80000000, v104
	v_dual_fmac_f32 v29, 0x80000000, v104 :: v_dual_fmac_f32 v32, v51, v105
	s_delay_alu instid0(VALU_DEP_3) | instskip(SKIP_1) | instid1(VALU_DEP_4)
	v_dual_fmac_f32 v31, v46, v104 :: v_dual_fmac_f32 v26, v59, v106
	v_fmac_f32_e32 v28, 0, v105
	v_dual_fmac_f32 v30, v50, v104 :: v_dual_fmac_f32 v27, v59, v105
	v_fmac_f32_e32 v5, 0x80000000, v104
	v_dual_fmac_f32 v29, v55, v105 :: v_dual_fmac_f32 v32, 0x80000000, v106
	s_delay_alu instid0(VALU_DEP_3) | instskip(SKIP_1) | instid1(VALU_DEP_4)
	v_fmac_f32_e32 v30, 0, v105
	v_dual_fmac_f32 v31, 0, v105 :: v_dual_fmac_f32 v28, v55, v106
	v_dual_fmac_f32 v5, v47, v105 :: v_dual_fmac_f32 v26, 0, v107
	v_fmac_f32_e32 v27, 0x80000000, v106
	v_dual_fmac_f32 v29, 0x80000000, v106 :: v_dual_fmac_f32 v32, v52, v107
	s_delay_alu instid0(VALU_DEP_3) | instskip(SKIP_1) | instid1(VALU_DEP_4)
	v_dual_fmac_f32 v31, v47, v106 :: v_dual_fmac_f32 v26, v60, v108
	v_fmac_f32_e32 v28, 0, v107
	v_dual_fmac_f32 v30, v51, v106 :: v_dual_fmac_f32 v27, v60, v107
	v_fmac_f32_e32 v5, 0x80000000, v106
	v_dual_fmac_f32 v29, v56, v107 :: v_dual_fmac_f32 v32, 0x80000000, v108
	s_delay_alu instid0(VALU_DEP_3)
	;; [unrolled: 25-line block ×5, first 2 shown]
	v_fmac_f32_e32 v30, 0, v119
	v_dual_fmac_f32 v31, 0, v119 :: v_dual_fmac_f32 v28, v86, v120
	s_wait_loadcnt 0x0
	v_dual_fmac_f32 v5, v78, v119 :: v_dual_fmac_f32 v26, 0, v121
	v_fmac_f32_e32 v27, 0x80000000, v120
	v_dual_fmac_f32 v29, 0x80000000, v120 :: v_dual_fmac_f32 v32, v83, v121
	s_delay_alu instid0(VALU_DEP_3) | instskip(SKIP_1) | instid1(VALU_DEP_4)
	v_dual_fmac_f32 v31, v78, v120 :: v_dual_fmac_f32 v26, v91, v122
	v_fmac_f32_e32 v28, 0, v121
	v_dual_fmac_f32 v30, v82, v120 :: v_dual_fmac_f32 v27, v91, v121
	v_fmac_f32_e32 v5, 0x80000000, v120
	v_dual_fmac_f32 v29, v87, v121 :: v_dual_fmac_f32 v32, 0x80000000, v122
	s_delay_alu instid0(VALU_DEP_3) | instskip(SKIP_1) | instid1(VALU_DEP_4)
	v_fmac_f32_e32 v30, 0, v121
	v_dual_fmac_f32 v31, 0, v121 :: v_dual_fmac_f32 v28, v87, v122
	v_dual_fmac_f32 v5, v79, v121 :: v_dual_fmac_f32 v26, 0, v123
	v_fmac_f32_e32 v27, 0x80000000, v122
	v_dual_fmac_f32 v29, 0x80000000, v122 :: v_dual_fmac_f32 v32, v84, v123
	s_delay_alu instid0(VALU_DEP_3) | instskip(SKIP_1) | instid1(VALU_DEP_4)
	v_dual_fmac_f32 v31, v79, v122 :: v_dual_fmac_f32 v26, v92, v124
	v_fmac_f32_e32 v28, 0, v123
	v_dual_fmac_f32 v30, v83, v122 :: v_dual_fmac_f32 v27, v92, v123
	v_fmac_f32_e32 v5, 0x80000000, v122
	v_dual_fmac_f32 v29, v88, v123 :: v_dual_fmac_f32 v32, 0x80000000, v124
	s_delay_alu instid0(VALU_DEP_3) | instskip(SKIP_1) | instid1(VALU_DEP_4)
	v_fmac_f32_e32 v30, 0, v123
	v_dual_fmac_f32 v31, 0, v123 :: v_dual_fmac_f32 v28, v88, v124
	v_fmac_f32_e32 v5, v80, v123
	v_fmac_f32_e32 v27, 0x80000000, v124
	;; [unrolled: 1-line block ×6, first 2 shown]
	s_wait_alu 0xfffe
	s_and_not1_b32 exec_lo, exec_lo, s7
	s_cbranch_execnz .LBB128_19
; %bb.20:
	s_or_b32 exec_lo, exec_lo, s7
.LBB128_21:
	s_wait_alu 0xfffe
	s_or_b32 exec_lo, exec_lo, s6
.LBB128_22:
	s_wait_alu 0xfffe
	s_or_b32 exec_lo, exec_lo, s3
	s_cbranch_execz .LBB128_24
	s_branch .LBB128_35
.LBB128_23:
                                        ; implicit-def: $vgpr26
                                        ; implicit-def: $vgpr27
                                        ; implicit-def: $vgpr28
                                        ; implicit-def: $vgpr29
                                        ; implicit-def: $vgpr30
                                        ; implicit-def: $vgpr32
                                        ; implicit-def: $vgpr31
                                        ; implicit-def: $vgpr5
.LBB128_24:
	v_dual_mov_b32 v26, 0 :: v_dual_mov_b32 v27, 0
	v_dual_mov_b32 v28, 0 :: v_dual_mov_b32 v29, 0
	v_dual_mov_b32 v30, 0 :: v_dual_mov_b32 v31, 0
	v_dual_mov_b32 v32, 0 :: v_dual_mov_b32 v5, 0
	s_and_saveexec_b32 s3, s2
	s_cbranch_execz .LBB128_34
; %bb.25:
	v_or_b32_e32 v4, 32, v25
	s_delay_alu instid0(VALU_DEP_1) | instskip(SKIP_3) | instid1(VALU_DEP_3)
	v_sub_co_u32 v4, s2, v4, s12
	s_wait_alu 0xf1ff
	v_sub_co_ci_u32_e64 v5, null, 0, 0, s2
	v_sub_co_u32 v15, s2, s12, v25
	v_add_co_u32 v4, vcc_lo, v4, v13
	s_wait_alu 0xfffd
	s_delay_alu instid0(VALU_DEP_3)
	v_add_co_ci_u32_e64 v5, null, v5, v14, vcc_lo
	v_not_b32_e32 v13, v13
	v_not_b32_e32 v14, v14
	s_wait_alu 0xf1ff
	v_sub_co_ci_u32_e64 v16, null, 0, 0, s2
	v_cmp_gt_i64_e32 vcc_lo, v[4:5], v[2:3]
	v_add_co_u32 v13, s2, v15, v13
	s_wait_alu 0xf1ff
	s_delay_alu instid0(VALU_DEP_3) | instskip(SKIP_3) | instid1(VALU_DEP_1)
	v_add_co_ci_u32_e64 v14, null, v16, v14, s2
	s_mov_b32 s2, exec_lo
	s_wait_alu 0xfffd
	v_dual_cndmask_b32 v15, v3, v5 :: v_dual_cndmask_b32 v4, v2, v4
	v_add_co_u32 v13, vcc_lo, v13, v4
	v_mov_b32_e32 v5, 0
	s_wait_alu 0xfffd
	s_delay_alu instid0(VALU_DEP_3) | instskip(NEXT) | instid1(VALU_DEP_2)
	v_add_co_ci_u32_e64 v14, null, v14, v15, vcc_lo
	v_dual_mov_b32 v31, v5 :: v_dual_and_b32 v4, 0x60, v13
	v_mov_b32_e32 v32, v5
	v_dual_mov_b32 v30, v5 :: v_dual_mov_b32 v29, v5
	v_dual_mov_b32 v28, v5 :: v_dual_mov_b32 v27, v5
	v_mov_b32_e32 v26, v5
	v_cmpx_ne_u64_e32 0x60, v[4:5]
	s_cbranch_execz .LBB128_29
; %bb.26:
	v_lshrrev_b32_e32 v4, 5, v13
	v_dual_mov_b32 v26, 0 :: v_dual_mov_b32 v27, 0
	v_dual_mov_b32 v28, 0 :: v_dual_mov_b32 v29, 0
	s_delay_alu instid0(VALU_DEP_3) | instskip(SKIP_2) | instid1(VALU_DEP_3)
	v_dual_mov_b32 v30, 0 :: v_dual_add_nc_u32 v15, 1, v4
	v_lshlrev_b64_e32 v[4:5], 2, v[0:1]
	v_dual_mov_b32 v31, 0 :: v_dual_mov_b32 v32, 0
	v_and_b32_e32 v17, 3, v15
	s_delay_alu instid0(VALU_DEP_3) | instskip(SKIP_1) | instid1(VALU_DEP_4)
	v_add_co_u32 v15, vcc_lo, s8, v4
	s_wait_alu 0xfffd
	v_add_co_ci_u32_e64 v16, null, s9, v5, vcc_lo
	s_delay_alu instid0(VALU_DEP_3)
	v_sub_co_u32 v17, s6, 0, v17
	s_wait_alu 0xf1ff
	v_sub_co_ci_u32_e64 v18, null, 0, 0, s6
	v_mov_b32_e32 v5, 0
	s_mov_b32 s6, 0
.LBB128_27:                             ; =>This Inner Loop Header: Depth=1
	global_load_b32 v4, v[15:16], off
	s_clause 0x1
	global_load_b128 v[19:22], v[6:7], off offset:16
	global_load_b128 v[33:36], v[6:7], off
	s_wait_loadcnt 0x2
	v_subrev_nc_u32_e32 v4, s12, v4
	s_delay_alu instid0(VALU_DEP_1) | instskip(NEXT) | instid1(VALU_DEP_1)
	v_lshlrev_b32_e32 v23, 2, v4
	v_ashrrev_i32_e32 v24, 31, v23
	s_delay_alu instid0(VALU_DEP_1) | instskip(SKIP_1) | instid1(VALU_DEP_1)
	v_lshlrev_b64_e32 v[23:24], 3, v[23:24]
	s_wait_kmcnt 0x0
	v_add_co_u32 v23, vcc_lo, s4, v23
	s_wait_alu 0xfffd
	s_delay_alu instid0(VALU_DEP_2)
	v_add_co_ci_u32_e64 v24, null, s5, v24, vcc_lo
	s_clause 0x1
	global_load_b128 v[37:40], v[23:24], off
	global_load_b128 v[41:44], v[23:24], off offset:16
	s_clause 0x1
	global_load_b128 v[45:48], v[6:7], off offset:32
	global_load_b128 v[49:52], v[6:7], off offset:48
	v_add_co_u32 v6, vcc_lo, 0x800, v6
	s_wait_alu 0xfffd
	v_add_co_ci_u32_e64 v7, null, 0, v7, vcc_lo
	v_add_co_u32 v0, vcc_lo, v0, 32
	s_wait_alu 0xfffd
	v_add_co_ci_u32_e64 v1, null, 0, v1, vcc_lo
	;; [unrolled: 3-line block ×4, first 2 shown]
	s_delay_alu instid0(VALU_DEP_3)
	v_cmp_eq_u64_e32 vcc_lo, 0, v[17:18]
	s_wait_alu 0xfffe
	s_or_b32 s6, vcc_lo, s6
	s_wait_loadcnt 0x3
	v_fmac_f32_e32 v26, 0, v37
	v_fmac_f32_e32 v29, v34, v37
	;; [unrolled: 1-line block ×4, first 2 shown]
	s_delay_alu instid0(VALU_DEP_4) | instskip(NEXT) | instid1(VALU_DEP_4)
	v_fmac_f32_e32 v26, v33, v38
	v_dual_fmac_f32 v32, v35, v37 :: v_dual_fmac_f32 v29, 0x80000000, v38
	s_delay_alu instid0(VALU_DEP_4) | instskip(NEXT) | instid1(VALU_DEP_4)
	v_dual_fmac_f32 v5, v36, v37 :: v_dual_fmac_f32 v28, v34, v38
	v_fmac_f32_e32 v27, 0x80000000, v38
	s_delay_alu instid0(VALU_DEP_3) | instskip(NEXT) | instid1(VALU_DEP_3)
	v_fmac_f32_e32 v32, 0x80000000, v38
	v_dual_fmac_f32 v30, 0, v37 :: v_dual_fmac_f32 v5, 0x80000000, v38
	v_dual_fmac_f32 v31, 0, v37 :: v_dual_fmac_f32 v26, 0, v39
	s_delay_alu instid0(VALU_DEP_2) | instskip(NEXT) | instid1(VALU_DEP_2)
	v_dual_fmac_f32 v29, v20, v39 :: v_dual_fmac_f32 v30, v35, v38
	v_dual_fmac_f32 v28, 0, v39 :: v_dual_fmac_f32 v31, v36, v38
	s_delay_alu instid0(VALU_DEP_3) | instskip(NEXT) | instid1(VALU_DEP_3)
	v_fmac_f32_e32 v26, v19, v40
	v_dual_fmac_f32 v32, v21, v39 :: v_dual_fmac_f32 v29, 0x80000000, v40
	v_fmac_f32_e32 v5, v22, v39
	s_delay_alu instid0(VALU_DEP_4) | instskip(NEXT) | instid1(VALU_DEP_3)
	v_dual_fmac_f32 v27, v19, v39 :: v_dual_fmac_f32 v28, v20, v40
	v_fmac_f32_e32 v32, 0x80000000, v40
	s_delay_alu instid0(VALU_DEP_3) | instskip(SKIP_3) | instid1(VALU_DEP_2)
	v_dual_fmac_f32 v30, 0, v39 :: v_dual_fmac_f32 v5, 0x80000000, v40
	s_wait_loadcnt 0x2
	v_dual_fmac_f32 v31, 0, v39 :: v_dual_fmac_f32 v26, 0, v41
	s_wait_loadcnt 0x1
	v_dual_fmac_f32 v29, v46, v41 :: v_dual_fmac_f32 v30, v21, v40
	v_fmac_f32_e32 v27, 0x80000000, v40
	s_delay_alu instid0(VALU_DEP_3) | instskip(NEXT) | instid1(VALU_DEP_3)
	v_dual_fmac_f32 v31, v22, v40 :: v_dual_fmac_f32 v26, v45, v42
	v_dual_fmac_f32 v32, v47, v41 :: v_dual_fmac_f32 v29, 0x80000000, v42
	v_fmac_f32_e32 v5, v48, v41
	v_fmac_f32_e32 v28, 0, v41
	s_delay_alu instid0(VALU_DEP_3) | instskip(NEXT) | instid1(VALU_DEP_3)
	v_dual_fmac_f32 v27, v45, v41 :: v_dual_fmac_f32 v32, 0x80000000, v42
	v_dual_fmac_f32 v30, 0, v41 :: v_dual_fmac_f32 v5, 0x80000000, v42
	;; [unrolled: 1-line block ×3, first 2 shown]
	s_wait_loadcnt 0x0
	s_delay_alu instid0(VALU_DEP_2) | instskip(SKIP_1) | instid1(VALU_DEP_3)
	v_dual_fmac_f32 v29, v50, v43 :: v_dual_fmac_f32 v30, v47, v42
	v_fmac_f32_e32 v28, v46, v42
	v_fmac_f32_e32 v31, v48, v42
	v_dual_fmac_f32 v27, 0x80000000, v42 :: v_dual_fmac_f32 v26, v49, v44
	s_delay_alu instid0(VALU_DEP_4) | instskip(SKIP_2) | instid1(VALU_DEP_3)
	v_dual_fmac_f32 v32, v51, v43 :: v_dual_fmac_f32 v29, 0x80000000, v44
	v_fmac_f32_e32 v5, v52, v43
	v_fmac_f32_e32 v28, 0, v43
	v_dual_fmac_f32 v27, v49, v43 :: v_dual_fmac_f32 v32, 0x80000000, v44
	s_delay_alu instid0(VALU_DEP_3) | instskip(NEXT) | instid1(VALU_DEP_3)
	v_dual_fmac_f32 v30, 0, v43 :: v_dual_fmac_f32 v5, 0x80000000, v44
	v_dual_fmac_f32 v31, 0, v43 :: v_dual_fmac_f32 v28, v50, v44
	s_delay_alu instid0(VALU_DEP_3) | instskip(NEXT) | instid1(VALU_DEP_3)
	v_fmac_f32_e32 v27, 0x80000000, v44
	v_fmac_f32_e32 v30, v51, v44
	s_delay_alu instid0(VALU_DEP_3)
	v_fmac_f32_e32 v31, v52, v44
	s_wait_alu 0xfffe
	s_and_not1_b32 exec_lo, exec_lo, s6
	s_cbranch_execnz .LBB128_27
; %bb.28:
	s_or_b32 exec_lo, exec_lo, s6
.LBB128_29:
	s_wait_alu 0xfffe
	s_or_b32 exec_lo, exec_lo, s2
	s_delay_alu instid0(SALU_CYCLE_1)
	s_mov_b32 s2, exec_lo
	v_cmpx_lt_u64_e32 0x5f, v[13:14]
	s_cbranch_execz .LBB128_33
; %bb.30:
	v_lshlrev_b64_e32 v[13:14], 2, v[0:1]
	s_mov_b32 s6, 0
	s_delay_alu instid0(VALU_DEP_1) | instskip(SKIP_1) | instid1(VALU_DEP_2)
	v_add_co_u32 v4, vcc_lo, s8, v13
	s_wait_alu 0xfffd
	v_add_co_ci_u32_e64 v14, null, s9, v14, vcc_lo
	s_delay_alu instid0(VALU_DEP_2) | instskip(SKIP_1) | instid1(VALU_DEP_2)
	v_add_co_u32 v13, vcc_lo, 0x100, v4
	s_wait_alu 0xfffd
	v_add_co_ci_u32_e64 v14, null, 0, v14, vcc_lo
.LBB128_31:                             ; =>This Inner Loop Header: Depth=1
	s_clause 0x3
	global_load_b32 v4, v[13:14], off offset:-256
	global_load_b32 v23, v[13:14], off offset:-128
	global_load_b32 v24, v[13:14], off
	global_load_b32 v81, v[13:14], off offset:128
	s_clause 0xd
	global_load_b128 v[15:18], v[6:7], off offset:48
	global_load_b128 v[19:22], v[6:7], off offset:32
	;; [unrolled: 1-line block ×3, first 2 shown]
	global_load_b128 v[37:40], v[6:7], off
	global_load_b128 v[41:44], v[6:7], off offset:2096
	global_load_b128 v[45:48], v[6:7], off offset:2080
	;; [unrolled: 1-line block ×10, first 2 shown]
	s_wait_loadcnt 0x11
	v_subrev_nc_u32_e32 v4, s12, v4
	s_wait_loadcnt 0x10
	v_subrev_nc_u32_e32 v82, s12, v23
	;; [unrolled: 2-line block ×4, first 2 shown]
	v_lshlrev_b32_e32 v23, 2, v4
	v_lshlrev_b32_e32 v81, 2, v82
	;; [unrolled: 1-line block ×3, first 2 shown]
	s_delay_alu instid0(VALU_DEP_4) | instskip(NEXT) | instid1(VALU_DEP_4)
	v_lshlrev_b32_e32 v85, 2, v84
	v_ashrrev_i32_e32 v24, 31, v23
	s_delay_alu instid0(VALU_DEP_4) | instskip(NEXT) | instid1(VALU_DEP_4)
	v_ashrrev_i32_e32 v82, 31, v81
	v_ashrrev_i32_e32 v84, 31, v83
	s_delay_alu instid0(VALU_DEP_4) | instskip(NEXT) | instid1(VALU_DEP_4)
	v_ashrrev_i32_e32 v86, 31, v85
	v_lshlrev_b64_e32 v[23:24], 3, v[23:24]
	s_delay_alu instid0(VALU_DEP_4) | instskip(NEXT) | instid1(VALU_DEP_4)
	v_lshlrev_b64_e32 v[81:82], 3, v[81:82]
	v_lshlrev_b64_e32 v[83:84], 3, v[83:84]
	s_delay_alu instid0(VALU_DEP_4) | instskip(SKIP_1) | instid1(VALU_DEP_4)
	v_lshlrev_b64_e32 v[85:86], 3, v[85:86]
	s_wait_kmcnt 0x0
	v_add_co_u32 v23, vcc_lo, s4, v23
	s_wait_alu 0xfffd
	v_add_co_ci_u32_e64 v24, null, s5, v24, vcc_lo
	v_add_co_u32 v93, vcc_lo, s4, v81
	s_wait_alu 0xfffd
	v_add_co_ci_u32_e64 v94, null, s5, v82, vcc_lo
	;; [unrolled: 3-line block ×4, first 2 shown]
	s_clause 0x6
	global_load_b128 v[81:84], v[23:24], off
	global_load_b128 v[85:88], v[23:24], off offset:16
	global_load_b128 v[89:92], v[93:94], off
	global_load_b128 v[93:96], v[93:94], off offset:16
	;; [unrolled: 2-line block ×4, first 2 shown]
	global_load_b128 v[113:116], v[113:114], off offset:16
	global_load_b128 v[117:120], v[6:7], off offset:6192
	v_add_co_u32 v6, vcc_lo, 0x2000, v6
	s_wait_alu 0xfffd
	v_add_co_ci_u32_e64 v7, null, 0, v7, vcc_lo
	v_add_co_u32 v0, vcc_lo, 0x80, v0
	s_wait_alu 0xfffd
	v_add_co_ci_u32_e64 v1, null, 0, v1, vcc_lo
	;; [unrolled: 3-line block ×3, first 2 shown]
	s_delay_alu instid0(VALU_DEP_3)
	v_cmp_ge_i64_e32 vcc_lo, v[0:1], v[2:3]
	s_wait_alu 0xfffe
	s_or_b32 s6, vcc_lo, s6
	s_wait_loadcnt 0x9
	v_fmac_f32_e32 v28, 0, v81
	v_fmac_f32_e32 v27, v37, v81
	;; [unrolled: 1-line block ×5, first 2 shown]
	v_dual_fmac_f32 v5, v40, v81 :: v_dual_fmac_f32 v28, v38, v82
	v_dual_fmac_f32 v30, 0, v81 :: v_dual_fmac_f32 v27, 0x80000000, v82
	;; [unrolled: 1-line block ×3, first 2 shown]
	s_delay_alu instid0(VALU_DEP_4) | instskip(NEXT) | instid1(VALU_DEP_3)
	v_fmac_f32_e32 v32, 0x80000000, v82
	v_fmac_f32_e32 v30, v39, v82
	;; [unrolled: 1-line block ×3, first 2 shown]
	s_delay_alu instid0(VALU_DEP_4) | instskip(NEXT) | instid1(VALU_DEP_3)
	v_dual_fmac_f32 v31, v40, v82 :: v_dual_fmac_f32 v28, 0, v83
	v_dual_fmac_f32 v5, 0x80000000, v82 :: v_dual_fmac_f32 v30, 0, v83
	v_fmac_f32_e32 v27, v33, v83
	v_fmac_f32_e32 v26, 0, v83
	v_fmac_f32_e32 v32, v35, v83
	v_fmac_f32_e32 v29, v34, v83
	v_dual_fmac_f32 v31, 0, v83 :: v_dual_fmac_f32 v30, v35, v84
	s_delay_alu instid0(VALU_DEP_3)
	v_dual_fmac_f32 v5, v36, v83 :: v_dual_fmac_f32 v32, 0x80000000, v84
	v_fmac_f32_e32 v26, v33, v84
	v_fmac_f32_e32 v28, v34, v84
	;; [unrolled: 1-line block ×4, first 2 shown]
	s_wait_loadcnt 0x8
	v_dual_fmac_f32 v29, 0x80000000, v84 :: v_dual_fmac_f32 v32, v21, v85
	v_dual_fmac_f32 v5, 0x80000000, v84 :: v_dual_fmac_f32 v30, 0, v85
	v_fmac_f32_e32 v26, 0, v85
	s_delay_alu instid0(VALU_DEP_3)
	v_fmac_f32_e32 v29, v20, v85
	v_fmac_f32_e32 v28, 0, v85
	;; [unrolled: 1-line block ×3, first 2 shown]
	v_dual_fmac_f32 v31, 0, v85 :: v_dual_fmac_f32 v30, v21, v86
	v_dual_fmac_f32 v5, v22, v85 :: v_dual_fmac_f32 v32, 0x80000000, v86
	v_fmac_f32_e32 v26, v19, v86
	v_fmac_f32_e32 v28, v20, v86
	;; [unrolled: 1-line block ×4, first 2 shown]
	v_dual_fmac_f32 v29, 0x80000000, v86 :: v_dual_fmac_f32 v32, v17, v87
	v_dual_fmac_f32 v5, 0x80000000, v86 :: v_dual_fmac_f32 v30, 0, v87
	v_fmac_f32_e32 v26, 0, v87
	s_delay_alu instid0(VALU_DEP_3)
	v_fmac_f32_e32 v29, v16, v87
	v_fmac_f32_e32 v28, 0, v87
	;; [unrolled: 1-line block ×3, first 2 shown]
	v_dual_fmac_f32 v31, 0, v87 :: v_dual_fmac_f32 v30, v17, v88
	v_dual_fmac_f32 v5, v18, v87 :: v_dual_fmac_f32 v32, 0x80000000, v88
	v_fmac_f32_e32 v26, v15, v88
	v_fmac_f32_e32 v28, v16, v88
	;; [unrolled: 1-line block ×4, first 2 shown]
	s_wait_loadcnt 0x7
	v_dual_fmac_f32 v29, 0x80000000, v88 :: v_dual_fmac_f32 v32, v55, v89
	v_dual_fmac_f32 v5, 0x80000000, v88 :: v_dual_fmac_f32 v30, 0, v89
	v_fmac_f32_e32 v26, 0, v89
	s_delay_alu instid0(VALU_DEP_3)
	v_fmac_f32_e32 v29, v54, v89
	v_fmac_f32_e32 v28, 0, v89
	v_fmac_f32_e32 v27, v53, v89
	v_dual_fmac_f32 v5, v56, v89 :: v_dual_fmac_f32 v32, 0x80000000, v90
	v_dual_fmac_f32 v31, 0, v89 :: v_dual_fmac_f32 v30, v55, v90
	v_fmac_f32_e32 v26, v53, v90
	v_fmac_f32_e32 v28, v54, v90
	v_fmac_f32_e32 v27, 0x80000000, v90
	v_fmac_f32_e32 v29, 0x80000000, v90
	v_dual_fmac_f32 v5, 0x80000000, v90 :: v_dual_fmac_f32 v32, v51, v91
	v_dual_fmac_f32 v31, v56, v90 :: v_dual_fmac_f32 v30, 0, v91
	v_fmac_f32_e32 v26, 0, v91
	v_fmac_f32_e32 v28, 0, v91
	v_fmac_f32_e32 v27, v49, v91
	v_fmac_f32_e32 v29, v50, v91
	v_dual_fmac_f32 v5, v52, v91 :: v_dual_fmac_f32 v32, 0x80000000, v92
	v_dual_fmac_f32 v31, 0, v91 :: v_dual_fmac_f32 v30, v51, v92
	v_fmac_f32_e32 v26, v49, v92
	v_fmac_f32_e32 v28, v50, v92
	v_fmac_f32_e32 v27, 0x80000000, v92
	v_fmac_f32_e32 v29, 0x80000000, v92
	s_wait_loadcnt 0x6
	v_dual_fmac_f32 v5, 0x80000000, v92 :: v_dual_fmac_f32 v32, v47, v93
	v_dual_fmac_f32 v31, v52, v92 :: v_dual_fmac_f32 v30, 0, v93
	v_fmac_f32_e32 v26, 0, v93
	v_fmac_f32_e32 v28, 0, v93
	v_fmac_f32_e32 v27, v45, v93
	v_fmac_f32_e32 v29, v46, v93
	v_dual_fmac_f32 v5, v48, v93 :: v_dual_fmac_f32 v32, 0x80000000, v94
	v_dual_fmac_f32 v31, 0, v93 :: v_dual_fmac_f32 v30, v47, v94
	v_fmac_f32_e32 v26, v45, v94
	v_fmac_f32_e32 v28, v46, v94
	v_fmac_f32_e32 v27, 0x80000000, v94
	v_fmac_f32_e32 v29, 0x80000000, v94
	v_dual_fmac_f32 v5, 0x80000000, v94 :: v_dual_fmac_f32 v32, v43, v95
	v_dual_fmac_f32 v31, v48, v94 :: v_dual_fmac_f32 v30, 0, v95
	v_fmac_f32_e32 v26, 0, v95
	v_fmac_f32_e32 v28, 0, v95
	v_fmac_f32_e32 v27, v41, v95
	v_fmac_f32_e32 v29, v42, v95
	v_dual_fmac_f32 v5, v44, v95 :: v_dual_fmac_f32 v32, 0x80000000, v96
	v_dual_fmac_f32 v31, 0, v95 :: v_dual_fmac_f32 v30, v43, v96
	v_fmac_f32_e32 v26, v41, v96
	v_fmac_f32_e32 v28, v42, v96
	v_fmac_f32_e32 v27, 0x80000000, v96
	v_fmac_f32_e32 v29, 0x80000000, v96
	s_wait_loadcnt 0x5
	v_dual_fmac_f32 v5, 0x80000000, v96 :: v_dual_fmac_f32 v32, v71, v97
	v_dual_fmac_f32 v31, v44, v96 :: v_dual_fmac_f32 v30, 0, v97
	v_fmac_f32_e32 v26, 0, v97
	;; [unrolled: 25-line block ×5, first 2 shown]
	v_fmac_f32_e32 v28, 0, v113
	v_fmac_f32_e32 v27, v109, v113
	;; [unrolled: 1-line block ×3, first 2 shown]
	v_dual_fmac_f32 v5, v112, v113 :: v_dual_fmac_f32 v32, 0x80000000, v114
	v_dual_fmac_f32 v31, 0, v113 :: v_dual_fmac_f32 v30, v111, v114
	v_fmac_f32_e32 v26, v109, v114
	v_fmac_f32_e32 v28, v110, v114
	;; [unrolled: 1-line block ×4, first 2 shown]
	s_wait_loadcnt 0x0
	v_dual_fmac_f32 v5, 0x80000000, v114 :: v_dual_fmac_f32 v32, v119, v115
	v_dual_fmac_f32 v31, v112, v114 :: v_dual_fmac_f32 v30, 0, v115
	v_fmac_f32_e32 v26, 0, v115
	v_fmac_f32_e32 v28, 0, v115
	;; [unrolled: 1-line block ×4, first 2 shown]
	v_dual_fmac_f32 v5, v120, v115 :: v_dual_fmac_f32 v32, 0x80000000, v116
	v_dual_fmac_f32 v31, 0, v115 :: v_dual_fmac_f32 v30, v119, v116
	v_fmac_f32_e32 v26, v117, v116
	s_delay_alu instid0(VALU_DEP_4)
	v_fmac_f32_e32 v29, 0x80000000, v116
	v_fmac_f32_e32 v28, v118, v116
	;; [unrolled: 1-line block ×5, first 2 shown]
	s_wait_alu 0xfffe
	s_and_not1_b32 exec_lo, exec_lo, s6
	s_cbranch_execnz .LBB128_31
; %bb.32:
	s_or_b32 exec_lo, exec_lo, s6
.LBB128_33:
	s_wait_alu 0xfffe
	s_or_b32 exec_lo, exec_lo, s2
.LBB128_34:
	s_wait_alu 0xfffe
	s_or_b32 exec_lo, exec_lo, s3
.LBB128_35:
	v_mbcnt_lo_u32_b32 v0, -1, 0
	s_delay_alu instid0(VALU_DEP_1) | instskip(SKIP_2) | instid1(VALU_DEP_3)
	v_xor_b32_e32 v1, 16, v0
	v_xor_b32_e32 v15, 8, v0
	;; [unrolled: 1-line block ×3, first 2 shown]
	v_cmp_gt_i32_e32 vcc_lo, 32, v1
	s_wait_alu 0xfffd
	v_cndmask_b32_e32 v1, v0, v1, vcc_lo
	v_cmp_gt_i32_e32 vcc_lo, 32, v15
	s_delay_alu instid0(VALU_DEP_2)
	v_lshlrev_b32_e32 v1, 2, v1
	s_wait_alu 0xfffd
	v_cndmask_b32_e32 v15, v0, v15, vcc_lo
	v_cmp_gt_i32_e32 vcc_lo, 32, v22
	ds_bpermute_b32 v4, v1, v29
	s_wait_alu 0xfffd
	v_cndmask_b32_e32 v22, v0, v22, vcc_lo
	s_delay_alu instid0(VALU_DEP_1)
	v_lshlrev_b32_e32 v22, 2, v22
	s_wait_dscnt 0x0
	v_add_f32_e32 v4, v29, v4
	ds_bpermute_b32 v3, v1, v26
	ds_bpermute_b32 v2, v1, v27
	;; [unrolled: 1-line block ×7, first 2 shown]
	v_lshlrev_b32_e32 v15, 2, v15
	s_wait_dscnt 0x5
	v_dual_add_f32 v3, v26, v3 :: v_dual_add_f32 v2, v27, v2
	s_wait_dscnt 0x4
	v_add_f32_e32 v6, v28, v6
	ds_bpermute_b32 v17, v15, v4
	s_wait_dscnt 0x4
	v_add_f32_e32 v5, v5, v14
	ds_bpermute_b32 v16, v15, v3
	ds_bpermute_b32 v14, v15, v2
	;; [unrolled: 1-line block ×3, first 2 shown]
	s_wait_dscnt 0x6
	v_add_f32_e32 v7, v32, v7
	s_wait_dscnt 0x5
	v_add_f32_e32 v13, v30, v13
	;; [unrolled: 2-line block ×3, first 2 shown]
	ds_bpermute_b32 v20, v15, v13
	s_wait_dscnt 0x4
	v_add_f32_e32 v4, v4, v17
	ds_bpermute_b32 v21, v15, v5
	s_wait_dscnt 0x3
	v_dual_add_f32 v3, v3, v16 :: v_dual_add_f32 v2, v2, v14
	ds_bpermute_b32 v19, v15, v7
	s_wait_dscnt 0x3
	v_add_f32_e32 v6, v6, v18
	ds_bpermute_b32 v15, v15, v1
	ds_bpermute_b32 v16, v22, v4
	;; [unrolled: 1-line block ×4, first 2 shown]
	s_wait_dscnt 0x6
	v_add_f32_e32 v13, v13, v20
	s_wait_dscnt 0x5
	v_add_f32_e32 v5, v5, v21
	s_wait_dscnt 0x4
	v_add_f32_e32 v7, v7, v19
	s_wait_dscnt 0x3
	v_add_f32_e32 v1, v1, v15
	ds_bpermute_b32 v15, v22, v3
	s_wait_dscnt 0x2
	v_add_f32_e32 v2, v2, v14
	ds_bpermute_b32 v18, v22, v7
	v_add_f32_e32 v4, v4, v16
	ds_bpermute_b32 v20, v22, v5
	ds_bpermute_b32 v21, v22, v1
	s_wait_dscnt 0x4
	v_add_f32_e32 v6, v6, v17
	ds_bpermute_b32 v19, v22, v13
	v_xor_b32_e32 v22, 2, v0
	s_delay_alu instid0(VALU_DEP_1) | instskip(SKIP_4) | instid1(VALU_DEP_2)
	v_cmp_gt_i32_e32 vcc_lo, 32, v22
	s_wait_alu 0xfffd
	v_cndmask_b32_e32 v22, v0, v22, vcc_lo
	s_wait_dscnt 0x3
	v_add_f32_e32 v7, v7, v18
	v_dual_add_f32 v3, v3, v15 :: v_dual_lshlrev_b32 v22, 2, v22
	s_wait_dscnt 0x2
	v_add_f32_e32 v14, v5, v20
	ds_bpermute_b32 v16, v22, v4
	s_wait_dscnt 0x2
	v_add_f32_e32 v15, v1, v21
	ds_bpermute_b32 v1, v22, v2
	s_wait_dscnt 0x2
	v_add_f32_e32 v13, v13, v19
	ds_bpermute_b32 v5, v22, v3
	ds_bpermute_b32 v17, v22, v6
	ds_bpermute_b32 v18, v22, v7
	;; [unrolled: 1-line block ×5, first 2 shown]
	v_xor_b32_e32 v22, 1, v0
	s_delay_alu instid0(VALU_DEP_1) | instskip(SKIP_3) | instid1(VALU_DEP_2)
	v_cmp_gt_i32_e32 vcc_lo, 32, v22
	s_wait_alu 0xfffd
	v_cndmask_b32_e32 v0, v0, v22, vcc_lo
	v_cmp_eq_u32_e32 vcc_lo, 31, v25
	v_lshlrev_b32_e32 v22, 2, v0
	s_wait_dscnt 0x6
	v_add_f32_e32 v0, v2, v1
	s_wait_dscnt 0x5
	v_dual_add_f32 v1, v3, v5 :: v_dual_add_f32 v2, v4, v16
	s_wait_dscnt 0x3
	v_dual_add_f32 v3, v6, v17 :: v_dual_add_f32 v4, v7, v18
	;; [unrolled: 2-line block ×3, first 2 shown]
	s_wait_dscnt 0x0
	v_add_f32_e32 v7, v15, v21
	ds_bpermute_b32 v13, v22, v0
	ds_bpermute_b32 v14, v22, v1
	;; [unrolled: 1-line block ×8, first 2 shown]
	s_and_b32 exec_lo, exec_lo, vcc_lo
	s_cbranch_execz .LBB128_8
; %bb.36:
	s_load_b64 s[2:3], s[0:1], 0x50
	s_wait_dscnt 0x6
	v_dual_add_f32 v13, v0, v13 :: v_dual_add_f32 v0, v1, v14
	s_wait_dscnt 0x4
	v_dual_add_f32 v14, v2, v15 :: v_dual_add_f32 v1, v3, v16
	;; [unrolled: 2-line block ×4, first 2 shown]
	v_mul_f32_e64 v4, v0, -v11
	v_mul_f32_e32 v5, v10, v0
	v_mul_f32_e64 v6, v1, -v11
	v_dual_mul_f32 v7, v10, v1 :: v_dual_lshlrev_b32 v12, 2, v12
	v_mul_f32_e64 v0, v2, -v11
	v_mul_f32_e32 v1, v10, v2
	v_mul_f32_e64 v2, v3, -v11
	v_mul_f32_e32 v3, v10, v3
	v_cmp_eq_f32_e32 vcc_lo, 0, v8
	v_cmp_eq_f32_e64 s0, 0, v9
	v_dual_fmac_f32 v4, v10, v13 :: v_dual_fmac_f32 v7, v11, v14
	v_dual_fmac_f32 v5, v11, v13 :: v_dual_fmac_f32 v6, v10, v14
	;; [unrolled: 1-line block ×4, first 2 shown]
	s_and_b32 s0, vcc_lo, s0
	s_wait_alu 0xfffe
	s_and_saveexec_b32 s1, s0
	s_wait_alu 0xfffe
	s_xor_b32 s0, exec_lo, s1
	s_cbranch_execz .LBB128_38
; %bb.37:
	v_ashrrev_i32_e32 v13, 31, v12
	s_delay_alu instid0(VALU_DEP_1) | instskip(SKIP_1) | instid1(VALU_DEP_1)
	v_lshlrev_b64_e32 v[8:9], 3, v[12:13]
                                        ; implicit-def: $vgpr12
	s_wait_kmcnt 0x0
	v_add_co_u32 v8, vcc_lo, s2, v8
	s_wait_alu 0xfffd
	s_delay_alu instid0(VALU_DEP_2)
	v_add_co_ci_u32_e64 v9, null, s3, v9, vcc_lo
	s_clause 0x1
	global_store_b128 v[8:9], v[4:7], off
	global_store_b128 v[8:9], v[0:3], off offset:16
                                        ; implicit-def: $vgpr8_vgpr9
                                        ; implicit-def: $vgpr4
                                        ; implicit-def: $vgpr0
.LBB128_38:
	s_wait_alu 0xfffe
	s_and_not1_saveexec_b32 s0, s0
	s_cbranch_execz .LBB128_8
; %bb.39:
	v_ashrrev_i32_e32 v13, 31, v12
	s_delay_alu instid0(VALU_DEP_1) | instskip(SKIP_1) | instid1(VALU_DEP_1)
	v_lshlrev_b64_e32 v[10:11], 3, v[12:13]
	s_wait_kmcnt 0x0
	v_add_co_u32 v18, vcc_lo, s2, v10
	s_wait_alu 0xfffd
	s_delay_alu instid0(VALU_DEP_2)
	v_add_co_ci_u32_e64 v19, null, s3, v11, vcc_lo
	s_clause 0x1
	global_load_b128 v[10:13], v[18:19], off
	global_load_b128 v[14:17], v[18:19], off offset:16
	s_wait_loadcnt 0x1
	v_dual_fmac_f32 v4, v8, v10 :: v_dual_fmac_f32 v7, v9, v12
	v_dual_fmac_f32 v5, v9, v10 :: v_dual_fmac_f32 v6, v8, v12
	s_wait_loadcnt 0x0
	v_dual_fmac_f32 v0, v8, v14 :: v_dual_fmac_f32 v3, v9, v16
	v_dual_fmac_f32 v1, v9, v14 :: v_dual_fmac_f32 v2, v8, v16
	v_fma_f32 v4, -v9, v11, v4
	v_fmac_f32_e32 v5, v8, v11
	v_fma_f32 v6, -v9, v13, v6
	v_fmac_f32_e32 v7, v8, v13
	;; [unrolled: 2-line block ×4, first 2 shown]
	s_clause 0x1
	global_store_b128 v[18:19], v[4:7], off
	global_store_b128 v[18:19], v[0:3], off offset:16
	s_nop 0
	s_sendmsg sendmsg(MSG_DEALLOC_VGPRS)
	s_endpgm
	.section	.rodata,"a",@progbits
	.p2align	6, 0x0
	.amdhsa_kernel _ZN9rocsparseL18bsrxmvn_4x4_kernelILj128ELj32E21rocsparse_complex_numIfElifS2_S2_EEvT3_20rocsparse_direction_NS_24const_host_device_scalarIT1_EES3_PKS3_PKT2_SC_S9_PKT4_PKT5_S7_PT6_21rocsparse_index_base_b
		.amdhsa_group_segment_fixed_size 0
		.amdhsa_private_segment_fixed_size 0
		.amdhsa_kernarg_size 96
		.amdhsa_user_sgpr_count 2
		.amdhsa_user_sgpr_dispatch_ptr 0
		.amdhsa_user_sgpr_queue_ptr 0
		.amdhsa_user_sgpr_kernarg_segment_ptr 1
		.amdhsa_user_sgpr_dispatch_id 0
		.amdhsa_user_sgpr_private_segment_size 0
		.amdhsa_wavefront_size32 1
		.amdhsa_uses_dynamic_stack 0
		.amdhsa_enable_private_segment 0
		.amdhsa_system_sgpr_workgroup_id_x 1
		.amdhsa_system_sgpr_workgroup_id_y 0
		.amdhsa_system_sgpr_workgroup_id_z 0
		.amdhsa_system_sgpr_workgroup_info 0
		.amdhsa_system_vgpr_workitem_id 0
		.amdhsa_next_free_vgpr 125
		.amdhsa_next_free_sgpr 14
		.amdhsa_reserve_vcc 1
		.amdhsa_float_round_mode_32 0
		.amdhsa_float_round_mode_16_64 0
		.amdhsa_float_denorm_mode_32 3
		.amdhsa_float_denorm_mode_16_64 3
		.amdhsa_fp16_overflow 0
		.amdhsa_workgroup_processor_mode 1
		.amdhsa_memory_ordered 1
		.amdhsa_forward_progress 1
		.amdhsa_inst_pref_size 64
		.amdhsa_round_robin_scheduling 0
		.amdhsa_exception_fp_ieee_invalid_op 0
		.amdhsa_exception_fp_denorm_src 0
		.amdhsa_exception_fp_ieee_div_zero 0
		.amdhsa_exception_fp_ieee_overflow 0
		.amdhsa_exception_fp_ieee_underflow 0
		.amdhsa_exception_fp_ieee_inexact 0
		.amdhsa_exception_int_div_zero 0
	.end_amdhsa_kernel
	.section	.text._ZN9rocsparseL18bsrxmvn_4x4_kernelILj128ELj32E21rocsparse_complex_numIfElifS2_S2_EEvT3_20rocsparse_direction_NS_24const_host_device_scalarIT1_EES3_PKS3_PKT2_SC_S9_PKT4_PKT5_S7_PT6_21rocsparse_index_base_b,"axG",@progbits,_ZN9rocsparseL18bsrxmvn_4x4_kernelILj128ELj32E21rocsparse_complex_numIfElifS2_S2_EEvT3_20rocsparse_direction_NS_24const_host_device_scalarIT1_EES3_PKS3_PKT2_SC_S9_PKT4_PKT5_S7_PT6_21rocsparse_index_base_b,comdat
.Lfunc_end128:
	.size	_ZN9rocsparseL18bsrxmvn_4x4_kernelILj128ELj32E21rocsparse_complex_numIfElifS2_S2_EEvT3_20rocsparse_direction_NS_24const_host_device_scalarIT1_EES3_PKS3_PKT2_SC_S9_PKT4_PKT5_S7_PT6_21rocsparse_index_base_b, .Lfunc_end128-_ZN9rocsparseL18bsrxmvn_4x4_kernelILj128ELj32E21rocsparse_complex_numIfElifS2_S2_EEvT3_20rocsparse_direction_NS_24const_host_device_scalarIT1_EES3_PKS3_PKT2_SC_S9_PKT4_PKT5_S7_PT6_21rocsparse_index_base_b
                                        ; -- End function
	.set _ZN9rocsparseL18bsrxmvn_4x4_kernelILj128ELj32E21rocsparse_complex_numIfElifS2_S2_EEvT3_20rocsparse_direction_NS_24const_host_device_scalarIT1_EES3_PKS3_PKT2_SC_S9_PKT4_PKT5_S7_PT6_21rocsparse_index_base_b.num_vgpr, 125
	.set _ZN9rocsparseL18bsrxmvn_4x4_kernelILj128ELj32E21rocsparse_complex_numIfElifS2_S2_EEvT3_20rocsparse_direction_NS_24const_host_device_scalarIT1_EES3_PKS3_PKT2_SC_S9_PKT4_PKT5_S7_PT6_21rocsparse_index_base_b.num_agpr, 0
	.set _ZN9rocsparseL18bsrxmvn_4x4_kernelILj128ELj32E21rocsparse_complex_numIfElifS2_S2_EEvT3_20rocsparse_direction_NS_24const_host_device_scalarIT1_EES3_PKS3_PKT2_SC_S9_PKT4_PKT5_S7_PT6_21rocsparse_index_base_b.numbered_sgpr, 14
	.set _ZN9rocsparseL18bsrxmvn_4x4_kernelILj128ELj32E21rocsparse_complex_numIfElifS2_S2_EEvT3_20rocsparse_direction_NS_24const_host_device_scalarIT1_EES3_PKS3_PKT2_SC_S9_PKT4_PKT5_S7_PT6_21rocsparse_index_base_b.num_named_barrier, 0
	.set _ZN9rocsparseL18bsrxmvn_4x4_kernelILj128ELj32E21rocsparse_complex_numIfElifS2_S2_EEvT3_20rocsparse_direction_NS_24const_host_device_scalarIT1_EES3_PKS3_PKT2_SC_S9_PKT4_PKT5_S7_PT6_21rocsparse_index_base_b.private_seg_size, 0
	.set _ZN9rocsparseL18bsrxmvn_4x4_kernelILj128ELj32E21rocsparse_complex_numIfElifS2_S2_EEvT3_20rocsparse_direction_NS_24const_host_device_scalarIT1_EES3_PKS3_PKT2_SC_S9_PKT4_PKT5_S7_PT6_21rocsparse_index_base_b.uses_vcc, 1
	.set _ZN9rocsparseL18bsrxmvn_4x4_kernelILj128ELj32E21rocsparse_complex_numIfElifS2_S2_EEvT3_20rocsparse_direction_NS_24const_host_device_scalarIT1_EES3_PKS3_PKT2_SC_S9_PKT4_PKT5_S7_PT6_21rocsparse_index_base_b.uses_flat_scratch, 0
	.set _ZN9rocsparseL18bsrxmvn_4x4_kernelILj128ELj32E21rocsparse_complex_numIfElifS2_S2_EEvT3_20rocsparse_direction_NS_24const_host_device_scalarIT1_EES3_PKS3_PKT2_SC_S9_PKT4_PKT5_S7_PT6_21rocsparse_index_base_b.has_dyn_sized_stack, 0
	.set _ZN9rocsparseL18bsrxmvn_4x4_kernelILj128ELj32E21rocsparse_complex_numIfElifS2_S2_EEvT3_20rocsparse_direction_NS_24const_host_device_scalarIT1_EES3_PKS3_PKT2_SC_S9_PKT4_PKT5_S7_PT6_21rocsparse_index_base_b.has_recursion, 0
	.set _ZN9rocsparseL18bsrxmvn_4x4_kernelILj128ELj32E21rocsparse_complex_numIfElifS2_S2_EEvT3_20rocsparse_direction_NS_24const_host_device_scalarIT1_EES3_PKS3_PKT2_SC_S9_PKT4_PKT5_S7_PT6_21rocsparse_index_base_b.has_indirect_call, 0
	.section	.AMDGPU.csdata,"",@progbits
; Kernel info:
; codeLenInByte = 8116
; TotalNumSgprs: 16
; NumVgprs: 125
; ScratchSize: 0
; MemoryBound: 0
; FloatMode: 240
; IeeeMode: 1
; LDSByteSize: 0 bytes/workgroup (compile time only)
; SGPRBlocks: 0
; VGPRBlocks: 15
; NumSGPRsForWavesPerEU: 16
; NumVGPRsForWavesPerEU: 125
; Occupancy: 10
; WaveLimiterHint : 1
; COMPUTE_PGM_RSRC2:SCRATCH_EN: 0
; COMPUTE_PGM_RSRC2:USER_SGPR: 2
; COMPUTE_PGM_RSRC2:TRAP_HANDLER: 0
; COMPUTE_PGM_RSRC2:TGID_X_EN: 1
; COMPUTE_PGM_RSRC2:TGID_Y_EN: 0
; COMPUTE_PGM_RSRC2:TGID_Z_EN: 0
; COMPUTE_PGM_RSRC2:TIDIG_COMP_CNT: 0
	.section	.text._ZN9rocsparseL18bsrxmvn_4x4_kernelILj128ELj64E21rocsparse_complex_numIfElifS2_S2_EEvT3_20rocsparse_direction_NS_24const_host_device_scalarIT1_EES3_PKS3_PKT2_SC_S9_PKT4_PKT5_S7_PT6_21rocsparse_index_base_b,"axG",@progbits,_ZN9rocsparseL18bsrxmvn_4x4_kernelILj128ELj64E21rocsparse_complex_numIfElifS2_S2_EEvT3_20rocsparse_direction_NS_24const_host_device_scalarIT1_EES3_PKS3_PKT2_SC_S9_PKT4_PKT5_S7_PT6_21rocsparse_index_base_b,comdat
	.globl	_ZN9rocsparseL18bsrxmvn_4x4_kernelILj128ELj64E21rocsparse_complex_numIfElifS2_S2_EEvT3_20rocsparse_direction_NS_24const_host_device_scalarIT1_EES3_PKS3_PKT2_SC_S9_PKT4_PKT5_S7_PT6_21rocsparse_index_base_b ; -- Begin function _ZN9rocsparseL18bsrxmvn_4x4_kernelILj128ELj64E21rocsparse_complex_numIfElifS2_S2_EEvT3_20rocsparse_direction_NS_24const_host_device_scalarIT1_EES3_PKS3_PKT2_SC_S9_PKT4_PKT5_S7_PT6_21rocsparse_index_base_b
	.p2align	8
	.type	_ZN9rocsparseL18bsrxmvn_4x4_kernelILj128ELj64E21rocsparse_complex_numIfElifS2_S2_EEvT3_20rocsparse_direction_NS_24const_host_device_scalarIT1_EES3_PKS3_PKT2_SC_S9_PKT4_PKT5_S7_PT6_21rocsparse_index_base_b,@function
_ZN9rocsparseL18bsrxmvn_4x4_kernelILj128ELj64E21rocsparse_complex_numIfElifS2_S2_EEvT3_20rocsparse_direction_NS_24const_host_device_scalarIT1_EES3_PKS3_PKT2_SC_S9_PKT4_PKT5_S7_PT6_21rocsparse_index_base_b: ; @_ZN9rocsparseL18bsrxmvn_4x4_kernelILj128ELj64E21rocsparse_complex_numIfElifS2_S2_EEvT3_20rocsparse_direction_NS_24const_host_device_scalarIT1_EES3_PKS3_PKT2_SC_S9_PKT4_PKT5_S7_PT6_21rocsparse_index_base_b
; %bb.0:
	s_clause 0x2
	s_load_b64 s[12:13], s[0:1], 0x58
	s_load_b64 s[2:3], s[0:1], 0x8
	;; [unrolled: 1-line block ×3, first 2 shown]
	s_add_nc_u64 s[6:7], s[0:1], 8
	s_wait_kmcnt 0x0
	s_bitcmp1_b32 s13, 0
	s_cselect_b32 s2, s6, s2
	s_cselect_b32 s3, s7, s3
	s_delay_alu instid0(SALU_CYCLE_1)
	v_dual_mov_b32 v1, s2 :: v_dual_mov_b32 v2, s3
	s_add_nc_u64 s[2:3], s[0:1], 0x48
	s_wait_alu 0xfffe
	s_cselect_b32 s2, s2, s4
	s_cselect_b32 s3, s3, s5
	flat_load_b64 v[10:11], v[1:2]
	s_wait_alu 0xfffe
	v_dual_mov_b32 v1, s2 :: v_dual_mov_b32 v2, s3
	flat_load_b64 v[8:9], v[1:2]
	s_wait_loadcnt_dscnt 0x101
	v_cmp_eq_f32_e32 vcc_lo, 0, v10
	v_cmp_eq_f32_e64 s2, 0, v11
	s_and_b32 s4, vcc_lo, s2
	s_mov_b32 s2, -1
	s_and_saveexec_b32 s3, s4
	s_cbranch_execz .LBB129_2
; %bb.1:
	s_wait_loadcnt_dscnt 0x0
	v_cmp_neq_f32_e32 vcc_lo, 1.0, v8
	v_cmp_neq_f32_e64 s2, 0, v9
	s_wait_alu 0xfffe
	s_or_b32 s2, vcc_lo, s2
	s_wait_alu 0xfffe
	s_or_not1_b32 s2, s2, exec_lo
.LBB129_2:
	s_wait_alu 0xfffe
	s_or_b32 exec_lo, exec_lo, s3
	s_and_saveexec_b32 s3, s2
	s_cbranch_execz .LBB129_8
; %bb.3:
	s_clause 0x1
	s_load_b64 s[4:5], s[0:1], 0x18
	s_load_b64 s[2:3], s[0:1], 0x0
	v_lshrrev_b32_e32 v1, 6, v0
	s_delay_alu instid0(VALU_DEP_1)
	v_lshl_or_b32 v12, ttmp9, 1, v1
	s_wait_kmcnt 0x0
	s_cmp_lg_u64 s[4:5], 0
	s_cbranch_scc0 .LBB129_9
; %bb.4:
	s_load_b32 s6, s[0:1], 0x10
	s_mov_b32 s7, 0
                                        ; implicit-def: $vgpr1
	s_wait_kmcnt 0x0
	v_cmp_gt_i32_e32 vcc_lo, s6, v12
	s_mov_b32 s6, 0
	s_and_saveexec_b32 s8, vcc_lo
	s_delay_alu instid0(SALU_CYCLE_1)
	s_xor_b32 s8, exec_lo, s8
	s_cbranch_execz .LBB129_6
; %bb.5:
	v_ashrrev_i32_e32 v13, 31, v12
	s_mov_b32 s6, exec_lo
	s_delay_alu instid0(VALU_DEP_1) | instskip(NEXT) | instid1(VALU_DEP_1)
	v_lshlrev_b64_e32 v[1:2], 2, v[12:13]
	v_add_co_u32 v1, vcc_lo, s4, v1
	s_delay_alu instid0(VALU_DEP_1)
	v_add_co_ci_u32_e64 v2, null, s5, v2, vcc_lo
	global_load_b32 v1, v[1:2], off
	s_wait_loadcnt 0x0
	v_subrev_nc_u32_e32 v1, s12, v1
.LBB129_6:
	s_or_b32 exec_lo, exec_lo, s8
	s_delay_alu instid0(SALU_CYCLE_1)
	s_and_b32 vcc_lo, exec_lo, s7
	s_wait_alu 0xfffe
	s_cbranch_vccz .LBB129_10
.LBB129_7:
	v_cmp_gt_i32_e32 vcc_lo, s2, v12
	s_and_not1_b32 s2, s6, exec_lo
	s_and_b32 s4, vcc_lo, exec_lo
	s_wait_alu 0xfffe
	s_or_b32 s6, s2, s4
	s_wait_alu 0xfffe
	s_and_b32 exec_lo, exec_lo, s6
	s_cbranch_execnz .LBB129_11
.LBB129_8:
	s_nop 0
	s_sendmsg sendmsg(MSG_DEALLOC_VGPRS)
	s_endpgm
.LBB129_9:
	s_mov_b32 s6, 0
                                        ; implicit-def: $vgpr1
	s_cbranch_execnz .LBB129_7
.LBB129_10:
	v_mov_b32_e32 v12, v1
	s_and_b32 exec_lo, exec_lo, s6
	s_cbranch_execz .LBB129_8
.LBB129_11:
	s_load_b256 s[4:11], s[0:1], 0x20
	s_delay_alu instid0(VALU_DEP_1) | instskip(SKIP_1) | instid1(VALU_DEP_2)
	v_ashrrev_i32_e32 v13, 31, v12
	v_dual_mov_b32 v26, 0 :: v_dual_and_b32 v25, 63, v0
	v_lshlrev_b64_e32 v[1:2], 3, v[12:13]
	s_wait_kmcnt 0x0
	s_delay_alu instid0(VALU_DEP_1) | instskip(SKIP_1) | instid1(VALU_DEP_2)
	v_add_co_u32 v3, vcc_lo, s4, v1
	s_wait_alu 0xfffd
	v_add_co_ci_u32_e64 v4, null, s5, v2, vcc_lo
	v_add_co_u32 v1, vcc_lo, s6, v1
	s_wait_alu 0xfffd
	v_add_co_ci_u32_e64 v2, null, s7, v2, vcc_lo
	v_add_co_u32 v5, vcc_lo, v3, 8
	global_load_b64 v[13:14], v[3:4], off
	s_wait_alu 0xfffd
	v_add_co_ci_u32_e64 v6, null, 0, v4, vcc_lo
	s_cmp_eq_u64 s[6:7], 0
	s_load_b64 s[4:5], s[0:1], 0x40
	s_cselect_b32 vcc_lo, -1, 0
	s_cmp_eq_u32 s3, 1
	s_wait_alu 0xfffe
	v_dual_cndmask_b32 v2, v2, v6 :: v_dual_cndmask_b32 v1, v1, v5
	global_load_b64 v[4:5], v[1:2], off
	s_wait_loadcnt 0x1
	v_sub_co_u32 v0, vcc_lo, v13, s12
	s_wait_alu 0xfffd
	v_subrev_co_ci_u32_e64 v1, null, 0, v14, vcc_lo
	s_delay_alu instid0(VALU_DEP_2) | instskip(SKIP_1) | instid1(VALU_DEP_2)
	v_add_co_u32 v2, vcc_lo, v0, v25
	s_wait_alu 0xfffd
	v_add_co_ci_u32_e64 v3, null, 0, v1, vcc_lo
	s_delay_alu instid0(VALU_DEP_1) | instskip(SKIP_4) | instid1(VALU_DEP_3)
	v_lshlrev_b64_e32 v[0:1], 6, v[2:3]
	s_wait_loadcnt 0x0
	v_sub_co_u32 v4, vcc_lo, v4, s12
	s_wait_alu 0xfffd
	v_subrev_co_ci_u32_e64 v5, null, 0, v5, vcc_lo
	v_add_co_u32 v6, vcc_lo, s10, v0
	s_delay_alu instid0(VALU_DEP_2)
	v_cmp_lt_i64_e64 s2, v[2:3], v[4:5]
	s_wait_alu 0xfffd
	v_add_co_ci_u32_e64 v7, null, s11, v1, vcc_lo
	s_cbranch_scc1 .LBB129_23
; %bb.12:
	v_dual_mov_b32 v27, 0 :: v_dual_mov_b32 v28, 0
	v_dual_mov_b32 v29, 0 :: v_dual_mov_b32 v30, 0
	;; [unrolled: 1-line block ×3, first 2 shown]
	v_mov_b32_e32 v1, 0
	s_and_saveexec_b32 s3, s2
	s_cbranch_execz .LBB129_22
; %bb.13:
	v_or_b32_e32 v0, 64, v25
	v_not_b32_e32 v17, v13
	s_delay_alu instid0(VALU_DEP_2) | instskip(SKIP_3) | instid1(VALU_DEP_3)
	v_sub_co_u32 v0, s6, v0, s12
	s_wait_alu 0xf1ff
	v_sub_co_ci_u32_e64 v1, null, 0, 0, s6
	v_sub_co_u32 v18, s6, s12, v25
	v_add_co_u32 v15, vcc_lo, v0, v13
	s_wait_alu 0xfffd
	s_delay_alu instid0(VALU_DEP_3) | instskip(SKIP_3) | instid1(VALU_DEP_3)
	v_add_co_ci_u32_e64 v16, null, v1, v14, vcc_lo
	v_not_b32_e32 v0, v14
	s_wait_alu 0xf1ff
	v_sub_co_ci_u32_e64 v19, null, 0, 0, s6
	v_cmp_gt_i64_e32 vcc_lo, v[15:16], v[4:5]
	v_mov_b32_e32 v1, 0
	s_mov_b32 s6, exec_lo
	s_wait_alu 0xfffd
	v_dual_cndmask_b32 v16, v5, v16 :: v_dual_cndmask_b32 v15, v4, v15
	s_delay_alu instid0(VALU_DEP_2) | instskip(SKIP_4) | instid1(VALU_DEP_3)
	v_mov_b32_e32 v32, v1
	v_add_co_u32 v17, vcc_lo, v18, v17
	s_wait_alu 0xfffd
	v_add_co_ci_u32_e64 v0, null, v19, v0, vcc_lo
	v_dual_mov_b32 v31, v1 :: v_dual_mov_b32 v30, v1
	v_add_co_u32 v19, vcc_lo, v17, v15
	s_wait_alu 0xfffd
	s_delay_alu instid0(VALU_DEP_3)
	v_add_co_ci_u32_e64 v20, null, v0, v16, vcc_lo
	v_mov_b32_e32 v16, v7
	v_mov_b32_e32 v18, v3
	v_dual_mov_b32 v29, v1 :: v_dual_and_b32 v0, 0xc0, v19
	v_dual_mov_b32 v28, v1 :: v_dual_mov_b32 v27, v1
	v_dual_mov_b32 v26, v1 :: v_dual_mov_b32 v15, v6
	v_mov_b32_e32 v17, v2
	s_delay_alu instid0(VALU_DEP_4)
	v_cmpx_ne_u64_e32 0xc0, v[0:1]
	s_cbranch_execz .LBB129_17
; %bb.14:
	v_lshrrev_b32_e32 v0, 6, v19
	v_mov_b32_e32 v26, 0
	v_dual_mov_b32 v18, v3 :: v_dual_mov_b32 v17, v2
	v_dual_mov_b32 v16, v7 :: v_dual_mov_b32 v15, v6
	s_delay_alu instid0(VALU_DEP_4) | instskip(SKIP_2) | instid1(VALU_DEP_3)
	v_add_nc_u32_e32 v21, 1, v0
	v_lshlrev_b64_e32 v[0:1], 2, v[2:3]
	v_dual_mov_b32 v27, 0 :: v_dual_mov_b32 v28, 0
	v_dual_mov_b32 v30, 0 :: v_dual_and_b32 v23, 3, v21
	v_dual_mov_b32 v29, 0 :: v_dual_mov_b32 v32, 0
	s_delay_alu instid0(VALU_DEP_4) | instskip(NEXT) | instid1(VALU_DEP_3)
	v_add_co_u32 v21, vcc_lo, s8, v0
	v_sub_co_u32 v23, s7, 0, v23
	s_wait_alu 0xfffd
	v_add_co_ci_u32_e64 v22, null, s9, v1, vcc_lo
	s_wait_alu 0xf1ff
	v_sub_co_ci_u32_e64 v24, null, 0, 0, s7
	v_mov_b32_e32 v31, 0
	v_mov_b32_e32 v1, 0
	s_mov_b32 s7, 0
.LBB129_15:                             ; =>This Inner Loop Header: Depth=1
	global_load_b32 v0, v[21:22], off
	s_clause 0x3
	global_load_b128 v[33:36], v[15:16], off offset:48
	global_load_b128 v[37:40], v[15:16], off offset:32
	;; [unrolled: 1-line block ×3, first 2 shown]
	global_load_b128 v[45:48], v[15:16], off
	s_wait_loadcnt 0x4
	v_subrev_nc_u32_e32 v0, s12, v0
	s_delay_alu instid0(VALU_DEP_1) | instskip(NEXT) | instid1(VALU_DEP_1)
	v_lshlrev_b32_e32 v49, 2, v0
	v_ashrrev_i32_e32 v50, 31, v49
	s_delay_alu instid0(VALU_DEP_1) | instskip(SKIP_1) | instid1(VALU_DEP_1)
	v_lshlrev_b64_e32 v[49:50], 3, v[49:50]
	s_wait_kmcnt 0x0
	v_add_co_u32 v53, vcc_lo, s4, v49
	s_wait_alu 0xfffd
	s_delay_alu instid0(VALU_DEP_2)
	v_add_co_ci_u32_e64 v54, null, s5, v50, vcc_lo
	v_add_co_u32 v15, vcc_lo, 0x1000, v15
	s_wait_alu 0xfffd
	v_add_co_ci_u32_e64 v16, null, 0, v16, vcc_lo
	s_clause 0x1
	global_load_b128 v[49:52], v[53:54], off
	global_load_b128 v[53:56], v[53:54], off offset:16
	v_add_co_u32 v17, vcc_lo, v17, 64
	s_wait_alu 0xfffd
	v_add_co_ci_u32_e64 v18, null, 0, v18, vcc_lo
	v_add_co_u32 v23, vcc_lo, v23, 1
	s_wait_alu 0xfffd
	v_add_co_ci_u32_e64 v24, null, 0, v24, vcc_lo
	;; [unrolled: 3-line block ×3, first 2 shown]
	s_delay_alu instid0(VALU_DEP_3) | instskip(SKIP_4) | instid1(VALU_DEP_1)
	v_cmp_eq_u64_e32 vcc_lo, 0, v[23:24]
	s_wait_alu 0xfffe
	s_or_b32 s7, vcc_lo, s7
	s_wait_loadcnt 0x1
	v_fmac_f32_e32 v1, v33, v49
	v_dual_fmac_f32 v32, v37, v49 :: v_dual_fmac_f32 v1, 0x80000000, v50
	s_delay_alu instid0(VALU_DEP_1) | instskip(NEXT) | instid1(VALU_DEP_1)
	v_dual_fmac_f32 v27, v45, v49 :: v_dual_fmac_f32 v32, 0x80000000, v50
	v_dual_fmac_f32 v26, 0, v49 :: v_dual_fmac_f32 v27, 0x80000000, v50
	s_delay_alu instid0(VALU_DEP_1) | instskip(SKIP_1) | instid1(VALU_DEP_3)
	v_fmac_f32_e32 v26, v45, v50
	v_fmac_f32_e32 v29, v41, v49
	;; [unrolled: 1-line block ×4, first 2 shown]
	s_delay_alu instid0(VALU_DEP_4) | instskip(NEXT) | instid1(VALU_DEP_4)
	v_fmac_f32_e32 v26, 0, v51
	v_dual_fmac_f32 v28, 0, v49 :: v_dual_fmac_f32 v29, 0x80000000, v50
	v_fmac_f32_e32 v31, 0, v49
	v_fmac_f32_e32 v27, 0x80000000, v52
	s_delay_alu instid0(VALU_DEP_4) | instskip(NEXT) | instid1(VALU_DEP_4)
	v_fmac_f32_e32 v26, v46, v52
	v_fmac_f32_e32 v28, v41, v50
	s_delay_alu instid0(VALU_DEP_4) | instskip(SKIP_1) | instid1(VALU_DEP_3)
	v_dual_fmac_f32 v30, 0, v49 :: v_dual_fmac_f32 v31, v33, v50
	v_dual_fmac_f32 v29, v42, v51 :: v_dual_fmac_f32 v32, 0x80000000, v52
	v_fmac_f32_e32 v28, 0, v51
	s_delay_alu instid0(VALU_DEP_3) | instskip(SKIP_2) | instid1(VALU_DEP_2)
	v_dual_fmac_f32 v30, v37, v50 :: v_dual_fmac_f32 v1, v34, v51
	s_wait_loadcnt 0x0
	v_dual_fmac_f32 v26, 0, v53 :: v_dual_fmac_f32 v31, 0, v51
	v_dual_fmac_f32 v29, 0x80000000, v52 :: v_dual_fmac_f32 v30, 0, v51
	;; [unrolled: 1-line block ×3, first 2 shown]
	v_fmac_f32_e32 v1, 0x80000000, v52
	s_delay_alu instid0(VALU_DEP_4) | instskip(NEXT) | instid1(VALU_DEP_4)
	v_dual_fmac_f32 v31, v34, v52 :: v_dual_fmac_f32 v32, v39, v53
	v_dual_fmac_f32 v30, v38, v52 :: v_dual_fmac_f32 v29, v43, v53
	s_delay_alu instid0(VALU_DEP_4) | instskip(NEXT) | instid1(VALU_DEP_3)
	v_fmac_f32_e32 v28, 0, v53
	v_dual_fmac_f32 v1, v35, v53 :: v_dual_fmac_f32 v32, 0x80000000, v54
	s_delay_alu instid0(VALU_DEP_3) | instskip(SKIP_2) | instid1(VALU_DEP_3)
	v_dual_fmac_f32 v30, 0, v53 :: v_dual_fmac_f32 v27, 0x80000000, v54
	v_dual_fmac_f32 v31, 0, v53 :: v_dual_fmac_f32 v26, v47, v54
	v_fmac_f32_e32 v29, 0x80000000, v54
	v_dual_fmac_f32 v28, v43, v54 :: v_dual_fmac_f32 v27, v48, v55
	v_fmac_f32_e32 v1, 0x80000000, v54
	s_delay_alu instid0(VALU_DEP_4) | instskip(SKIP_3) | instid1(VALU_DEP_4)
	v_dual_fmac_f32 v31, v35, v54 :: v_dual_fmac_f32 v32, v40, v55
	v_fmac_f32_e32 v26, 0, v55
	v_dual_fmac_f32 v30, v39, v54 :: v_dual_fmac_f32 v29, v44, v55
	v_fmac_f32_e32 v28, 0, v55
	v_dual_fmac_f32 v1, v36, v55 :: v_dual_fmac_f32 v32, 0x80000000, v56
	s_delay_alu instid0(VALU_DEP_3) | instskip(SKIP_3) | instid1(VALU_DEP_4)
	v_dual_fmac_f32 v30, 0, v55 :: v_dual_fmac_f32 v27, 0x80000000, v56
	v_dual_fmac_f32 v31, 0, v55 :: v_dual_fmac_f32 v26, v48, v56
	v_fmac_f32_e32 v29, 0x80000000, v56
	v_fmac_f32_e32 v28, v44, v56
	;; [unrolled: 1-line block ×5, first 2 shown]
	s_wait_alu 0xfffe
	s_and_not1_b32 exec_lo, exec_lo, s7
	s_cbranch_execnz .LBB129_15
; %bb.16:
	s_or_b32 exec_lo, exec_lo, s7
.LBB129_17:
	s_wait_alu 0xfffe
	s_or_b32 exec_lo, exec_lo, s6
	s_delay_alu instid0(SALU_CYCLE_1)
	s_mov_b32 s6, exec_lo
	v_cmpx_lt_u64_e32 0xbf, v[19:20]
	s_cbranch_execz .LBB129_21
; %bb.18:
	v_lshlrev_b64_e32 v[19:20], 2, v[17:18]
	s_mov_b32 s7, 0
	s_delay_alu instid0(VALU_DEP_1) | instskip(SKIP_1) | instid1(VALU_DEP_2)
	v_add_co_u32 v0, vcc_lo, s8, v19
	s_wait_alu 0xfffd
	v_add_co_ci_u32_e64 v20, null, s9, v20, vcc_lo
	s_delay_alu instid0(VALU_DEP_2) | instskip(SKIP_1) | instid1(VALU_DEP_2)
	v_add_co_u32 v19, vcc_lo, 0x200, v0
	s_wait_alu 0xfffd
	v_add_co_ci_u32_e64 v20, null, 0, v20, vcc_lo
.LBB129_19:                             ; =>This Inner Loop Header: Depth=1
	s_clause 0x3
	global_load_b32 v0, v[19:20], off offset:-512
	global_load_b32 v93, v[19:20], off offset:-256
	global_load_b32 v94, v[19:20], off
	global_load_b32 v95, v[19:20], off offset:256
	s_clause 0xf
	global_load_b128 v[21:24], v[15:16], off offset:48
	global_load_b128 v[33:36], v[15:16], off offset:32
	;; [unrolled: 1-line block ×3, first 2 shown]
	global_load_b128 v[41:44], v[15:16], off
	global_load_b128 v[45:48], v[15:16], off offset:4144
	global_load_b128 v[49:52], v[15:16], off offset:4128
	;; [unrolled: 1-line block ×12, first 2 shown]
	s_wait_loadcnt 0x13
	v_subrev_nc_u32_e32 v0, s12, v0
	s_wait_loadcnt 0x12
	v_subrev_nc_u32_e32 v96, s12, v93
	;; [unrolled: 2-line block ×4, first 2 shown]
	v_lshlrev_b32_e32 v93, 2, v0
	v_lshlrev_b32_e32 v95, 2, v96
	;; [unrolled: 1-line block ×3, first 2 shown]
	s_delay_alu instid0(VALU_DEP_4) | instskip(NEXT) | instid1(VALU_DEP_4)
	v_lshlrev_b32_e32 v99, 2, v98
	v_ashrrev_i32_e32 v94, 31, v93
	s_delay_alu instid0(VALU_DEP_4) | instskip(NEXT) | instid1(VALU_DEP_4)
	v_ashrrev_i32_e32 v96, 31, v95
	v_ashrrev_i32_e32 v98, 31, v97
	s_delay_alu instid0(VALU_DEP_4) | instskip(NEXT) | instid1(VALU_DEP_4)
	v_ashrrev_i32_e32 v100, 31, v99
	v_lshlrev_b64_e32 v[93:94], 3, v[93:94]
	s_delay_alu instid0(VALU_DEP_4) | instskip(NEXT) | instid1(VALU_DEP_4)
	v_lshlrev_b64_e32 v[95:96], 3, v[95:96]
	v_lshlrev_b64_e32 v[97:98], 3, v[97:98]
	s_delay_alu instid0(VALU_DEP_4) | instskip(SKIP_1) | instid1(VALU_DEP_4)
	v_lshlrev_b64_e32 v[99:100], 3, v[99:100]
	s_wait_kmcnt 0x0
	v_add_co_u32 v101, vcc_lo, s4, v93
	s_wait_alu 0xfffd
	v_add_co_ci_u32_e64 v102, null, s5, v94, vcc_lo
	v_add_co_u32 v105, vcc_lo, s4, v95
	s_wait_alu 0xfffd
	v_add_co_ci_u32_e64 v106, null, s5, v96, vcc_lo
	;; [unrolled: 3-line block ×4, first 2 shown]
	s_clause 0x7
	global_load_b128 v[93:96], v[101:102], off
	global_load_b128 v[97:100], v[101:102], off offset:16
	global_load_b128 v[101:104], v[105:106], off
	global_load_b128 v[105:108], v[105:106], off offset:16
	;; [unrolled: 2-line block ×4, first 2 shown]
	v_add_co_u32 v17, vcc_lo, 0x100, v17
	s_wait_alu 0xfffd
	v_add_co_ci_u32_e64 v18, null, 0, v18, vcc_lo
	v_add_co_u32 v15, vcc_lo, 0x4000, v15
	s_wait_alu 0xfffd
	v_add_co_ci_u32_e64 v16, null, 0, v16, vcc_lo
	;; [unrolled: 3-line block ×3, first 2 shown]
	v_cmp_ge_i64_e32 vcc_lo, v[17:18], v[4:5]
	s_wait_alu 0xfffe
	s_or_b32 s7, vcc_lo, s7
	s_wait_loadcnt 0x7
	v_fmac_f32_e32 v26, 0, v93
	v_fmac_f32_e32 v28, 0, v93
	;; [unrolled: 1-line block ×4, first 2 shown]
	s_delay_alu instid0(VALU_DEP_4) | instskip(SKIP_4) | instid1(VALU_DEP_4)
	v_dual_fmac_f32 v31, 0, v93 :: v_dual_fmac_f32 v26, v41, v94
	v_fmac_f32_e32 v29, v37, v93
	v_fmac_f32_e32 v28, v37, v94
	v_dual_fmac_f32 v1, v21, v93 :: v_dual_fmac_f32 v32, 0x80000000, v94
	v_dual_fmac_f32 v30, 0, v93 :: v_dual_fmac_f32 v27, 0x80000000, v94
	;; [unrolled: 1-line block ×3, first 2 shown]
	s_delay_alu instid0(VALU_DEP_3) | instskip(NEXT) | instid1(VALU_DEP_3)
	v_fmac_f32_e32 v32, v34, v95
	v_dual_fmac_f32 v30, v33, v94 :: v_dual_fmac_f32 v27, v42, v95
	s_delay_alu instid0(VALU_DEP_3) | instskip(SKIP_1) | instid1(VALU_DEP_3)
	v_dual_fmac_f32 v31, v21, v94 :: v_dual_fmac_f32 v26, v42, v96
	v_dual_fmac_f32 v28, 0, v95 :: v_dual_fmac_f32 v1, 0x80000000, v94
	v_fmac_f32_e32 v30, 0, v95
	v_dual_fmac_f32 v29, v38, v95 :: v_dual_fmac_f32 v32, 0x80000000, v96
	s_delay_alu instid0(VALU_DEP_3) | instskip(SKIP_4) | instid1(VALU_DEP_3)
	v_dual_fmac_f32 v31, 0, v95 :: v_dual_fmac_f32 v28, v38, v96
	s_wait_loadcnt 0x6
	v_dual_fmac_f32 v1, v22, v95 :: v_dual_fmac_f32 v26, 0, v97
	v_fmac_f32_e32 v27, 0x80000000, v96
	v_dual_fmac_f32 v29, 0x80000000, v96 :: v_dual_fmac_f32 v32, v35, v97
	v_dual_fmac_f32 v31, v22, v96 :: v_dual_fmac_f32 v26, v43, v98
	v_fmac_f32_e32 v28, 0, v97
	s_delay_alu instid0(VALU_DEP_4) | instskip(SKIP_2) | instid1(VALU_DEP_3)
	v_dual_fmac_f32 v30, v34, v96 :: v_dual_fmac_f32 v27, v43, v97
	v_fmac_f32_e32 v1, 0x80000000, v96
	v_dual_fmac_f32 v29, v39, v97 :: v_dual_fmac_f32 v32, 0x80000000, v98
	v_fmac_f32_e32 v30, 0, v97
	v_dual_fmac_f32 v31, 0, v97 :: v_dual_fmac_f32 v28, v39, v98
	s_delay_alu instid0(VALU_DEP_4) | instskip(SKIP_2) | instid1(VALU_DEP_3)
	v_dual_fmac_f32 v1, v23, v97 :: v_dual_fmac_f32 v26, 0, v99
	v_fmac_f32_e32 v27, 0x80000000, v98
	v_dual_fmac_f32 v29, 0x80000000, v98 :: v_dual_fmac_f32 v32, v36, v99
	v_dual_fmac_f32 v31, v23, v98 :: v_dual_fmac_f32 v26, v44, v100
	v_fmac_f32_e32 v28, 0, v99
	s_delay_alu instid0(VALU_DEP_4) | instskip(SKIP_2) | instid1(VALU_DEP_3)
	v_dual_fmac_f32 v30, v35, v98 :: v_dual_fmac_f32 v27, v44, v99
	v_fmac_f32_e32 v1, 0x80000000, v98
	v_dual_fmac_f32 v29, v40, v99 :: v_dual_fmac_f32 v32, 0x80000000, v100
	v_fmac_f32_e32 v30, 0, v99
	v_dual_fmac_f32 v31, 0, v99 :: v_dual_fmac_f32 v28, v40, v100
	s_wait_loadcnt 0x5
	v_dual_fmac_f32 v1, v24, v99 :: v_dual_fmac_f32 v26, 0, v101
	v_fmac_f32_e32 v27, 0x80000000, v100
	v_dual_fmac_f32 v29, 0x80000000, v100 :: v_dual_fmac_f32 v32, v49, v101
	s_delay_alu instid0(VALU_DEP_3) | instskip(SKIP_1) | instid1(VALU_DEP_4)
	v_dual_fmac_f32 v31, v24, v100 :: v_dual_fmac_f32 v26, v57, v102
	v_fmac_f32_e32 v28, 0, v101
	v_dual_fmac_f32 v30, v36, v100 :: v_dual_fmac_f32 v27, v57, v101
	v_fmac_f32_e32 v1, 0x80000000, v100
	v_dual_fmac_f32 v29, v53, v101 :: v_dual_fmac_f32 v32, 0x80000000, v102
	s_delay_alu instid0(VALU_DEP_3) | instskip(SKIP_1) | instid1(VALU_DEP_4)
	v_fmac_f32_e32 v30, 0, v101
	v_dual_fmac_f32 v31, 0, v101 :: v_dual_fmac_f32 v28, v53, v102
	v_dual_fmac_f32 v1, v45, v101 :: v_dual_fmac_f32 v26, 0, v103
	v_fmac_f32_e32 v27, 0x80000000, v102
	v_dual_fmac_f32 v29, 0x80000000, v102 :: v_dual_fmac_f32 v32, v50, v103
	s_delay_alu instid0(VALU_DEP_3) | instskip(SKIP_1) | instid1(VALU_DEP_4)
	v_dual_fmac_f32 v31, v45, v102 :: v_dual_fmac_f32 v26, v58, v104
	v_fmac_f32_e32 v28, 0, v103
	v_dual_fmac_f32 v30, v49, v102 :: v_dual_fmac_f32 v27, v58, v103
	v_fmac_f32_e32 v1, 0x80000000, v102
	v_dual_fmac_f32 v29, v54, v103 :: v_dual_fmac_f32 v32, 0x80000000, v104
	s_delay_alu instid0(VALU_DEP_3)
	v_fmac_f32_e32 v30, 0, v103
	v_dual_fmac_f32 v31, 0, v103 :: v_dual_fmac_f32 v28, v54, v104
	s_wait_loadcnt 0x4
	v_dual_fmac_f32 v1, v46, v103 :: v_dual_fmac_f32 v26, 0, v105
	v_fmac_f32_e32 v27, 0x80000000, v104
	v_dual_fmac_f32 v29, 0x80000000, v104 :: v_dual_fmac_f32 v32, v51, v105
	s_delay_alu instid0(VALU_DEP_3) | instskip(SKIP_1) | instid1(VALU_DEP_4)
	v_dual_fmac_f32 v31, v46, v104 :: v_dual_fmac_f32 v26, v59, v106
	v_fmac_f32_e32 v28, 0, v105
	v_dual_fmac_f32 v30, v50, v104 :: v_dual_fmac_f32 v27, v59, v105
	v_fmac_f32_e32 v1, 0x80000000, v104
	v_dual_fmac_f32 v29, v55, v105 :: v_dual_fmac_f32 v32, 0x80000000, v106
	s_delay_alu instid0(VALU_DEP_3) | instskip(SKIP_1) | instid1(VALU_DEP_4)
	v_fmac_f32_e32 v30, 0, v105
	v_dual_fmac_f32 v31, 0, v105 :: v_dual_fmac_f32 v28, v55, v106
	v_dual_fmac_f32 v1, v47, v105 :: v_dual_fmac_f32 v26, 0, v107
	v_fmac_f32_e32 v27, 0x80000000, v106
	v_dual_fmac_f32 v29, 0x80000000, v106 :: v_dual_fmac_f32 v32, v52, v107
	s_delay_alu instid0(VALU_DEP_3) | instskip(SKIP_1) | instid1(VALU_DEP_4)
	v_dual_fmac_f32 v31, v47, v106 :: v_dual_fmac_f32 v26, v60, v108
	v_fmac_f32_e32 v28, 0, v107
	v_dual_fmac_f32 v30, v51, v106 :: v_dual_fmac_f32 v27, v60, v107
	v_fmac_f32_e32 v1, 0x80000000, v106
	v_dual_fmac_f32 v29, v56, v107 :: v_dual_fmac_f32 v32, 0x80000000, v108
	s_delay_alu instid0(VALU_DEP_3)
	;; [unrolled: 25-line block ×5, first 2 shown]
	v_fmac_f32_e32 v30, 0, v119
	v_dual_fmac_f32 v31, 0, v119 :: v_dual_fmac_f32 v28, v86, v120
	s_wait_loadcnt 0x0
	v_dual_fmac_f32 v1, v78, v119 :: v_dual_fmac_f32 v26, 0, v121
	v_fmac_f32_e32 v27, 0x80000000, v120
	v_dual_fmac_f32 v29, 0x80000000, v120 :: v_dual_fmac_f32 v32, v83, v121
	s_delay_alu instid0(VALU_DEP_3) | instskip(SKIP_1) | instid1(VALU_DEP_4)
	v_dual_fmac_f32 v31, v78, v120 :: v_dual_fmac_f32 v26, v91, v122
	v_fmac_f32_e32 v28, 0, v121
	v_dual_fmac_f32 v30, v82, v120 :: v_dual_fmac_f32 v27, v91, v121
	v_fmac_f32_e32 v1, 0x80000000, v120
	v_dual_fmac_f32 v29, v87, v121 :: v_dual_fmac_f32 v32, 0x80000000, v122
	s_delay_alu instid0(VALU_DEP_3) | instskip(SKIP_1) | instid1(VALU_DEP_4)
	v_fmac_f32_e32 v30, 0, v121
	v_dual_fmac_f32 v31, 0, v121 :: v_dual_fmac_f32 v28, v87, v122
	v_dual_fmac_f32 v1, v79, v121 :: v_dual_fmac_f32 v26, 0, v123
	v_fmac_f32_e32 v27, 0x80000000, v122
	v_dual_fmac_f32 v29, 0x80000000, v122 :: v_dual_fmac_f32 v32, v84, v123
	s_delay_alu instid0(VALU_DEP_3) | instskip(SKIP_1) | instid1(VALU_DEP_4)
	v_dual_fmac_f32 v31, v79, v122 :: v_dual_fmac_f32 v26, v92, v124
	v_fmac_f32_e32 v28, 0, v123
	v_dual_fmac_f32 v30, v83, v122 :: v_dual_fmac_f32 v27, v92, v123
	v_fmac_f32_e32 v1, 0x80000000, v122
	v_dual_fmac_f32 v29, v88, v123 :: v_dual_fmac_f32 v32, 0x80000000, v124
	s_delay_alu instid0(VALU_DEP_3) | instskip(SKIP_1) | instid1(VALU_DEP_4)
	v_fmac_f32_e32 v30, 0, v123
	v_dual_fmac_f32 v31, 0, v123 :: v_dual_fmac_f32 v28, v88, v124
	v_fmac_f32_e32 v1, v80, v123
	v_fmac_f32_e32 v27, 0x80000000, v124
	;; [unrolled: 1-line block ×6, first 2 shown]
	s_wait_alu 0xfffe
	s_and_not1_b32 exec_lo, exec_lo, s7
	s_cbranch_execnz .LBB129_19
; %bb.20:
	s_or_b32 exec_lo, exec_lo, s7
.LBB129_21:
	s_wait_alu 0xfffe
	s_or_b32 exec_lo, exec_lo, s6
.LBB129_22:
	s_wait_alu 0xfffe
	s_or_b32 exec_lo, exec_lo, s3
	s_cbranch_execz .LBB129_24
	s_branch .LBB129_35
.LBB129_23:
                                        ; implicit-def: $vgpr26
                                        ; implicit-def: $vgpr27
                                        ; implicit-def: $vgpr28
                                        ; implicit-def: $vgpr29
                                        ; implicit-def: $vgpr30
                                        ; implicit-def: $vgpr32
                                        ; implicit-def: $vgpr31
                                        ; implicit-def: $vgpr1
.LBB129_24:
	v_dual_mov_b32 v26, 0 :: v_dual_mov_b32 v27, 0
	v_dual_mov_b32 v28, 0 :: v_dual_mov_b32 v29, 0
	;; [unrolled: 1-line block ×4, first 2 shown]
	s_and_saveexec_b32 s3, s2
	s_cbranch_execz .LBB129_34
; %bb.25:
	v_or_b32_e32 v0, 64, v25
	s_delay_alu instid0(VALU_DEP_1) | instskip(SKIP_3) | instid1(VALU_DEP_3)
	v_sub_co_u32 v0, s2, v0, s12
	s_wait_alu 0xf1ff
	v_sub_co_ci_u32_e64 v1, null, 0, 0, s2
	v_sub_co_u32 v15, s2, s12, v25
	v_add_co_u32 v0, vcc_lo, v0, v13
	s_wait_alu 0xfffd
	s_delay_alu instid0(VALU_DEP_3)
	v_add_co_ci_u32_e64 v1, null, v1, v14, vcc_lo
	v_not_b32_e32 v13, v13
	v_not_b32_e32 v14, v14
	s_wait_alu 0xf1ff
	v_sub_co_ci_u32_e64 v16, null, 0, 0, s2
	v_cmp_gt_i64_e32 vcc_lo, v[0:1], v[4:5]
	v_add_co_u32 v13, s2, v15, v13
	s_wait_alu 0xf1ff
	s_delay_alu instid0(VALU_DEP_3) | instskip(SKIP_3) | instid1(VALU_DEP_1)
	v_add_co_ci_u32_e64 v14, null, v16, v14, s2
	s_mov_b32 s2, exec_lo
	s_wait_alu 0xfffd
	v_dual_cndmask_b32 v15, v5, v1 :: v_dual_cndmask_b32 v0, v4, v0
	v_add_co_u32 v13, vcc_lo, v13, v0
	v_mov_b32_e32 v1, 0
	s_wait_alu 0xfffd
	s_delay_alu instid0(VALU_DEP_3) | instskip(NEXT) | instid1(VALU_DEP_2)
	v_add_co_ci_u32_e64 v14, null, v14, v15, vcc_lo
	v_dual_mov_b32 v31, v1 :: v_dual_and_b32 v0, 0xc0, v13
	v_mov_b32_e32 v32, v1
	v_dual_mov_b32 v30, v1 :: v_dual_mov_b32 v29, v1
	v_dual_mov_b32 v28, v1 :: v_dual_mov_b32 v27, v1
	v_mov_b32_e32 v26, v1
	v_cmpx_ne_u64_e32 0xc0, v[0:1]
	s_cbranch_execz .LBB129_29
; %bb.26:
	v_lshrrev_b32_e32 v0, 6, v13
	v_dual_mov_b32 v26, 0 :: v_dual_mov_b32 v27, 0
	v_dual_mov_b32 v28, 0 :: v_dual_mov_b32 v29, 0
	s_delay_alu instid0(VALU_DEP_3) | instskip(SKIP_2) | instid1(VALU_DEP_3)
	v_dual_mov_b32 v30, 0 :: v_dual_add_nc_u32 v15, 1, v0
	v_lshlrev_b64_e32 v[0:1], 2, v[2:3]
	v_dual_mov_b32 v31, 0 :: v_dual_mov_b32 v32, 0
	v_and_b32_e32 v17, 3, v15
	s_delay_alu instid0(VALU_DEP_3) | instskip(SKIP_1) | instid1(VALU_DEP_4)
	v_add_co_u32 v15, vcc_lo, s8, v0
	s_wait_alu 0xfffd
	v_add_co_ci_u32_e64 v16, null, s9, v1, vcc_lo
	s_delay_alu instid0(VALU_DEP_3)
	v_sub_co_u32 v17, s6, 0, v17
	s_wait_alu 0xf1ff
	v_sub_co_ci_u32_e64 v18, null, 0, 0, s6
	v_mov_b32_e32 v1, 0
	s_mov_b32 s6, 0
.LBB129_27:                             ; =>This Inner Loop Header: Depth=1
	global_load_b32 v0, v[15:16], off
	s_clause 0x1
	global_load_b128 v[19:22], v[6:7], off offset:16
	global_load_b128 v[33:36], v[6:7], off
	s_wait_loadcnt 0x2
	v_subrev_nc_u32_e32 v0, s12, v0
	s_delay_alu instid0(VALU_DEP_1) | instskip(NEXT) | instid1(VALU_DEP_1)
	v_lshlrev_b32_e32 v23, 2, v0
	v_ashrrev_i32_e32 v24, 31, v23
	s_delay_alu instid0(VALU_DEP_1) | instskip(SKIP_1) | instid1(VALU_DEP_1)
	v_lshlrev_b64_e32 v[23:24], 3, v[23:24]
	s_wait_kmcnt 0x0
	v_add_co_u32 v23, vcc_lo, s4, v23
	s_wait_alu 0xfffd
	s_delay_alu instid0(VALU_DEP_2)
	v_add_co_ci_u32_e64 v24, null, s5, v24, vcc_lo
	s_clause 0x1
	global_load_b128 v[37:40], v[23:24], off
	global_load_b128 v[41:44], v[23:24], off offset:16
	s_clause 0x1
	global_load_b128 v[45:48], v[6:7], off offset:32
	global_load_b128 v[49:52], v[6:7], off offset:48
	v_add_co_u32 v6, vcc_lo, 0x1000, v6
	s_wait_alu 0xfffd
	v_add_co_ci_u32_e64 v7, null, 0, v7, vcc_lo
	v_add_co_u32 v2, vcc_lo, v2, 64
	s_wait_alu 0xfffd
	v_add_co_ci_u32_e64 v3, null, 0, v3, vcc_lo
	;; [unrolled: 3-line block ×4, first 2 shown]
	s_delay_alu instid0(VALU_DEP_3)
	v_cmp_eq_u64_e32 vcc_lo, 0, v[17:18]
	s_wait_alu 0xfffe
	s_or_b32 s6, vcc_lo, s6
	s_wait_loadcnt 0x3
	v_fmac_f32_e32 v26, 0, v37
	v_fmac_f32_e32 v29, v34, v37
	;; [unrolled: 1-line block ×4, first 2 shown]
	s_delay_alu instid0(VALU_DEP_4) | instskip(NEXT) | instid1(VALU_DEP_4)
	v_fmac_f32_e32 v26, v33, v38
	v_dual_fmac_f32 v32, v35, v37 :: v_dual_fmac_f32 v29, 0x80000000, v38
	s_delay_alu instid0(VALU_DEP_4) | instskip(NEXT) | instid1(VALU_DEP_4)
	v_dual_fmac_f32 v1, v36, v37 :: v_dual_fmac_f32 v28, v34, v38
	v_fmac_f32_e32 v27, 0x80000000, v38
	s_delay_alu instid0(VALU_DEP_3) | instskip(NEXT) | instid1(VALU_DEP_3)
	v_fmac_f32_e32 v32, 0x80000000, v38
	v_dual_fmac_f32 v30, 0, v37 :: v_dual_fmac_f32 v1, 0x80000000, v38
	v_dual_fmac_f32 v31, 0, v37 :: v_dual_fmac_f32 v26, 0, v39
	s_delay_alu instid0(VALU_DEP_2) | instskip(NEXT) | instid1(VALU_DEP_2)
	v_dual_fmac_f32 v29, v20, v39 :: v_dual_fmac_f32 v30, v35, v38
	v_dual_fmac_f32 v28, 0, v39 :: v_dual_fmac_f32 v31, v36, v38
	s_delay_alu instid0(VALU_DEP_3) | instskip(NEXT) | instid1(VALU_DEP_3)
	v_fmac_f32_e32 v26, v19, v40
	v_dual_fmac_f32 v32, v21, v39 :: v_dual_fmac_f32 v29, 0x80000000, v40
	v_fmac_f32_e32 v1, v22, v39
	s_delay_alu instid0(VALU_DEP_4) | instskip(NEXT) | instid1(VALU_DEP_3)
	v_dual_fmac_f32 v27, v19, v39 :: v_dual_fmac_f32 v28, v20, v40
	v_fmac_f32_e32 v32, 0x80000000, v40
	s_delay_alu instid0(VALU_DEP_3) | instskip(SKIP_3) | instid1(VALU_DEP_2)
	v_dual_fmac_f32 v30, 0, v39 :: v_dual_fmac_f32 v1, 0x80000000, v40
	s_wait_loadcnt 0x2
	v_dual_fmac_f32 v31, 0, v39 :: v_dual_fmac_f32 v26, 0, v41
	s_wait_loadcnt 0x1
	v_dual_fmac_f32 v29, v46, v41 :: v_dual_fmac_f32 v30, v21, v40
	v_fmac_f32_e32 v27, 0x80000000, v40
	s_delay_alu instid0(VALU_DEP_3) | instskip(NEXT) | instid1(VALU_DEP_3)
	v_dual_fmac_f32 v31, v22, v40 :: v_dual_fmac_f32 v26, v45, v42
	v_dual_fmac_f32 v32, v47, v41 :: v_dual_fmac_f32 v29, 0x80000000, v42
	v_fmac_f32_e32 v1, v48, v41
	v_fmac_f32_e32 v28, 0, v41
	s_delay_alu instid0(VALU_DEP_3) | instskip(NEXT) | instid1(VALU_DEP_3)
	v_dual_fmac_f32 v27, v45, v41 :: v_dual_fmac_f32 v32, 0x80000000, v42
	v_dual_fmac_f32 v30, 0, v41 :: v_dual_fmac_f32 v1, 0x80000000, v42
	;; [unrolled: 1-line block ×3, first 2 shown]
	s_wait_loadcnt 0x0
	s_delay_alu instid0(VALU_DEP_2) | instskip(SKIP_1) | instid1(VALU_DEP_3)
	v_dual_fmac_f32 v29, v50, v43 :: v_dual_fmac_f32 v30, v47, v42
	v_fmac_f32_e32 v28, v46, v42
	v_fmac_f32_e32 v31, v48, v42
	v_dual_fmac_f32 v27, 0x80000000, v42 :: v_dual_fmac_f32 v26, v49, v44
	s_delay_alu instid0(VALU_DEP_4) | instskip(SKIP_2) | instid1(VALU_DEP_3)
	v_dual_fmac_f32 v32, v51, v43 :: v_dual_fmac_f32 v29, 0x80000000, v44
	v_fmac_f32_e32 v1, v52, v43
	v_fmac_f32_e32 v28, 0, v43
	v_dual_fmac_f32 v27, v49, v43 :: v_dual_fmac_f32 v32, 0x80000000, v44
	s_delay_alu instid0(VALU_DEP_3) | instskip(NEXT) | instid1(VALU_DEP_3)
	v_dual_fmac_f32 v30, 0, v43 :: v_dual_fmac_f32 v1, 0x80000000, v44
	v_dual_fmac_f32 v31, 0, v43 :: v_dual_fmac_f32 v28, v50, v44
	s_delay_alu instid0(VALU_DEP_3) | instskip(NEXT) | instid1(VALU_DEP_3)
	v_fmac_f32_e32 v27, 0x80000000, v44
	v_fmac_f32_e32 v30, v51, v44
	s_delay_alu instid0(VALU_DEP_3)
	v_fmac_f32_e32 v31, v52, v44
	s_wait_alu 0xfffe
	s_and_not1_b32 exec_lo, exec_lo, s6
	s_cbranch_execnz .LBB129_27
; %bb.28:
	s_or_b32 exec_lo, exec_lo, s6
.LBB129_29:
	s_wait_alu 0xfffe
	s_or_b32 exec_lo, exec_lo, s2
	s_delay_alu instid0(SALU_CYCLE_1)
	s_mov_b32 s2, exec_lo
	v_cmpx_lt_u64_e32 0xbf, v[13:14]
	s_cbranch_execz .LBB129_33
; %bb.30:
	v_lshlrev_b64_e32 v[13:14], 2, v[2:3]
	s_mov_b32 s6, 0
	s_delay_alu instid0(VALU_DEP_1) | instskip(SKIP_1) | instid1(VALU_DEP_2)
	v_add_co_u32 v0, vcc_lo, s8, v13
	s_wait_alu 0xfffd
	v_add_co_ci_u32_e64 v14, null, s9, v14, vcc_lo
	s_delay_alu instid0(VALU_DEP_2) | instskip(SKIP_1) | instid1(VALU_DEP_2)
	v_add_co_u32 v13, vcc_lo, 0x200, v0
	s_wait_alu 0xfffd
	v_add_co_ci_u32_e64 v14, null, 0, v14, vcc_lo
.LBB129_31:                             ; =>This Inner Loop Header: Depth=1
	s_clause 0x3
	global_load_b32 v0, v[13:14], off offset:-512
	global_load_b32 v23, v[13:14], off offset:-256
	global_load_b32 v24, v[13:14], off
	global_load_b32 v81, v[13:14], off offset:256
	s_clause 0xd
	global_load_b128 v[15:18], v[6:7], off offset:48
	global_load_b128 v[19:22], v[6:7], off offset:32
	;; [unrolled: 1-line block ×3, first 2 shown]
	global_load_b128 v[37:40], v[6:7], off
	global_load_b128 v[41:44], v[6:7], off offset:4144
	global_load_b128 v[45:48], v[6:7], off offset:4128
	;; [unrolled: 1-line block ×10, first 2 shown]
	s_wait_loadcnt 0x11
	v_subrev_nc_u32_e32 v0, s12, v0
	s_wait_loadcnt 0x10
	v_subrev_nc_u32_e32 v82, s12, v23
	;; [unrolled: 2-line block ×4, first 2 shown]
	v_lshlrev_b32_e32 v23, 2, v0
	v_lshlrev_b32_e32 v81, 2, v82
	;; [unrolled: 1-line block ×3, first 2 shown]
	s_delay_alu instid0(VALU_DEP_4) | instskip(NEXT) | instid1(VALU_DEP_4)
	v_lshlrev_b32_e32 v85, 2, v84
	v_ashrrev_i32_e32 v24, 31, v23
	s_delay_alu instid0(VALU_DEP_4) | instskip(NEXT) | instid1(VALU_DEP_4)
	v_ashrrev_i32_e32 v82, 31, v81
	v_ashrrev_i32_e32 v84, 31, v83
	s_delay_alu instid0(VALU_DEP_4) | instskip(NEXT) | instid1(VALU_DEP_4)
	v_ashrrev_i32_e32 v86, 31, v85
	v_lshlrev_b64_e32 v[23:24], 3, v[23:24]
	s_delay_alu instid0(VALU_DEP_4) | instskip(NEXT) | instid1(VALU_DEP_4)
	v_lshlrev_b64_e32 v[81:82], 3, v[81:82]
	v_lshlrev_b64_e32 v[83:84], 3, v[83:84]
	s_delay_alu instid0(VALU_DEP_4) | instskip(SKIP_1) | instid1(VALU_DEP_4)
	v_lshlrev_b64_e32 v[85:86], 3, v[85:86]
	s_wait_kmcnt 0x0
	v_add_co_u32 v23, vcc_lo, s4, v23
	s_wait_alu 0xfffd
	v_add_co_ci_u32_e64 v24, null, s5, v24, vcc_lo
	v_add_co_u32 v93, vcc_lo, s4, v81
	s_wait_alu 0xfffd
	v_add_co_ci_u32_e64 v94, null, s5, v82, vcc_lo
	;; [unrolled: 3-line block ×4, first 2 shown]
	s_clause 0x6
	global_load_b128 v[81:84], v[23:24], off
	global_load_b128 v[85:88], v[23:24], off offset:16
	global_load_b128 v[89:92], v[93:94], off
	global_load_b128 v[93:96], v[93:94], off offset:16
	;; [unrolled: 2-line block ×4, first 2 shown]
	global_load_b128 v[113:116], v[113:114], off offset:16
	global_load_b128 v[117:120], v[6:7], off offset:12336
	v_add_co_u32 v6, vcc_lo, 0x4000, v6
	s_wait_alu 0xfffd
	v_add_co_ci_u32_e64 v7, null, 0, v7, vcc_lo
	v_add_co_u32 v2, vcc_lo, 0x100, v2
	s_wait_alu 0xfffd
	v_add_co_ci_u32_e64 v3, null, 0, v3, vcc_lo
	;; [unrolled: 3-line block ×3, first 2 shown]
	s_delay_alu instid0(VALU_DEP_3)
	v_cmp_ge_i64_e32 vcc_lo, v[2:3], v[4:5]
	s_wait_alu 0xfffe
	s_or_b32 s6, vcc_lo, s6
	s_wait_loadcnt 0x9
	v_fmac_f32_e32 v28, 0, v81
	v_fmac_f32_e32 v27, v37, v81
	;; [unrolled: 1-line block ×5, first 2 shown]
	v_dual_fmac_f32 v1, v40, v81 :: v_dual_fmac_f32 v28, v38, v82
	v_dual_fmac_f32 v30, 0, v81 :: v_dual_fmac_f32 v27, 0x80000000, v82
	;; [unrolled: 1-line block ×3, first 2 shown]
	s_delay_alu instid0(VALU_DEP_4) | instskip(NEXT) | instid1(VALU_DEP_3)
	v_fmac_f32_e32 v32, 0x80000000, v82
	v_fmac_f32_e32 v30, v39, v82
	;; [unrolled: 1-line block ×3, first 2 shown]
	s_delay_alu instid0(VALU_DEP_4) | instskip(NEXT) | instid1(VALU_DEP_3)
	v_dual_fmac_f32 v31, v40, v82 :: v_dual_fmac_f32 v28, 0, v83
	v_dual_fmac_f32 v1, 0x80000000, v82 :: v_dual_fmac_f32 v30, 0, v83
	v_fmac_f32_e32 v27, v33, v83
	v_fmac_f32_e32 v26, 0, v83
	;; [unrolled: 1-line block ×4, first 2 shown]
	v_dual_fmac_f32 v31, 0, v83 :: v_dual_fmac_f32 v30, v35, v84
	s_delay_alu instid0(VALU_DEP_3)
	v_dual_fmac_f32 v1, v36, v83 :: v_dual_fmac_f32 v32, 0x80000000, v84
	v_fmac_f32_e32 v26, v33, v84
	v_fmac_f32_e32 v28, v34, v84
	;; [unrolled: 1-line block ×4, first 2 shown]
	s_wait_loadcnt 0x8
	v_dual_fmac_f32 v29, 0x80000000, v84 :: v_dual_fmac_f32 v32, v21, v85
	v_dual_fmac_f32 v1, 0x80000000, v84 :: v_dual_fmac_f32 v30, 0, v85
	v_fmac_f32_e32 v26, 0, v85
	s_delay_alu instid0(VALU_DEP_3)
	v_fmac_f32_e32 v29, v20, v85
	v_fmac_f32_e32 v28, 0, v85
	;; [unrolled: 1-line block ×3, first 2 shown]
	v_dual_fmac_f32 v31, 0, v85 :: v_dual_fmac_f32 v30, v21, v86
	v_dual_fmac_f32 v1, v22, v85 :: v_dual_fmac_f32 v32, 0x80000000, v86
	v_fmac_f32_e32 v26, v19, v86
	v_fmac_f32_e32 v28, v20, v86
	;; [unrolled: 1-line block ×4, first 2 shown]
	v_dual_fmac_f32 v29, 0x80000000, v86 :: v_dual_fmac_f32 v32, v17, v87
	v_dual_fmac_f32 v1, 0x80000000, v86 :: v_dual_fmac_f32 v30, 0, v87
	v_fmac_f32_e32 v26, 0, v87
	s_delay_alu instid0(VALU_DEP_3)
	v_fmac_f32_e32 v29, v16, v87
	v_fmac_f32_e32 v28, 0, v87
	;; [unrolled: 1-line block ×3, first 2 shown]
	v_dual_fmac_f32 v31, 0, v87 :: v_dual_fmac_f32 v30, v17, v88
	v_dual_fmac_f32 v1, v18, v87 :: v_dual_fmac_f32 v32, 0x80000000, v88
	v_fmac_f32_e32 v26, v15, v88
	v_fmac_f32_e32 v28, v16, v88
	;; [unrolled: 1-line block ×4, first 2 shown]
	s_wait_loadcnt 0x7
	v_dual_fmac_f32 v29, 0x80000000, v88 :: v_dual_fmac_f32 v32, v55, v89
	v_dual_fmac_f32 v1, 0x80000000, v88 :: v_dual_fmac_f32 v30, 0, v89
	v_fmac_f32_e32 v26, 0, v89
	s_delay_alu instid0(VALU_DEP_3)
	v_fmac_f32_e32 v29, v54, v89
	v_fmac_f32_e32 v28, 0, v89
	v_fmac_f32_e32 v27, v53, v89
	v_dual_fmac_f32 v1, v56, v89 :: v_dual_fmac_f32 v32, 0x80000000, v90
	v_dual_fmac_f32 v31, 0, v89 :: v_dual_fmac_f32 v30, v55, v90
	v_fmac_f32_e32 v26, v53, v90
	v_fmac_f32_e32 v28, v54, v90
	v_fmac_f32_e32 v27, 0x80000000, v90
	v_fmac_f32_e32 v29, 0x80000000, v90
	v_dual_fmac_f32 v1, 0x80000000, v90 :: v_dual_fmac_f32 v32, v51, v91
	v_dual_fmac_f32 v31, v56, v90 :: v_dual_fmac_f32 v30, 0, v91
	v_fmac_f32_e32 v26, 0, v91
	v_fmac_f32_e32 v28, 0, v91
	v_fmac_f32_e32 v27, v49, v91
	v_fmac_f32_e32 v29, v50, v91
	v_dual_fmac_f32 v1, v52, v91 :: v_dual_fmac_f32 v32, 0x80000000, v92
	v_dual_fmac_f32 v31, 0, v91 :: v_dual_fmac_f32 v30, v51, v92
	v_fmac_f32_e32 v26, v49, v92
	v_fmac_f32_e32 v28, v50, v92
	v_fmac_f32_e32 v27, 0x80000000, v92
	v_fmac_f32_e32 v29, 0x80000000, v92
	s_wait_loadcnt 0x6
	v_dual_fmac_f32 v1, 0x80000000, v92 :: v_dual_fmac_f32 v32, v47, v93
	v_dual_fmac_f32 v31, v52, v92 :: v_dual_fmac_f32 v30, 0, v93
	v_fmac_f32_e32 v26, 0, v93
	v_fmac_f32_e32 v28, 0, v93
	v_fmac_f32_e32 v27, v45, v93
	v_fmac_f32_e32 v29, v46, v93
	v_dual_fmac_f32 v1, v48, v93 :: v_dual_fmac_f32 v32, 0x80000000, v94
	v_dual_fmac_f32 v31, 0, v93 :: v_dual_fmac_f32 v30, v47, v94
	v_fmac_f32_e32 v26, v45, v94
	v_fmac_f32_e32 v28, v46, v94
	v_fmac_f32_e32 v27, 0x80000000, v94
	v_fmac_f32_e32 v29, 0x80000000, v94
	v_dual_fmac_f32 v1, 0x80000000, v94 :: v_dual_fmac_f32 v32, v43, v95
	v_dual_fmac_f32 v31, v48, v94 :: v_dual_fmac_f32 v30, 0, v95
	v_fmac_f32_e32 v26, 0, v95
	v_fmac_f32_e32 v28, 0, v95
	v_fmac_f32_e32 v27, v41, v95
	v_fmac_f32_e32 v29, v42, v95
	v_dual_fmac_f32 v1, v44, v95 :: v_dual_fmac_f32 v32, 0x80000000, v96
	v_dual_fmac_f32 v31, 0, v95 :: v_dual_fmac_f32 v30, v43, v96
	v_fmac_f32_e32 v26, v41, v96
	v_fmac_f32_e32 v28, v42, v96
	v_fmac_f32_e32 v27, 0x80000000, v96
	v_fmac_f32_e32 v29, 0x80000000, v96
	s_wait_loadcnt 0x5
	v_dual_fmac_f32 v1, 0x80000000, v96 :: v_dual_fmac_f32 v32, v71, v97
	v_dual_fmac_f32 v31, v44, v96 :: v_dual_fmac_f32 v30, 0, v97
	v_fmac_f32_e32 v26, 0, v97
	v_fmac_f32_e32 v28, 0, v97
	v_fmac_f32_e32 v27, v69, v97
	v_fmac_f32_e32 v29, v70, v97
	v_dual_fmac_f32 v1, v72, v97 :: v_dual_fmac_f32 v32, 0x80000000, v98
	v_dual_fmac_f32 v31, 0, v97 :: v_dual_fmac_f32 v30, v71, v98
	v_fmac_f32_e32 v26, v69, v98
	v_fmac_f32_e32 v28, v70, v98
	v_fmac_f32_e32 v27, 0x80000000, v98
	v_fmac_f32_e32 v29, 0x80000000, v98
	v_dual_fmac_f32 v1, 0x80000000, v98 :: v_dual_fmac_f32 v32, v67, v99
	v_dual_fmac_f32 v31, v72, v98 :: v_dual_fmac_f32 v30, 0, v99
	v_fmac_f32_e32 v26, 0, v99
	v_fmac_f32_e32 v28, 0, v99
	v_fmac_f32_e32 v27, v65, v99
	v_fmac_f32_e32 v29, v66, v99
	v_dual_fmac_f32 v1, v68, v99 :: v_dual_fmac_f32 v32, 0x80000000, v100
	v_dual_fmac_f32 v31, 0, v99 :: v_dual_fmac_f32 v30, v67, v100
	v_fmac_f32_e32 v26, v65, v100
	v_fmac_f32_e32 v28, v66, v100
	v_fmac_f32_e32 v27, 0x80000000, v100
	v_fmac_f32_e32 v29, 0x80000000, v100
	s_wait_loadcnt 0x4
	v_dual_fmac_f32 v1, 0x80000000, v100 :: v_dual_fmac_f32 v32, v63, v101
	v_dual_fmac_f32 v31, v68, v100 :: v_dual_fmac_f32 v30, 0, v101
	v_fmac_f32_e32 v26, 0, v101
	v_fmac_f32_e32 v28, 0, v101
	v_fmac_f32_e32 v27, v61, v101
	v_fmac_f32_e32 v29, v62, v101
	v_dual_fmac_f32 v1, v64, v101 :: v_dual_fmac_f32 v32, 0x80000000, v102
	v_dual_fmac_f32 v31, 0, v101 :: v_dual_fmac_f32 v30, v63, v102
	v_fmac_f32_e32 v26, v61, v102
	v_fmac_f32_e32 v28, v62, v102
	v_fmac_f32_e32 v27, 0x80000000, v102
	v_fmac_f32_e32 v29, 0x80000000, v102
	v_dual_fmac_f32 v1, 0x80000000, v102 :: v_dual_fmac_f32 v32, v59, v103
	v_dual_fmac_f32 v31, v64, v102 :: v_dual_fmac_f32 v30, 0, v103
	v_fmac_f32_e32 v26, 0, v103
	v_fmac_f32_e32 v28, 0, v103
	v_fmac_f32_e32 v27, v57, v103
	v_fmac_f32_e32 v29, v58, v103
	v_dual_fmac_f32 v1, v60, v103 :: v_dual_fmac_f32 v32, 0x80000000, v104
	v_dual_fmac_f32 v31, 0, v103 :: v_dual_fmac_f32 v30, v59, v104
	v_fmac_f32_e32 v26, v57, v104
	v_fmac_f32_e32 v28, v58, v104
	v_fmac_f32_e32 v27, 0x80000000, v104
	v_fmac_f32_e32 v29, 0x80000000, v104
	s_wait_loadcnt 0x3
	v_dual_fmac_f32 v1, 0x80000000, v104 :: v_dual_fmac_f32 v32, v79, v105
	v_dual_fmac_f32 v31, v60, v104 :: v_dual_fmac_f32 v30, 0, v105
	v_fmac_f32_e32 v26, 0, v105
	v_fmac_f32_e32 v28, 0, v105
	v_fmac_f32_e32 v27, v77, v105
	v_fmac_f32_e32 v29, v78, v105
	v_dual_fmac_f32 v1, v80, v105 :: v_dual_fmac_f32 v32, 0x80000000, v106
	v_dual_fmac_f32 v31, 0, v105 :: v_dual_fmac_f32 v30, v79, v106
	v_fmac_f32_e32 v26, v77, v106
	v_fmac_f32_e32 v28, v78, v106
	v_fmac_f32_e32 v27, 0x80000000, v106
	v_fmac_f32_e32 v29, 0x80000000, v106
	v_dual_fmac_f32 v1, 0x80000000, v106 :: v_dual_fmac_f32 v32, v75, v107
	v_dual_fmac_f32 v31, v80, v106 :: v_dual_fmac_f32 v30, 0, v107
	v_fmac_f32_e32 v26, 0, v107
	v_fmac_f32_e32 v28, 0, v107
	v_fmac_f32_e32 v27, v73, v107
	v_fmac_f32_e32 v29, v74, v107
	v_dual_fmac_f32 v1, v76, v107 :: v_dual_fmac_f32 v32, 0x80000000, v108
	v_dual_fmac_f32 v31, 0, v107 :: v_dual_fmac_f32 v30, v75, v108
	v_fmac_f32_e32 v26, v73, v108
	v_fmac_f32_e32 v28, v74, v108
	v_fmac_f32_e32 v27, 0x80000000, v108
	v_fmac_f32_e32 v29, 0x80000000, v108
	s_wait_loadcnt 0x1
	v_dual_fmac_f32 v1, 0x80000000, v108 :: v_dual_fmac_f32 v32, v111, v113
	v_dual_fmac_f32 v31, v76, v108 :: v_dual_fmac_f32 v30, 0, v113
	v_fmac_f32_e32 v26, 0, v113
	v_fmac_f32_e32 v28, 0, v113
	v_fmac_f32_e32 v27, v109, v113
	;; [unrolled: 1-line block ×3, first 2 shown]
	v_dual_fmac_f32 v1, v112, v113 :: v_dual_fmac_f32 v32, 0x80000000, v114
	v_dual_fmac_f32 v31, 0, v113 :: v_dual_fmac_f32 v30, v111, v114
	v_fmac_f32_e32 v26, v109, v114
	v_fmac_f32_e32 v28, v110, v114
	;; [unrolled: 1-line block ×4, first 2 shown]
	s_wait_loadcnt 0x0
	v_dual_fmac_f32 v1, 0x80000000, v114 :: v_dual_fmac_f32 v32, v119, v115
	v_dual_fmac_f32 v31, v112, v114 :: v_dual_fmac_f32 v30, 0, v115
	v_fmac_f32_e32 v26, 0, v115
	v_fmac_f32_e32 v28, 0, v115
	;; [unrolled: 1-line block ×4, first 2 shown]
	v_dual_fmac_f32 v1, v120, v115 :: v_dual_fmac_f32 v32, 0x80000000, v116
	v_dual_fmac_f32 v31, 0, v115 :: v_dual_fmac_f32 v30, v119, v116
	v_fmac_f32_e32 v26, v117, v116
	s_delay_alu instid0(VALU_DEP_4)
	v_fmac_f32_e32 v29, 0x80000000, v116
	v_fmac_f32_e32 v28, v118, v116
	;; [unrolled: 1-line block ×5, first 2 shown]
	s_wait_alu 0xfffe
	s_and_not1_b32 exec_lo, exec_lo, s6
	s_cbranch_execnz .LBB129_31
; %bb.32:
	s_or_b32 exec_lo, exec_lo, s6
.LBB129_33:
	s_wait_alu 0xfffe
	s_or_b32 exec_lo, exec_lo, s2
.LBB129_34:
	s_wait_alu 0xfffe
	s_or_b32 exec_lo, exec_lo, s3
.LBB129_35:
	v_mbcnt_lo_u32_b32 v0, -1, 0
	s_delay_alu instid0(VALU_DEP_1) | instskip(SKIP_2) | instid1(VALU_DEP_3)
	v_or_b32_e32 v2, 32, v0
	v_xor_b32_e32 v15, 16, v0
	v_xor_b32_e32 v22, 8, v0
	v_cmp_gt_i32_e32 vcc_lo, 32, v2
	s_wait_alu 0xfffd
	v_cndmask_b32_e32 v2, v0, v2, vcc_lo
	v_cmp_gt_i32_e32 vcc_lo, 32, v15
	s_wait_alu 0xfffd
	v_cndmask_b32_e32 v15, v0, v15, vcc_lo
	v_cmp_gt_i32_e32 vcc_lo, 32, v22
	s_delay_alu instid0(VALU_DEP_2)
	v_lshlrev_b32_e32 v15, 2, v15
	v_lshlrev_b32_e32 v2, 2, v2
	s_wait_alu 0xfffd
	v_cndmask_b32_e32 v22, v0, v22, vcc_lo
	ds_bpermute_b32 v3, v2, v27
	s_wait_dscnt 0x0
	v_add_f32_e32 v3, v27, v3
	ds_bpermute_b32 v4, v2, v26
	ds_bpermute_b32 v5, v2, v29
	;; [unrolled: 1-line block ×7, first 2 shown]
	s_wait_dscnt 0x5
	v_dual_add_f32 v4, v26, v4 :: v_dual_add_f32 v5, v29, v5
	s_wait_dscnt 0x4
	v_add_f32_e32 v6, v28, v6
	s_wait_dscnt 0x3
	v_add_f32_e32 v7, v32, v7
	;; [unrolled: 2-line block ×3, first 2 shown]
	ds_bpermute_b32 v16, v15, v4
	s_wait_dscnt 0x2
	v_add_f32_e32 v1, v1, v14
	s_wait_dscnt 0x1
	v_add_f32_e32 v2, v31, v2
	ds_bpermute_b32 v14, v15, v3
	ds_bpermute_b32 v17, v15, v5
	;; [unrolled: 1-line block ×5, first 2 shown]
	v_lshlrev_b32_e32 v22, 2, v22
	s_wait_dscnt 0x5
	v_add_f32_e32 v4, v4, v16
	ds_bpermute_b32 v21, v15, v1
	ds_bpermute_b32 v15, v15, v2
	s_wait_dscnt 0x6
	v_add_f32_e32 v3, v3, v14
	s_wait_dscnt 0x4
	v_dual_add_f32 v5, v5, v17 :: v_dual_add_f32 v6, v6, v18
	s_wait_dscnt 0x3
	v_add_f32_e32 v7, v7, v19
	s_wait_dscnt 0x2
	v_add_f32_e32 v13, v13, v20
	ds_bpermute_b32 v16, v22, v5
	ds_bpermute_b32 v17, v22, v6
	;; [unrolled: 1-line block ×4, first 2 shown]
	s_wait_dscnt 0x4
	v_dual_add_f32 v1, v1, v21 :: v_dual_add_f32 v2, v2, v15
	ds_bpermute_b32 v14, v22, v3
	ds_bpermute_b32 v15, v22, v4
	;; [unrolled: 1-line block ×4, first 2 shown]
	v_xor_b32_e32 v22, 4, v0
	s_wait_dscnt 0x6
	v_dual_add_f32 v5, v5, v16 :: v_dual_add_f32 v6, v6, v17
	s_wait_dscnt 0x5
	v_add_f32_e32 v7, v7, v18
	v_cmp_gt_i32_e32 vcc_lo, 32, v22
	s_wait_dscnt 0x4
	s_wait_alu 0xfffd
	v_dual_cndmask_b32 v22, v0, v22 :: v_dual_add_f32 v13, v13, v19
	s_delay_alu instid0(VALU_DEP_1)
	v_lshlrev_b32_e32 v22, 2, v22
	s_wait_dscnt 0x2
	v_dual_add_f32 v3, v3, v14 :: v_dual_add_f32 v4, v4, v15
	s_wait_dscnt 0x0
	v_dual_add_f32 v1, v1, v20 :: v_dual_add_f32 v2, v2, v21
	ds_bpermute_b32 v16, v22, v5
	ds_bpermute_b32 v14, v22, v3
	;; [unrolled: 1-line block ×8, first 2 shown]
	v_xor_b32_e32 v22, 2, v0
	s_delay_alu instid0(VALU_DEP_1)
	v_cmp_gt_i32_e32 vcc_lo, 32, v22
	s_wait_dscnt 0x7
	s_wait_alu 0xfffd
	v_dual_cndmask_b32 v22, v0, v22 :: v_dual_add_f32 v5, v5, v16
	s_wait_dscnt 0x5
	v_dual_add_f32 v3, v3, v14 :: v_dual_add_f32 v4, v4, v15
	s_delay_alu instid0(VALU_DEP_2)
	v_lshlrev_b32_e32 v22, 2, v22
	s_wait_dscnt 0x3
	v_dual_add_f32 v6, v6, v17 :: v_dual_add_f32 v7, v7, v18
	s_wait_dscnt 0x1
	v_add_f32_e32 v14, v1, v20
	v_add_f32_e32 v13, v13, v19
	s_wait_dscnt 0x0
	v_add_f32_e32 v15, v2, v21
	ds_bpermute_b32 v1, v22, v3
	ds_bpermute_b32 v2, v22, v4
	;; [unrolled: 1-line block ×8, first 2 shown]
	v_xor_b32_e32 v22, 1, v0
	s_delay_alu instid0(VALU_DEP_1) | instskip(SKIP_3) | instid1(VALU_DEP_2)
	v_cmp_gt_i32_e32 vcc_lo, 32, v22
	s_wait_alu 0xfffd
	v_cndmask_b32_e32 v0, v0, v22, vcc_lo
	v_cmp_eq_u32_e32 vcc_lo, 63, v25
	v_lshlrev_b32_e32 v22, 2, v0
	s_wait_dscnt 0x6
	v_dual_add_f32 v0, v3, v1 :: v_dual_add_f32 v1, v4, v2
	s_wait_dscnt 0x4
	v_dual_add_f32 v2, v5, v16 :: v_dual_add_f32 v3, v6, v17
	;; [unrolled: 2-line block ×4, first 2 shown]
	ds_bpermute_b32 v13, v22, v0
	ds_bpermute_b32 v14, v22, v1
	;; [unrolled: 1-line block ×8, first 2 shown]
	s_and_b32 exec_lo, exec_lo, vcc_lo
	s_cbranch_execz .LBB129_8
; %bb.36:
	s_load_b64 s[2:3], s[0:1], 0x50
	s_wait_dscnt 0x6
	v_dual_add_f32 v13, v0, v13 :: v_dual_add_f32 v0, v1, v14
	s_wait_dscnt 0x4
	v_dual_add_f32 v14, v2, v15 :: v_dual_add_f32 v1, v3, v16
	;; [unrolled: 2-line block ×4, first 2 shown]
	v_mul_f32_e64 v4, v0, -v11
	v_mul_f32_e32 v5, v10, v0
	v_mul_f32_e64 v6, v1, -v11
	v_dual_mul_f32 v7, v10, v1 :: v_dual_lshlrev_b32 v12, 2, v12
	v_mul_f32_e64 v0, v2, -v11
	v_mul_f32_e32 v1, v10, v2
	v_mul_f32_e64 v2, v3, -v11
	v_mul_f32_e32 v3, v10, v3
	v_cmp_eq_f32_e32 vcc_lo, 0, v8
	v_cmp_eq_f32_e64 s0, 0, v9
	v_dual_fmac_f32 v4, v10, v13 :: v_dual_fmac_f32 v7, v11, v14
	v_dual_fmac_f32 v5, v11, v13 :: v_dual_fmac_f32 v6, v10, v14
	;; [unrolled: 1-line block ×4, first 2 shown]
	s_and_b32 s0, vcc_lo, s0
	s_wait_alu 0xfffe
	s_and_saveexec_b32 s1, s0
	s_wait_alu 0xfffe
	s_xor_b32 s0, exec_lo, s1
	s_cbranch_execz .LBB129_38
; %bb.37:
	v_ashrrev_i32_e32 v13, 31, v12
	s_delay_alu instid0(VALU_DEP_1) | instskip(SKIP_1) | instid1(VALU_DEP_1)
	v_lshlrev_b64_e32 v[8:9], 3, v[12:13]
                                        ; implicit-def: $vgpr12
	s_wait_kmcnt 0x0
	v_add_co_u32 v8, vcc_lo, s2, v8
	s_wait_alu 0xfffd
	s_delay_alu instid0(VALU_DEP_2)
	v_add_co_ci_u32_e64 v9, null, s3, v9, vcc_lo
	s_clause 0x1
	global_store_b128 v[8:9], v[4:7], off
	global_store_b128 v[8:9], v[0:3], off offset:16
                                        ; implicit-def: $vgpr8_vgpr9
                                        ; implicit-def: $vgpr4
                                        ; implicit-def: $vgpr0
.LBB129_38:
	s_wait_alu 0xfffe
	s_and_not1_saveexec_b32 s0, s0
	s_cbranch_execz .LBB129_8
; %bb.39:
	v_ashrrev_i32_e32 v13, 31, v12
	s_delay_alu instid0(VALU_DEP_1) | instskip(SKIP_1) | instid1(VALU_DEP_1)
	v_lshlrev_b64_e32 v[10:11], 3, v[12:13]
	s_wait_kmcnt 0x0
	v_add_co_u32 v18, vcc_lo, s2, v10
	s_wait_alu 0xfffd
	s_delay_alu instid0(VALU_DEP_2)
	v_add_co_ci_u32_e64 v19, null, s3, v11, vcc_lo
	s_clause 0x1
	global_load_b128 v[10:13], v[18:19], off
	global_load_b128 v[14:17], v[18:19], off offset:16
	s_wait_loadcnt 0x1
	v_dual_fmac_f32 v4, v8, v10 :: v_dual_fmac_f32 v7, v9, v12
	v_dual_fmac_f32 v5, v9, v10 :: v_dual_fmac_f32 v6, v8, v12
	s_wait_loadcnt 0x0
	v_dual_fmac_f32 v0, v8, v14 :: v_dual_fmac_f32 v3, v9, v16
	v_dual_fmac_f32 v1, v9, v14 :: v_dual_fmac_f32 v2, v8, v16
	v_fma_f32 v4, -v9, v11, v4
	v_fmac_f32_e32 v5, v8, v11
	v_fma_f32 v6, -v9, v13, v6
	v_fmac_f32_e32 v7, v8, v13
	;; [unrolled: 2-line block ×4, first 2 shown]
	s_clause 0x1
	global_store_b128 v[18:19], v[4:7], off
	global_store_b128 v[18:19], v[0:3], off offset:16
	s_nop 0
	s_sendmsg sendmsg(MSG_DEALLOC_VGPRS)
	s_endpgm
	.section	.rodata,"a",@progbits
	.p2align	6, 0x0
	.amdhsa_kernel _ZN9rocsparseL18bsrxmvn_4x4_kernelILj128ELj64E21rocsparse_complex_numIfElifS2_S2_EEvT3_20rocsparse_direction_NS_24const_host_device_scalarIT1_EES3_PKS3_PKT2_SC_S9_PKT4_PKT5_S7_PT6_21rocsparse_index_base_b
		.amdhsa_group_segment_fixed_size 0
		.amdhsa_private_segment_fixed_size 0
		.amdhsa_kernarg_size 96
		.amdhsa_user_sgpr_count 2
		.amdhsa_user_sgpr_dispatch_ptr 0
		.amdhsa_user_sgpr_queue_ptr 0
		.amdhsa_user_sgpr_kernarg_segment_ptr 1
		.amdhsa_user_sgpr_dispatch_id 0
		.amdhsa_user_sgpr_private_segment_size 0
		.amdhsa_wavefront_size32 1
		.amdhsa_uses_dynamic_stack 0
		.amdhsa_enable_private_segment 0
		.amdhsa_system_sgpr_workgroup_id_x 1
		.amdhsa_system_sgpr_workgroup_id_y 0
		.amdhsa_system_sgpr_workgroup_id_z 0
		.amdhsa_system_sgpr_workgroup_info 0
		.amdhsa_system_vgpr_workitem_id 0
		.amdhsa_next_free_vgpr 125
		.amdhsa_next_free_sgpr 14
		.amdhsa_reserve_vcc 1
		.amdhsa_float_round_mode_32 0
		.amdhsa_float_round_mode_16_64 0
		.amdhsa_float_denorm_mode_32 3
		.amdhsa_float_denorm_mode_16_64 3
		.amdhsa_fp16_overflow 0
		.amdhsa_workgroup_processor_mode 1
		.amdhsa_memory_ordered 1
		.amdhsa_forward_progress 1
		.amdhsa_inst_pref_size 65
		.amdhsa_round_robin_scheduling 0
		.amdhsa_exception_fp_ieee_invalid_op 0
		.amdhsa_exception_fp_denorm_src 0
		.amdhsa_exception_fp_ieee_div_zero 0
		.amdhsa_exception_fp_ieee_overflow 0
		.amdhsa_exception_fp_ieee_underflow 0
		.amdhsa_exception_fp_ieee_inexact 0
		.amdhsa_exception_int_div_zero 0
	.end_amdhsa_kernel
	.section	.text._ZN9rocsparseL18bsrxmvn_4x4_kernelILj128ELj64E21rocsparse_complex_numIfElifS2_S2_EEvT3_20rocsparse_direction_NS_24const_host_device_scalarIT1_EES3_PKS3_PKT2_SC_S9_PKT4_PKT5_S7_PT6_21rocsparse_index_base_b,"axG",@progbits,_ZN9rocsparseL18bsrxmvn_4x4_kernelILj128ELj64E21rocsparse_complex_numIfElifS2_S2_EEvT3_20rocsparse_direction_NS_24const_host_device_scalarIT1_EES3_PKS3_PKT2_SC_S9_PKT4_PKT5_S7_PT6_21rocsparse_index_base_b,comdat
.Lfunc_end129:
	.size	_ZN9rocsparseL18bsrxmvn_4x4_kernelILj128ELj64E21rocsparse_complex_numIfElifS2_S2_EEvT3_20rocsparse_direction_NS_24const_host_device_scalarIT1_EES3_PKS3_PKT2_SC_S9_PKT4_PKT5_S7_PT6_21rocsparse_index_base_b, .Lfunc_end129-_ZN9rocsparseL18bsrxmvn_4x4_kernelILj128ELj64E21rocsparse_complex_numIfElifS2_S2_EEvT3_20rocsparse_direction_NS_24const_host_device_scalarIT1_EES3_PKS3_PKT2_SC_S9_PKT4_PKT5_S7_PT6_21rocsparse_index_base_b
                                        ; -- End function
	.set _ZN9rocsparseL18bsrxmvn_4x4_kernelILj128ELj64E21rocsparse_complex_numIfElifS2_S2_EEvT3_20rocsparse_direction_NS_24const_host_device_scalarIT1_EES3_PKS3_PKT2_SC_S9_PKT4_PKT5_S7_PT6_21rocsparse_index_base_b.num_vgpr, 125
	.set _ZN9rocsparseL18bsrxmvn_4x4_kernelILj128ELj64E21rocsparse_complex_numIfElifS2_S2_EEvT3_20rocsparse_direction_NS_24const_host_device_scalarIT1_EES3_PKS3_PKT2_SC_S9_PKT4_PKT5_S7_PT6_21rocsparse_index_base_b.num_agpr, 0
	.set _ZN9rocsparseL18bsrxmvn_4x4_kernelILj128ELj64E21rocsparse_complex_numIfElifS2_S2_EEvT3_20rocsparse_direction_NS_24const_host_device_scalarIT1_EES3_PKS3_PKT2_SC_S9_PKT4_PKT5_S7_PT6_21rocsparse_index_base_b.numbered_sgpr, 14
	.set _ZN9rocsparseL18bsrxmvn_4x4_kernelILj128ELj64E21rocsparse_complex_numIfElifS2_S2_EEvT3_20rocsparse_direction_NS_24const_host_device_scalarIT1_EES3_PKS3_PKT2_SC_S9_PKT4_PKT5_S7_PT6_21rocsparse_index_base_b.num_named_barrier, 0
	.set _ZN9rocsparseL18bsrxmvn_4x4_kernelILj128ELj64E21rocsparse_complex_numIfElifS2_S2_EEvT3_20rocsparse_direction_NS_24const_host_device_scalarIT1_EES3_PKS3_PKT2_SC_S9_PKT4_PKT5_S7_PT6_21rocsparse_index_base_b.private_seg_size, 0
	.set _ZN9rocsparseL18bsrxmvn_4x4_kernelILj128ELj64E21rocsparse_complex_numIfElifS2_S2_EEvT3_20rocsparse_direction_NS_24const_host_device_scalarIT1_EES3_PKS3_PKT2_SC_S9_PKT4_PKT5_S7_PT6_21rocsparse_index_base_b.uses_vcc, 1
	.set _ZN9rocsparseL18bsrxmvn_4x4_kernelILj128ELj64E21rocsparse_complex_numIfElifS2_S2_EEvT3_20rocsparse_direction_NS_24const_host_device_scalarIT1_EES3_PKS3_PKT2_SC_S9_PKT4_PKT5_S7_PT6_21rocsparse_index_base_b.uses_flat_scratch, 0
	.set _ZN9rocsparseL18bsrxmvn_4x4_kernelILj128ELj64E21rocsparse_complex_numIfElifS2_S2_EEvT3_20rocsparse_direction_NS_24const_host_device_scalarIT1_EES3_PKS3_PKT2_SC_S9_PKT4_PKT5_S7_PT6_21rocsparse_index_base_b.has_dyn_sized_stack, 0
	.set _ZN9rocsparseL18bsrxmvn_4x4_kernelILj128ELj64E21rocsparse_complex_numIfElifS2_S2_EEvT3_20rocsparse_direction_NS_24const_host_device_scalarIT1_EES3_PKS3_PKT2_SC_S9_PKT4_PKT5_S7_PT6_21rocsparse_index_base_b.has_recursion, 0
	.set _ZN9rocsparseL18bsrxmvn_4x4_kernelILj128ELj64E21rocsparse_complex_numIfElifS2_S2_EEvT3_20rocsparse_direction_NS_24const_host_device_scalarIT1_EES3_PKS3_PKT2_SC_S9_PKT4_PKT5_S7_PT6_21rocsparse_index_base_b.has_indirect_call, 0
	.section	.AMDGPU.csdata,"",@progbits
; Kernel info:
; codeLenInByte = 8244
; TotalNumSgprs: 16
; NumVgprs: 125
; ScratchSize: 0
; MemoryBound: 0
; FloatMode: 240
; IeeeMode: 1
; LDSByteSize: 0 bytes/workgroup (compile time only)
; SGPRBlocks: 0
; VGPRBlocks: 15
; NumSGPRsForWavesPerEU: 16
; NumVGPRsForWavesPerEU: 125
; Occupancy: 10
; WaveLimiterHint : 1
; COMPUTE_PGM_RSRC2:SCRATCH_EN: 0
; COMPUTE_PGM_RSRC2:USER_SGPR: 2
; COMPUTE_PGM_RSRC2:TRAP_HANDLER: 0
; COMPUTE_PGM_RSRC2:TGID_X_EN: 1
; COMPUTE_PGM_RSRC2:TGID_Y_EN: 0
; COMPUTE_PGM_RSRC2:TGID_Z_EN: 0
; COMPUTE_PGM_RSRC2:TIDIG_COMP_CNT: 0
	.section	.text._ZN9rocsparseL18bsrxmvn_4x4_kernelILj128ELj4E21rocsparse_complex_numIfEllfS2_S2_EEvT3_20rocsparse_direction_NS_24const_host_device_scalarIT1_EES3_PKS3_PKT2_SC_S9_PKT4_PKT5_S7_PT6_21rocsparse_index_base_b,"axG",@progbits,_ZN9rocsparseL18bsrxmvn_4x4_kernelILj128ELj4E21rocsparse_complex_numIfEllfS2_S2_EEvT3_20rocsparse_direction_NS_24const_host_device_scalarIT1_EES3_PKS3_PKT2_SC_S9_PKT4_PKT5_S7_PT6_21rocsparse_index_base_b,comdat
	.globl	_ZN9rocsparseL18bsrxmvn_4x4_kernelILj128ELj4E21rocsparse_complex_numIfEllfS2_S2_EEvT3_20rocsparse_direction_NS_24const_host_device_scalarIT1_EES3_PKS3_PKT2_SC_S9_PKT4_PKT5_S7_PT6_21rocsparse_index_base_b ; -- Begin function _ZN9rocsparseL18bsrxmvn_4x4_kernelILj128ELj4E21rocsparse_complex_numIfEllfS2_S2_EEvT3_20rocsparse_direction_NS_24const_host_device_scalarIT1_EES3_PKS3_PKT2_SC_S9_PKT4_PKT5_S7_PT6_21rocsparse_index_base_b
	.p2align	8
	.type	_ZN9rocsparseL18bsrxmvn_4x4_kernelILj128ELj4E21rocsparse_complex_numIfEllfS2_S2_EEvT3_20rocsparse_direction_NS_24const_host_device_scalarIT1_EES3_PKS3_PKT2_SC_S9_PKT4_PKT5_S7_PT6_21rocsparse_index_base_b,@function
_ZN9rocsparseL18bsrxmvn_4x4_kernelILj128ELj4E21rocsparse_complex_numIfEllfS2_S2_EEvT3_20rocsparse_direction_NS_24const_host_device_scalarIT1_EES3_PKS3_PKT2_SC_S9_PKT4_PKT5_S7_PT6_21rocsparse_index_base_b: ; @_ZN9rocsparseL18bsrxmvn_4x4_kernelILj128ELj4E21rocsparse_complex_numIfEllfS2_S2_EEvT3_20rocsparse_direction_NS_24const_host_device_scalarIT1_EES3_PKS3_PKT2_SC_S9_PKT4_PKT5_S7_PT6_21rocsparse_index_base_b
; %bb.0:
	s_clause 0x2
	s_load_b64 s[8:9], s[0:1], 0x60
	s_load_b128 s[4:7], s[0:1], 0x10
	s_load_b64 s[2:3], s[0:1], 0x50
	s_add_nc_u64 s[10:11], s[0:1], 16
	s_wait_kmcnt 0x0
	s_bitcmp1_b32 s9, 0
	s_cselect_b32 s4, s10, s4
	s_cselect_b32 s5, s11, s5
	s_delay_alu instid0(SALU_CYCLE_1)
	v_dual_mov_b32 v1, s4 :: v_dual_mov_b32 v2, s5
	s_add_nc_u64 s[4:5], s[0:1], 0x50
	s_wait_alu 0xfffe
	s_cselect_b32 s2, s4, s2
	s_cselect_b32 s3, s5, s3
	flat_load_b64 v[18:19], v[1:2]
	v_dual_mov_b32 v1, s2 :: v_dual_mov_b32 v2, s3
	flat_load_b64 v[16:17], v[1:2]
	s_wait_loadcnt_dscnt 0x101
	v_cmp_eq_f32_e32 vcc_lo, 0, v18
	v_cmp_eq_f32_e64 s2, 0, v19
	s_and_b32 s4, vcc_lo, s2
	s_mov_b32 s2, -1
	s_wait_alu 0xfffe
	s_and_saveexec_b32 s3, s4
	s_cbranch_execz .LBB130_2
; %bb.1:
	s_wait_loadcnt_dscnt 0x0
	v_cmp_neq_f32_e32 vcc_lo, 1.0, v16
	v_cmp_neq_f32_e64 s2, 0, v17
	s_or_b32 s2, vcc_lo, s2
	s_wait_alu 0xfffe
	s_or_not1_b32 s2, s2, exec_lo
.LBB130_2:
	s_wait_alu 0xfffe
	s_or_b32 exec_lo, exec_lo, s3
	s_and_saveexec_b32 s3, s2
	s_cbranch_execz .LBB130_8
; %bb.3:
	s_load_b64 s[2:3], s[0:1], 0x20
	v_lshrrev_b32_e32 v1, 2, v0
	v_mov_b32_e32 v2, 0
	s_delay_alu instid0(VALU_DEP_2)
	v_lshl_or_b32 v1, ttmp9, 5, v1
	s_wait_kmcnt 0x0
	s_cmp_lg_u64 s[2:3], 0
	s_cbranch_scc0 .LBB130_9
; %bb.4:
	s_delay_alu instid0(VALU_DEP_1)
	v_cmp_gt_i64_e32 vcc_lo, s[6:7], v[1:2]
	s_mov_b32 s5, 0
	s_mov_b32 s4, 0
                                        ; implicit-def: $vgpr20_vgpr21
                                        ; implicit-def: $vgpr22_vgpr23
	s_and_saveexec_b32 s6, vcc_lo
	s_wait_alu 0xfffe
	s_xor_b32 s6, exec_lo, s6
	s_cbranch_execz .LBB130_6
; %bb.5:
	v_lshlrev_b64_e32 v[3:4], 3, v[1:2]
	s_mov_b32 s9, 0
	s_mov_b32 s4, exec_lo
	v_dual_mov_b32 v23, s9 :: v_dual_mov_b32 v22, s8
	s_delay_alu instid0(VALU_DEP_2) | instskip(NEXT) | instid1(VALU_DEP_1)
	v_add_co_u32 v3, vcc_lo, s2, v3
	v_add_co_ci_u32_e64 v4, null, s3, v4, vcc_lo
	global_load_b64 v[3:4], v[3:4], off
	s_wait_loadcnt 0x0
	v_sub_co_u32 v20, vcc_lo, v3, s8
	s_wait_alu 0xfffd
	v_subrev_co_ci_u32_e64 v21, null, 0, v4, vcc_lo
.LBB130_6:
	s_wait_alu 0xfffe
	s_or_b32 exec_lo, exec_lo, s6
	s_delay_alu instid0(SALU_CYCLE_1)
	s_and_b32 vcc_lo, exec_lo, s5
	s_wait_alu 0xfffe
	s_cbranch_vccnz .LBB130_10
.LBB130_7:
	s_wait_alu 0xfffe
	s_and_b32 exec_lo, exec_lo, s4
	s_cbranch_execnz .LBB130_13
.LBB130_8:
	s_nop 0
	s_sendmsg sendmsg(MSG_DEALLOC_VGPRS)
	s_endpgm
.LBB130_9:
	s_mov_b32 s4, 0
                                        ; implicit-def: $vgpr20_vgpr21
                                        ; implicit-def: $vgpr22_vgpr23
	s_cbranch_execz .LBB130_7
.LBB130_10:
	s_load_b64 s[2:3], s[0:1], 0x0
	s_wait_kmcnt 0x0
	v_cmp_gt_i64_e32 vcc_lo, s[2:3], v[1:2]
	s_and_saveexec_b32 s2, vcc_lo
; %bb.11:
	s_mov_b32 s9, 0
	s_or_b32 s4, s4, exec_lo
; %bb.12:
	s_wait_alu 0xfffe
	s_or_b32 exec_lo, exec_lo, s2
	v_dual_mov_b32 v23, s9 :: v_dual_mov_b32 v22, s8
	v_dual_mov_b32 v21, v2 :: v_dual_mov_b32 v20, v1
	s_and_b32 exec_lo, exec_lo, s4
	s_cbranch_execz .LBB130_8
.LBB130_13:
	s_load_b256 s[4:11], s[0:1], 0x28
	s_delay_alu instid0(VALU_DEP_1) | instskip(SKIP_3) | instid1(VALU_DEP_2)
	v_lshlrev_b64_e32 v[1:2], 3, v[20:21]
	v_dual_mov_b32 v41, 0 :: v_dual_and_b32 v40, 3, v0
	s_load_b32 s3, s[0:1], 0x8
	s_wait_kmcnt 0x0
	v_add_co_u32 v3, vcc_lo, s4, v1
	s_wait_alu 0xfffd
	v_add_co_ci_u32_e64 v4, null, s5, v2, vcc_lo
	v_add_co_u32 v1, vcc_lo, s6, v1
	s_wait_alu 0xfffd
	v_add_co_ci_u32_e64 v2, null, s7, v2, vcc_lo
	v_add_co_u32 v5, vcc_lo, v3, 8
	global_load_b64 v[32:33], v[3:4], off
	s_wait_alu 0xfffd
	v_add_co_ci_u32_e64 v6, null, 0, v4, vcc_lo
	s_cmp_eq_u64 s[6:7], 0
	s_load_b64 s[4:5], s[0:1], 0x48
	s_cselect_b32 vcc_lo, -1, 0
	s_cmp_eq_u32 s3, 1
	s_wait_alu 0xfffe
	v_dual_cndmask_b32 v2, v2, v6 :: v_dual_cndmask_b32 v1, v1, v5
	global_load_b64 v[1:2], v[1:2], off
	s_wait_loadcnt 0x1
	v_sub_co_u32 v0, vcc_lo, v32, v22
	s_wait_alu 0xfffd
	v_sub_co_ci_u32_e64 v3, null, v33, v23, vcc_lo
	s_delay_alu instid0(VALU_DEP_2) | instskip(SKIP_1) | instid1(VALU_DEP_2)
	v_add_co_u32 v24, vcc_lo, v0, v40
	s_wait_alu 0xfffd
	v_add_co_ci_u32_e64 v25, null, 0, v3, vcc_lo
	s_wait_loadcnt 0x0
	v_sub_co_u32 v26, vcc_lo, v1, v22
	s_delay_alu instid0(VALU_DEP_2) | instskip(SKIP_2) | instid1(VALU_DEP_2)
	v_lshlrev_b64_e32 v[0:1], 6, v[24:25]
	s_wait_alu 0xfffd
	v_sub_co_ci_u32_e64 v27, null, v2, v23, vcc_lo
	v_add_co_u32 v28, vcc_lo, s10, v0
	s_delay_alu instid0(VALU_DEP_2)
	v_cmp_lt_i64_e64 s2, v[24:25], v[26:27]
	s_wait_alu 0xfffd
	v_add_co_ci_u32_e64 v29, null, s11, v1, vcc_lo
	s_cbranch_scc1 .LBB130_25
; %bb.14:
	v_dual_mov_b32 v42, 0 :: v_dual_mov_b32 v43, 0
	v_dual_mov_b32 v44, 0 :: v_dual_mov_b32 v45, 0
	;; [unrolled: 1-line block ×3, first 2 shown]
	v_mov_b32_e32 v31, 0
	s_and_saveexec_b32 s6, s2
	s_cbranch_execz .LBB130_24
; %bb.15:
	v_or_b32_e32 v0, 4, v40
	v_not_b32_e32 v3, v32
	v_sub_co_u32 v4, s3, v22, v40
	v_not_b32_e32 v2, v33
	s_delay_alu instid0(VALU_DEP_4)
	v_sub_co_u32 v0, vcc_lo, v0, v22
	s_wait_alu 0xfffd
	v_sub_co_ci_u32_e64 v1, null, 0, v23, vcc_lo
	s_wait_alu 0xf1ff
	v_subrev_co_ci_u32_e64 v5, null, 0, v23, s3
	v_add_co_u32 v0, vcc_lo, v0, v32
	s_wait_alu 0xfffd
	v_add_co_ci_u32_e64 v1, null, v1, v33, vcc_lo
	v_mov_b32_e32 v35, v29
	v_dual_mov_b32 v37, v25 :: v_dual_mov_b32 v36, v24
	s_delay_alu instid0(VALU_DEP_3)
	v_cmp_gt_i64_e32 vcc_lo, v[0:1], v[26:27]
	v_mov_b32_e32 v31, 0
	s_mov_b32 s3, exec_lo
	s_wait_alu 0xfffd
	v_dual_mov_b32 v34, v28 :: v_dual_cndmask_b32 v1, v27, v1
	v_cndmask_b32_e32 v0, v26, v0, vcc_lo
	v_add_co_u32 v3, vcc_lo, v4, v3
	s_wait_alu 0xfffd
	v_add_co_ci_u32_e64 v2, null, v5, v2, vcc_lo
	v_dual_mov_b32 v46, v31 :: v_dual_mov_b32 v47, v31
	s_delay_alu instid0(VALU_DEP_3) | instskip(SKIP_2) | instid1(VALU_DEP_3)
	v_add_co_u32 v0, vcc_lo, v3, v0
	v_dual_mov_b32 v45, v31 :: v_dual_mov_b32 v44, v31
	v_dual_mov_b32 v43, v31 :: v_dual_mov_b32 v42, v31
	v_and_b32_e32 v30, 12, v0
	s_wait_alu 0xfffd
	v_add_co_ci_u32_e64 v1, null, v2, v1, vcc_lo
	v_mov_b32_e32 v41, v31
	s_delay_alu instid0(VALU_DEP_3)
	v_cmpx_ne_u64_e32 12, v[30:31]
	s_cbranch_execz .LBB130_19
; %bb.16:
	v_lshrrev_b32_e32 v2, 2, v0
	v_mov_b32_e32 v41, 0
	v_dual_mov_b32 v37, v25 :: v_dual_mov_b32 v36, v24
	v_dual_mov_b32 v35, v29 :: v_dual_mov_b32 v34, v28
	s_delay_alu instid0(VALU_DEP_4) | instskip(SKIP_2) | instid1(VALU_DEP_3)
	v_add_nc_u32_e32 v4, 1, v2
	v_lshlrev_b64_e32 v[2:3], 3, v[24:25]
	v_dual_mov_b32 v42, 0 :: v_dual_mov_b32 v43, 0
	v_dual_mov_b32 v45, 0 :: v_dual_and_b32 v4, 3, v4
	v_dual_mov_b32 v44, 0 :: v_dual_mov_b32 v47, 0
	s_delay_alu instid0(VALU_DEP_4) | instskip(NEXT) | instid1(VALU_DEP_3)
	v_add_co_u32 v2, vcc_lo, s8, v2
	v_sub_co_u32 v4, s7, 0, v4
	s_wait_alu 0xfffd
	v_add_co_ci_u32_e64 v3, null, s9, v3, vcc_lo
	s_wait_alu 0xf1ff
	v_sub_co_ci_u32_e64 v5, null, 0, 0, s7
	v_dual_mov_b32 v46, 0 :: v_dual_mov_b32 v31, 0
	s_mov_b32 s7, 0
.LBB130_17:                             ; =>This Inner Loop Header: Depth=1
	global_load_b64 v[14:15], v[2:3], off
	s_clause 0x3
	global_load_b128 v[6:9], v[34:35], off offset:48
	global_load_b128 v[10:13], v[34:35], off offset:32
	;; [unrolled: 1-line block ×3, first 2 shown]
	global_load_b128 v[52:55], v[34:35], off
	s_wait_loadcnt 0x4
	v_sub_co_u32 v14, vcc_lo, v14, v22
	s_wait_alu 0xfffd
	v_sub_co_ci_u32_e64 v15, null, v15, v23, vcc_lo
	s_delay_alu instid0(VALU_DEP_1) | instskip(SKIP_1) | instid1(VALU_DEP_1)
	v_lshlrev_b64_e32 v[14:15], 5, v[14:15]
	s_wait_kmcnt 0x0
	v_add_co_u32 v14, vcc_lo, s4, v14
	s_wait_alu 0xfffd
	s_delay_alu instid0(VALU_DEP_2)
	v_add_co_ci_u32_e64 v15, null, s5, v15, vcc_lo
	v_add_co_u32 v34, vcc_lo, 0x100, v34
	s_wait_alu 0xfffd
	v_add_co_ci_u32_e64 v35, null, 0, v35, vcc_lo
	s_clause 0x1
	global_load_b128 v[56:59], v[14:15], off
	global_load_b128 v[60:63], v[14:15], off offset:16
	v_add_co_u32 v36, vcc_lo, v36, 4
	s_wait_alu 0xfffd
	v_add_co_ci_u32_e64 v37, null, 0, v37, vcc_lo
	v_add_co_u32 v4, vcc_lo, v4, 1
	s_wait_alu 0xfffd
	v_add_co_ci_u32_e64 v5, null, 0, v5, vcc_lo
	;; [unrolled: 3-line block ×3, first 2 shown]
	s_delay_alu instid0(VALU_DEP_3) | instskip(SKIP_4) | instid1(VALU_DEP_1)
	v_cmp_eq_u64_e32 vcc_lo, 0, v[4:5]
	s_wait_alu 0xfffe
	s_or_b32 s7, vcc_lo, s7
	s_wait_loadcnt 0x1
	v_fmac_f32_e32 v47, v10, v56
	v_dual_fmac_f32 v42, v52, v56 :: v_dual_fmac_f32 v47, 0x80000000, v57
	s_delay_alu instid0(VALU_DEP_1) | instskip(NEXT) | instid1(VALU_DEP_1)
	v_dual_fmac_f32 v41, 0, v56 :: v_dual_fmac_f32 v42, 0x80000000, v57
	v_dual_fmac_f32 v46, 0, v56 :: v_dual_fmac_f32 v41, v52, v57
	s_delay_alu instid0(VALU_DEP_1) | instskip(SKIP_1) | instid1(VALU_DEP_2)
	v_dual_fmac_f32 v45, 0, v56 :: v_dual_fmac_f32 v46, v6, v57
	v_fmac_f32_e32 v44, v48, v56
	v_dual_fmac_f32 v42, v53, v58 :: v_dual_fmac_f32 v45, v10, v57
	s_delay_alu instid0(VALU_DEP_2) | instskip(NEXT) | instid1(VALU_DEP_4)
	v_dual_fmac_f32 v43, 0, v56 :: v_dual_fmac_f32 v44, 0x80000000, v57
	v_dual_fmac_f32 v31, v6, v56 :: v_dual_fmac_f32 v46, 0, v58
	s_delay_alu instid0(VALU_DEP_2) | instskip(NEXT) | instid1(VALU_DEP_2)
	v_dual_fmac_f32 v42, 0x80000000, v59 :: v_dual_fmac_f32 v43, v48, v57
	v_dual_fmac_f32 v44, v49, v58 :: v_dual_fmac_f32 v31, 0x80000000, v57
	s_delay_alu instid0(VALU_DEP_3) | instskip(NEXT) | instid1(VALU_DEP_2)
	v_dual_fmac_f32 v41, 0, v58 :: v_dual_fmac_f32 v46, v7, v59
	v_dual_fmac_f32 v43, 0, v58 :: v_dual_fmac_f32 v44, 0x80000000, v59
	s_wait_loadcnt 0x0
	v_dual_fmac_f32 v47, v11, v58 :: v_dual_fmac_f32 v42, v54, v60
	v_fmac_f32_e32 v45, 0, v58
	v_dual_fmac_f32 v31, v7, v58 :: v_dual_fmac_f32 v46, 0, v60
	v_dual_fmac_f32 v44, v50, v60 :: v_dual_fmac_f32 v41, v53, v59
	s_delay_alu instid0(VALU_DEP_4) | instskip(NEXT) | instid1(VALU_DEP_3)
	v_dual_fmac_f32 v42, 0x80000000, v61 :: v_dual_fmac_f32 v43, v49, v59
	v_dual_fmac_f32 v47, 0x80000000, v59 :: v_dual_fmac_f32 v46, v8, v61
	v_fmac_f32_e32 v45, v11, v59
	s_delay_alu instid0(VALU_DEP_3) | instskip(SKIP_2) | instid1(VALU_DEP_3)
	v_dual_fmac_f32 v31, 0x80000000, v59 :: v_dual_fmac_f32 v42, v55, v62
	v_dual_fmac_f32 v44, 0x80000000, v61 :: v_dual_fmac_f32 v41, 0, v60
	v_fmac_f32_e32 v43, 0, v60
	v_dual_fmac_f32 v31, v8, v60 :: v_dual_fmac_f32 v46, 0, v62
	s_delay_alu instid0(VALU_DEP_3) | instskip(SKIP_2) | instid1(VALU_DEP_4)
	v_dual_fmac_f32 v45, 0, v60 :: v_dual_fmac_f32 v44, v51, v62
	v_fmac_f32_e32 v47, v12, v60
	v_fmac_f32_e32 v41, v54, v61
	v_dual_fmac_f32 v31, 0x80000000, v61 :: v_dual_fmac_f32 v42, 0x80000000, v63
	s_delay_alu instid0(VALU_DEP_4) | instskip(NEXT) | instid1(VALU_DEP_4)
	v_dual_fmac_f32 v43, v50, v61 :: v_dual_fmac_f32 v44, 0x80000000, v63
	v_dual_fmac_f32 v47, 0x80000000, v61 :: v_dual_fmac_f32 v46, v9, v63
	v_fmac_f32_e32 v45, v12, v61
	v_fmac_f32_e32 v41, 0, v62
	s_delay_alu instid0(VALU_DEP_4) | instskip(NEXT) | instid1(VALU_DEP_4)
	v_fmac_f32_e32 v43, 0, v62
	v_fmac_f32_e32 v47, v13, v62
	;; [unrolled: 1-line block ×9, first 2 shown]
	s_wait_alu 0xfffe
	s_and_not1_b32 exec_lo, exec_lo, s7
	s_cbranch_execnz .LBB130_17
; %bb.18:
	s_or_b32 exec_lo, exec_lo, s7
.LBB130_19:
	s_wait_alu 0xfffe
	s_or_b32 exec_lo, exec_lo, s3
	s_delay_alu instid0(SALU_CYCLE_1)
	s_mov_b32 s3, exec_lo
	v_cmpx_lt_u64_e32 11, v[0:1]
	s_cbranch_execz .LBB130_23
; %bb.20:
	v_lshlrev_b64_e32 v[0:1], 3, v[36:37]
	s_mov_b32 s7, 0
	s_delay_alu instid0(VALU_DEP_1) | instskip(SKIP_1) | instid1(VALU_DEP_2)
	v_add_co_u32 v0, vcc_lo, s8, v0
	s_wait_alu 0xfffd
	v_add_co_ci_u32_e64 v1, null, s9, v1, vcc_lo
	s_delay_alu instid0(VALU_DEP_2) | instskip(SKIP_1) | instid1(VALU_DEP_2)
	v_add_co_u32 v38, vcc_lo, v0, 64
	s_wait_alu 0xfffd
	v_add_co_ci_u32_e64 v39, null, 0, v1, vcc_lo
.LBB130_21:                             ; =>This Inner Loop Header: Depth=1
	s_clause 0x3
	global_load_b64 v[96:97], v[38:39], off offset:-64
	global_load_b64 v[98:99], v[38:39], off offset:-32
	global_load_b64 v[100:101], v[38:39], off
	global_load_b64 v[102:103], v[38:39], off offset:32
	s_clause 0xf
	global_load_b128 v[48:51], v[34:35], off offset:48
	global_load_b128 v[52:55], v[34:35], off offset:32
	;; [unrolled: 1-line block ×3, first 2 shown]
	global_load_b128 v[60:63], v[34:35], off
	global_load_b128 v[64:67], v[34:35], off offset:304
	global_load_b128 v[68:71], v[34:35], off offset:288
	;; [unrolled: 1-line block ×12, first 2 shown]
	s_wait_loadcnt 0x13
	v_sub_co_u32 v96, vcc_lo, v96, v22
	s_wait_alu 0xfffd
	v_sub_co_ci_u32_e64 v97, null, v97, v23, vcc_lo
	s_wait_loadcnt 0x12
	v_sub_co_u32 v98, vcc_lo, v98, v22
	s_wait_alu 0xfffd
	v_sub_co_ci_u32_e64 v99, null, v99, v23, vcc_lo
	;; [unrolled: 4-line block ×3, first 2 shown]
	s_wait_loadcnt 0x10
	v_sub_co_u32 v102, vcc_lo, v102, v22
	v_lshlrev_b64_e32 v[96:97], 5, v[96:97]
	s_wait_alu 0xfffd
	v_sub_co_ci_u32_e64 v103, null, v103, v23, vcc_lo
	v_lshlrev_b64_e32 v[98:99], 5, v[98:99]
	v_lshlrev_b64_e32 v[100:101], 5, v[100:101]
	s_delay_alu instid0(VALU_DEP_3)
	v_lshlrev_b64_e32 v[102:103], 5, v[102:103]
	s_wait_kmcnt 0x0
	v_add_co_u32 v104, vcc_lo, s4, v96
	s_wait_alu 0xfffd
	v_add_co_ci_u32_e64 v105, null, s5, v97, vcc_lo
	v_add_co_u32 v108, vcc_lo, s4, v98
	s_wait_alu 0xfffd
	v_add_co_ci_u32_e64 v109, null, s5, v99, vcc_lo
	;; [unrolled: 3-line block ×4, first 2 shown]
	s_clause 0x7
	global_load_b128 v[96:99], v[104:105], off
	global_load_b128 v[100:103], v[104:105], off offset:16
	global_load_b128 v[104:107], v[108:109], off
	global_load_b128 v[108:111], v[108:109], off offset:16
	;; [unrolled: 2-line block ×4, first 2 shown]
	v_add_co_u32 v36, vcc_lo, v36, 16
	s_wait_alu 0xfffd
	v_add_co_ci_u32_e64 v37, null, 0, v37, vcc_lo
	v_add_co_u32 v34, vcc_lo, 0x400, v34
	s_wait_alu 0xfffd
	v_add_co_ci_u32_e64 v35, null, 0, v35, vcc_lo
	;; [unrolled: 3-line block ×3, first 2 shown]
	v_cmp_ge_i64_e32 vcc_lo, v[36:37], v[26:27]
	s_wait_alu 0xfffe
	s_or_b32 s7, vcc_lo, s7
	s_wait_loadcnt 0x7
	v_fmac_f32_e32 v47, v52, v96
	v_fmac_f32_e32 v42, v60, v96
	;; [unrolled: 1-line block ×3, first 2 shown]
	s_delay_alu instid0(VALU_DEP_3) | instskip(NEXT) | instid1(VALU_DEP_3)
	v_dual_fmac_f32 v44, v56, v96 :: v_dual_fmac_f32 v47, 0x80000000, v97
	v_dual_fmac_f32 v41, 0, v96 :: v_dual_fmac_f32 v42, 0x80000000, v97
	s_delay_alu instid0(VALU_DEP_3) | instskip(NEXT) | instid1(VALU_DEP_3)
	v_dual_fmac_f32 v46, 0, v96 :: v_dual_fmac_f32 v31, 0x80000000, v97
	v_dual_fmac_f32 v43, 0, v96 :: v_dual_fmac_f32 v44, 0x80000000, v97
	s_delay_alu instid0(VALU_DEP_3) | instskip(NEXT) | instid1(VALU_DEP_3)
	v_fmac_f32_e32 v41, v60, v97
	v_dual_fmac_f32 v45, 0, v96 :: v_dual_fmac_f32 v46, v48, v97
	s_delay_alu instid0(VALU_DEP_3) | instskip(NEXT) | instid1(VALU_DEP_2)
	v_dual_fmac_f32 v42, v61, v98 :: v_dual_fmac_f32 v43, v56, v97
	v_dual_fmac_f32 v44, v57, v98 :: v_dual_fmac_f32 v45, v52, v97
	s_delay_alu instid0(VALU_DEP_3) | instskip(NEXT) | instid1(VALU_DEP_3)
	v_fmac_f32_e32 v46, 0, v98
	v_dual_fmac_f32 v42, 0x80000000, v99 :: v_dual_fmac_f32 v41, 0, v98
	s_delay_alu instid0(VALU_DEP_3) | instskip(NEXT) | instid1(VALU_DEP_3)
	v_dual_fmac_f32 v44, 0x80000000, v99 :: v_dual_fmac_f32 v43, 0, v98
	v_fmac_f32_e32 v46, v49, v99
	s_wait_loadcnt 0x6
	s_delay_alu instid0(VALU_DEP_3) | instskip(NEXT) | instid1(VALU_DEP_3)
	v_dual_fmac_f32 v47, v53, v98 :: v_dual_fmac_f32 v42, v62, v100
	v_dual_fmac_f32 v45, 0, v98 :: v_dual_fmac_f32 v44, v58, v100
	s_delay_alu instid0(VALU_DEP_3) | instskip(NEXT) | instid1(VALU_DEP_3)
	v_dual_fmac_f32 v31, v49, v98 :: v_dual_fmac_f32 v46, 0, v100
	v_dual_fmac_f32 v41, v61, v99 :: v_dual_fmac_f32 v42, 0x80000000, v101
	;; [unrolled: 3-line block ×6, first 2 shown]
	s_wait_loadcnt 0x5
	s_delay_alu instid0(VALU_DEP_3) | instskip(SKIP_3) | instid1(VALU_DEP_4)
	v_dual_fmac_f32 v41, v62, v101 :: v_dual_fmac_f32 v42, v76, v104
	v_fmac_f32_e32 v31, v50, v100
	v_dual_fmac_f32 v43, v58, v101 :: v_dual_fmac_f32 v44, v72, v104
	v_dual_fmac_f32 v47, 0x80000000, v101 :: v_dual_fmac_f32 v46, 0, v104
	v_fmac_f32_e32 v42, 0x80000000, v105
	v_fmac_f32_e32 v45, v54, v101
	s_delay_alu instid0(VALU_DEP_4) | instskip(NEXT) | instid1(VALU_DEP_4)
	v_dual_fmac_f32 v41, 0, v102 :: v_dual_fmac_f32 v44, 0x80000000, v105
	v_dual_fmac_f32 v43, 0, v102 :: v_dual_fmac_f32 v46, v64, v105
	s_delay_alu instid0(VALU_DEP_4) | instskip(NEXT) | instid1(VALU_DEP_3)
	v_dual_fmac_f32 v42, v77, v106 :: v_dual_fmac_f32 v31, 0x80000000, v101
	v_fmac_f32_e32 v44, v73, v106
	v_fmac_f32_e32 v47, v55, v102
	s_delay_alu instid0(VALU_DEP_4) | instskip(NEXT) | instid1(VALU_DEP_4)
	v_dual_fmac_f32 v41, v63, v103 :: v_dual_fmac_f32 v46, 0, v106
	v_dual_fmac_f32 v42, 0x80000000, v107 :: v_dual_fmac_f32 v45, 0, v102
	s_delay_alu instid0(VALU_DEP_4) | instskip(NEXT) | instid1(VALU_DEP_3)
	v_dual_fmac_f32 v44, 0x80000000, v107 :: v_dual_fmac_f32 v31, v51, v102
	v_fmac_f32_e32 v46, v65, v107
	s_wait_loadcnt 0x4
	s_delay_alu instid0(VALU_DEP_3) | instskip(NEXT) | instid1(VALU_DEP_3)
	v_dual_fmac_f32 v43, v59, v103 :: v_dual_fmac_f32 v42, v78, v108
	v_dual_fmac_f32 v47, 0x80000000, v103 :: v_dual_fmac_f32 v44, v74, v108
	s_delay_alu instid0(VALU_DEP_3) | instskip(NEXT) | instid1(VALU_DEP_3)
	v_dual_fmac_f32 v45, v55, v103 :: v_dual_fmac_f32 v46, 0, v108
	v_dual_fmac_f32 v31, 0x80000000, v103 :: v_dual_fmac_f32 v42, 0x80000000, v109
	;; [unrolled: 3-line block ×6, first 2 shown]
	s_wait_loadcnt 0x3
	s_delay_alu instid0(VALU_DEP_3) | instskip(SKIP_2) | instid1(VALU_DEP_3)
	v_dual_fmac_f32 v31, 0x80000000, v105 :: v_dual_fmac_f32 v42, v92, v112
	v_fmac_f32_e32 v45, v68, v105
	v_dual_fmac_f32 v41, 0, v106 :: v_dual_fmac_f32 v44, v88, v112
	v_dual_fmac_f32 v43, 0, v106 :: v_dual_fmac_f32 v42, 0x80000000, v113
	;; [unrolled: 1-line block ×3, first 2 shown]
	s_delay_alu instid0(VALU_DEP_3) | instskip(NEXT) | instid1(VALU_DEP_2)
	v_dual_fmac_f32 v45, 0, v106 :: v_dual_fmac_f32 v44, 0x80000000, v113
	v_dual_fmac_f32 v42, v93, v114 :: v_dual_fmac_f32 v47, 0x80000000, v107
	s_delay_alu instid0(VALU_DEP_3) | instskip(SKIP_1) | instid1(VALU_DEP_4)
	v_dual_fmac_f32 v31, v65, v106 :: v_dual_fmac_f32 v46, v80, v113
	v_fmac_f32_e32 v41, v77, v107
	v_fmac_f32_e32 v44, v89, v114
	s_delay_alu instid0(VALU_DEP_4) | instskip(SKIP_2) | instid1(VALU_DEP_4)
	v_fmac_f32_e32 v42, 0x80000000, v115
	v_fmac_f32_e32 v43, v73, v107
	v_dual_fmac_f32 v31, 0x80000000, v107 :: v_dual_fmac_f32 v46, 0, v114
	v_dual_fmac_f32 v41, 0, v108 :: v_dual_fmac_f32 v44, 0x80000000, v115
	s_wait_loadcnt 0x2
	v_fmac_f32_e32 v42, v94, v116
	s_delay_alu instid0(VALU_DEP_3) | instskip(NEXT) | instid1(VALU_DEP_3)
	v_dual_fmac_f32 v43, 0, v108 :: v_dual_fmac_f32 v46, v81, v115
	v_dual_fmac_f32 v45, v69, v107 :: v_dual_fmac_f32 v44, v90, v116
	v_fmac_f32_e32 v41, v78, v109
	s_delay_alu instid0(VALU_DEP_4) | instskip(NEXT) | instid1(VALU_DEP_4)
	v_dual_fmac_f32 v47, v70, v108 :: v_dual_fmac_f32 v42, 0x80000000, v117
	v_fmac_f32_e32 v46, 0, v116
	s_delay_alu instid0(VALU_DEP_4) | instskip(NEXT) | instid1(VALU_DEP_4)
	;; [unrolled: 3-line block ×3, first 2 shown]
	v_dual_fmac_f32 v31, v66, v108 :: v_dual_fmac_f32 v42, v95, v118
	v_fmac_f32_e32 v46, v82, v117
	s_delay_alu instid0(VALU_DEP_4) | instskip(SKIP_1) | instid1(VALU_DEP_4)
	v_dual_fmac_f32 v43, v74, v109 :: v_dual_fmac_f32 v44, v91, v118
	v_fmac_f32_e32 v47, 0x80000000, v109
	v_dual_fmac_f32 v45, v70, v109 :: v_dual_fmac_f32 v42, 0x80000000, v119
	s_delay_alu instid0(VALU_DEP_4) | instskip(NEXT) | instid1(VALU_DEP_4)
	v_dual_fmac_f32 v46, 0, v118 :: v_dual_fmac_f32 v31, 0x80000000, v109
	v_dual_fmac_f32 v44, 0x80000000, v119 :: v_dual_fmac_f32 v43, 0, v110
	s_wait_loadcnt 0x1
	s_delay_alu instid0(VALU_DEP_3) | instskip(NEXT) | instid1(VALU_DEP_3)
	v_dual_fmac_f32 v47, v71, v110 :: v_dual_fmac_f32 v42, v12, v120
	v_dual_fmac_f32 v46, v83, v119 :: v_dual_fmac_f32 v45, 0, v110
	s_delay_alu instid0(VALU_DEP_3) | instskip(NEXT) | instid1(VALU_DEP_3)
	v_dual_fmac_f32 v44, v8, v120 :: v_dual_fmac_f32 v31, v67, v110
	v_dual_fmac_f32 v41, v79, v111 :: v_dual_fmac_f32 v42, 0x80000000, v121
	;; [unrolled: 3-line block ×6, first 2 shown]
	s_wait_loadcnt 0x0
	s_delay_alu instid0(VALU_DEP_3) | instskip(NEXT) | instid1(VALU_DEP_3)
	v_dual_fmac_f32 v41, v92, v113 :: v_dual_fmac_f32 v42, v14, v124
	v_dual_fmac_f32 v46, v1, v123 :: v_dual_fmac_f32 v31, v80, v112
	s_delay_alu instid0(VALU_DEP_3) | instskip(NEXT) | instid1(VALU_DEP_2)
	v_dual_fmac_f32 v43, v88, v113 :: v_dual_fmac_f32 v44, v10, v124
	v_dual_fmac_f32 v47, 0x80000000, v113 :: v_dual_fmac_f32 v46, 0, v124
	s_delay_alu instid0(VALU_DEP_4) | instskip(NEXT) | instid1(VALU_DEP_3)
	v_fmac_f32_e32 v41, 0, v114
	v_dual_fmac_f32 v43, 0, v114 :: v_dual_fmac_f32 v42, 0x80000000, v125
	v_fmac_f32_e32 v45, v84, v113
	v_fmac_f32_e32 v44, 0x80000000, v125
	;; [unrolled: 1-line block ×3, first 2 shown]
	v_dual_fmac_f32 v46, v2, v125 :: v_dual_fmac_f32 v41, v93, v115
	v_fmac_f32_e32 v42, v15, v126
	v_fmac_f32_e32 v47, v85, v114
	;; [unrolled: 1-line block ×73, first 2 shown]
	s_wait_alu 0xfffe
	s_and_not1_b32 exec_lo, exec_lo, s7
	s_cbranch_execnz .LBB130_21
; %bb.22:
	s_or_b32 exec_lo, exec_lo, s7
.LBB130_23:
	s_wait_alu 0xfffe
	s_or_b32 exec_lo, exec_lo, s3
.LBB130_24:
	s_wait_alu 0xfffe
	s_or_b32 exec_lo, exec_lo, s6
	s_cbranch_execz .LBB130_26
	s_branch .LBB130_37
.LBB130_25:
                                        ; implicit-def: $vgpr41
                                        ; implicit-def: $vgpr42
                                        ; implicit-def: $vgpr43
                                        ; implicit-def: $vgpr44
                                        ; implicit-def: $vgpr45
                                        ; implicit-def: $vgpr47
                                        ; implicit-def: $vgpr46
                                        ; implicit-def: $vgpr31
.LBB130_26:
	v_dual_mov_b32 v41, 0 :: v_dual_mov_b32 v42, 0
	v_dual_mov_b32 v43, 0 :: v_dual_mov_b32 v44, 0
	;; [unrolled: 1-line block ×3, first 2 shown]
	v_mov_b32_e32 v47, 0
	v_mov_b32_e32 v31, 0
	s_and_saveexec_b32 s3, s2
	s_cbranch_execz .LBB130_36
; %bb.27:
	v_or_b32_e32 v0, 4, v40
	v_not_b32_e32 v3, v32
	v_not_b32_e32 v2, v33
	s_delay_alu instid0(VALU_DEP_3) | instskip(SKIP_2) | instid1(VALU_DEP_2)
	v_sub_co_u32 v0, vcc_lo, v0, v22
	s_wait_alu 0xfffd
	v_sub_co_ci_u32_e64 v1, null, 0, v23, vcc_lo
	v_add_co_u32 v0, vcc_lo, v0, v32
	s_wait_alu 0xfffd
	s_delay_alu instid0(VALU_DEP_2) | instskip(SKIP_3) | instid1(VALU_DEP_3)
	v_add_co_ci_u32_e64 v1, null, v1, v33, vcc_lo
	v_sub_co_u32 v4, vcc_lo, v22, v40
	s_wait_alu 0xfffd
	v_subrev_co_ci_u32_e64 v5, null, 0, v23, vcc_lo
	v_cmp_gt_i64_e64 s2, v[0:1], v[26:27]
	s_delay_alu instid0(VALU_DEP_3) | instskip(SKIP_1) | instid1(VALU_DEP_3)
	v_add_co_u32 v3, vcc_lo, v4, v3
	s_wait_alu 0xfffd
	v_add_co_ci_u32_e64 v2, null, v5, v2, vcc_lo
	s_wait_alu 0xf1ff
	s_delay_alu instid0(VALU_DEP_3) | instskip(SKIP_2) | instid1(VALU_DEP_2)
	v_cndmask_b32_e64 v0, v26, v0, s2
	v_cndmask_b32_e64 v1, v27, v1, s2
	s_mov_b32 s2, exec_lo
	v_add_co_u32 v0, vcc_lo, v3, v0
	v_mov_b32_e32 v31, 0
	s_wait_alu 0xfffd
	v_add_co_ci_u32_e64 v1, null, v2, v1, vcc_lo
	s_delay_alu instid0(VALU_DEP_3) | instskip(NEXT) | instid1(VALU_DEP_3)
	v_and_b32_e32 v30, 12, v0
	v_dual_mov_b32 v46, v31 :: v_dual_mov_b32 v47, v31
	v_dual_mov_b32 v45, v31 :: v_dual_mov_b32 v44, v31
	;; [unrolled: 1-line block ×3, first 2 shown]
	v_mov_b32_e32 v41, v31
	v_cmpx_ne_u64_e32 12, v[30:31]
	s_cbranch_execz .LBB130_31
; %bb.28:
	v_lshrrev_b32_e32 v2, 2, v0
	v_dual_mov_b32 v41, 0 :: v_dual_mov_b32 v42, 0
	v_dual_mov_b32 v43, 0 :: v_dual_mov_b32 v44, 0
	s_delay_alu instid0(VALU_DEP_3) | instskip(SKIP_2) | instid1(VALU_DEP_3)
	v_dual_mov_b32 v45, 0 :: v_dual_add_nc_u32 v4, 1, v2
	v_lshlrev_b64_e32 v[2:3], 3, v[24:25]
	v_dual_mov_b32 v46, 0 :: v_dual_mov_b32 v31, 0
	v_dual_mov_b32 v47, 0 :: v_dual_and_b32 v4, 3, v4
	s_delay_alu instid0(VALU_DEP_3) | instskip(SKIP_1) | instid1(VALU_DEP_4)
	v_add_co_u32 v2, vcc_lo, s8, v2
	s_wait_alu 0xfffd
	v_add_co_ci_u32_e64 v3, null, s9, v3, vcc_lo
	s_delay_alu instid0(VALU_DEP_3)
	v_sub_co_u32 v4, s6, 0, v4
	s_wait_alu 0xf1ff
	v_sub_co_ci_u32_e64 v5, null, 0, 0, s6
	s_mov_b32 s6, 0
.LBB130_29:                             ; =>This Inner Loop Header: Depth=1
	global_load_b64 v[14:15], v[2:3], off
	s_clause 0x1
	global_load_b128 v[6:9], v[28:29], off offset:16
	global_load_b128 v[10:13], v[28:29], off
	s_wait_loadcnt 0x2
	v_sub_co_u32 v14, vcc_lo, v14, v22
	s_wait_alu 0xfffd
	v_sub_co_ci_u32_e64 v15, null, v15, v23, vcc_lo
	s_delay_alu instid0(VALU_DEP_1) | instskip(SKIP_1) | instid1(VALU_DEP_1)
	v_lshlrev_b64_e32 v[14:15], 5, v[14:15]
	s_wait_kmcnt 0x0
	v_add_co_u32 v14, vcc_lo, s4, v14
	s_wait_alu 0xfffd
	s_delay_alu instid0(VALU_DEP_2)
	v_add_co_ci_u32_e64 v15, null, s5, v15, vcc_lo
	s_clause 0x1
	global_load_b128 v[32:35], v[14:15], off
	global_load_b128 v[36:39], v[14:15], off offset:16
	s_clause 0x1
	global_load_b128 v[48:51], v[28:29], off offset:32
	global_load_b128 v[52:55], v[28:29], off offset:48
	v_add_co_u32 v28, vcc_lo, 0x100, v28
	s_wait_alu 0xfffd
	v_add_co_ci_u32_e64 v29, null, 0, v29, vcc_lo
	v_add_co_u32 v24, vcc_lo, v24, 4
	s_wait_alu 0xfffd
	v_add_co_ci_u32_e64 v25, null, 0, v25, vcc_lo
	;; [unrolled: 3-line block ×4, first 2 shown]
	s_delay_alu instid0(VALU_DEP_3)
	v_cmp_eq_u64_e32 vcc_lo, 0, v[4:5]
	s_wait_alu 0xfffe
	s_or_b32 s6, vcc_lo, s6
	s_wait_loadcnt 0x3
	v_fmac_f32_e32 v43, 0, v32
	v_fmac_f32_e32 v42, v10, v32
	;; [unrolled: 1-line block ×4, first 2 shown]
	s_delay_alu instid0(VALU_DEP_4) | instskip(NEXT) | instid1(VALU_DEP_4)
	v_fmac_f32_e32 v43, v11, v33
	v_dual_fmac_f32 v41, 0, v32 :: v_dual_fmac_f32 v42, 0x80000000, v33
	v_fmac_f32_e32 v44, v11, v32
	v_dual_fmac_f32 v45, 0, v32 :: v_dual_fmac_f32 v46, v13, v33
	s_delay_alu instid0(VALU_DEP_3) | instskip(NEXT) | instid1(VALU_DEP_4)
	v_fmac_f32_e32 v41, v10, v33
	v_fmac_f32_e32 v42, v6, v34
	s_delay_alu instid0(VALU_DEP_4) | instskip(NEXT) | instid1(VALU_DEP_4)
	v_dual_fmac_f32 v44, 0x80000000, v33 :: v_dual_fmac_f32 v31, v13, v32
	v_dual_fmac_f32 v45, v12, v33 :: v_dual_fmac_f32 v46, 0, v34
	s_delay_alu instid0(VALU_DEP_2) | instskip(NEXT) | instid1(VALU_DEP_3)
	v_dual_fmac_f32 v47, 0x80000000, v33 :: v_dual_fmac_f32 v44, v7, v34
	v_dual_fmac_f32 v31, 0x80000000, v33 :: v_dual_fmac_f32 v42, 0x80000000, v35
	v_fmac_f32_e32 v41, 0, v34
	s_delay_alu instid0(VALU_DEP_4) | instskip(NEXT) | instid1(VALU_DEP_4)
	v_dual_fmac_f32 v43, 0, v34 :: v_dual_fmac_f32 v46, v9, v35
	v_dual_fmac_f32 v44, 0x80000000, v35 :: v_dual_fmac_f32 v47, v8, v34
	s_wait_loadcnt 0x1
	v_dual_fmac_f32 v45, 0, v34 :: v_dual_fmac_f32 v42, v48, v36
	s_delay_alu instid0(VALU_DEP_3) | instskip(NEXT) | instid1(VALU_DEP_3)
	v_dual_fmac_f32 v31, v9, v34 :: v_dual_fmac_f32 v46, 0, v36
	v_dual_fmac_f32 v44, v49, v36 :: v_dual_fmac_f32 v41, v6, v35
	s_delay_alu instid0(VALU_DEP_3) | instskip(NEXT) | instid1(VALU_DEP_3)
	v_dual_fmac_f32 v42, 0x80000000, v37 :: v_dual_fmac_f32 v43, v7, v35
	v_dual_fmac_f32 v47, 0x80000000, v35 :: v_dual_fmac_f32 v46, v51, v37
	s_wait_loadcnt 0x0
	s_delay_alu instid0(VALU_DEP_2) | instskip(SKIP_1) | instid1(VALU_DEP_3)
	v_dual_fmac_f32 v31, 0x80000000, v35 :: v_dual_fmac_f32 v42, v52, v38
	v_dual_fmac_f32 v44, 0x80000000, v37 :: v_dual_fmac_f32 v45, v8, v35
	;; [unrolled: 1-line block ×3, first 2 shown]
	s_delay_alu instid0(VALU_DEP_3) | instskip(NEXT) | instid1(VALU_DEP_3)
	v_dual_fmac_f32 v43, 0, v36 :: v_dual_fmac_f32 v42, 0x80000000, v39
	v_dual_fmac_f32 v31, v51, v36 :: v_dual_fmac_f32 v44, v53, v38
	v_fmac_f32_e32 v47, v50, v36
	s_delay_alu instid0(VALU_DEP_4) | instskip(SKIP_3) | instid1(VALU_DEP_4)
	v_dual_fmac_f32 v45, 0, v36 :: v_dual_fmac_f32 v46, v55, v39
	v_fmac_f32_e32 v41, v48, v37
	v_fmac_f32_e32 v43, v49, v37
	;; [unrolled: 1-line block ×3, first 2 shown]
	v_dual_fmac_f32 v45, v50, v37 :: v_dual_fmac_f32 v44, 0x80000000, v39
	v_fmac_f32_e32 v47, 0x80000000, v37
	v_fmac_f32_e32 v41, 0, v38
	;; [unrolled: 1-line block ×3, first 2 shown]
	s_delay_alu instid0(VALU_DEP_4)
	v_fmac_f32_e32 v45, 0, v38
	v_fmac_f32_e32 v31, v55, v38
	;; [unrolled: 1-line block ×8, first 2 shown]
	s_wait_alu 0xfffe
	s_and_not1_b32 exec_lo, exec_lo, s6
	s_cbranch_execnz .LBB130_29
; %bb.30:
	s_or_b32 exec_lo, exec_lo, s6
.LBB130_31:
	s_wait_alu 0xfffe
	s_or_b32 exec_lo, exec_lo, s2
	s_delay_alu instid0(SALU_CYCLE_1)
	s_mov_b32 s2, exec_lo
	v_cmpx_lt_u64_e32 11, v[0:1]
	s_cbranch_execz .LBB130_35
; %bb.32:
	v_lshlrev_b64_e32 v[0:1], 3, v[24:25]
	s_mov_b32 s6, 0
	s_delay_alu instid0(VALU_DEP_1) | instskip(SKIP_1) | instid1(VALU_DEP_2)
	v_add_co_u32 v0, vcc_lo, s8, v0
	s_wait_alu 0xfffd
	v_add_co_ci_u32_e64 v1, null, s9, v1, vcc_lo
	s_delay_alu instid0(VALU_DEP_2) | instskip(SKIP_1) | instid1(VALU_DEP_2)
	v_add_co_u32 v0, vcc_lo, v0, 64
	s_wait_alu 0xfffd
	v_add_co_ci_u32_e64 v1, null, 0, v1, vcc_lo
.LBB130_33:                             ; =>This Inner Loop Header: Depth=1
	s_clause 0x3
	global_load_b64 v[14:15], v[0:1], off offset:-64
	global_load_b64 v[84:85], v[0:1], off offset:-32
	global_load_b64 v[86:87], v[0:1], off
	global_load_b64 v[88:89], v[0:1], off offset:32
	s_clause 0xd
	global_load_b128 v[2:5], v[28:29], off offset:48
	global_load_b128 v[6:9], v[28:29], off offset:32
	;; [unrolled: 1-line block ×3, first 2 shown]
	global_load_b128 v[32:35], v[28:29], off
	global_load_b128 v[36:39], v[28:29], off offset:304
	global_load_b128 v[48:51], v[28:29], off offset:288
	;; [unrolled: 1-line block ×10, first 2 shown]
	s_wait_loadcnt 0x11
	v_sub_co_u32 v14, vcc_lo, v14, v22
	s_wait_alu 0xfffd
	v_sub_co_ci_u32_e64 v15, null, v15, v23, vcc_lo
	s_wait_loadcnt 0x10
	v_sub_co_u32 v84, vcc_lo, v84, v22
	s_wait_alu 0xfffd
	v_sub_co_ci_u32_e64 v85, null, v85, v23, vcc_lo
	;; [unrolled: 4-line block ×3, first 2 shown]
	s_wait_loadcnt 0xe
	v_sub_co_u32 v88, vcc_lo, v88, v22
	v_lshlrev_b64_e32 v[14:15], 5, v[14:15]
	s_wait_alu 0xfffd
	v_sub_co_ci_u32_e64 v89, null, v89, v23, vcc_lo
	v_lshlrev_b64_e32 v[84:85], 5, v[84:85]
	v_lshlrev_b64_e32 v[86:87], 5, v[86:87]
	s_delay_alu instid0(VALU_DEP_3)
	v_lshlrev_b64_e32 v[88:89], 5, v[88:89]
	s_wait_kmcnt 0x0
	v_add_co_u32 v14, vcc_lo, s4, v14
	s_wait_alu 0xfffd
	v_add_co_ci_u32_e64 v15, null, s5, v15, vcc_lo
	v_add_co_u32 v96, vcc_lo, s4, v84
	s_wait_alu 0xfffd
	v_add_co_ci_u32_e64 v97, null, s5, v85, vcc_lo
	;; [unrolled: 3-line block ×4, first 2 shown]
	s_clause 0x6
	global_load_b128 v[84:87], v[14:15], off
	global_load_b128 v[88:91], v[14:15], off offset:16
	global_load_b128 v[92:95], v[96:97], off
	global_load_b128 v[96:99], v[96:97], off offset:16
	;; [unrolled: 2-line block ×4, first 2 shown]
	global_load_b128 v[116:119], v[116:117], off offset:16
	global_load_b128 v[120:123], v[28:29], off offset:816
	v_add_co_u32 v28, vcc_lo, 0x400, v28
	s_wait_alu 0xfffd
	v_add_co_ci_u32_e64 v29, null, 0, v29, vcc_lo
	v_add_co_u32 v24, vcc_lo, v24, 16
	s_wait_alu 0xfffd
	v_add_co_ci_u32_e64 v25, null, 0, v25, vcc_lo
	;; [unrolled: 3-line block ×3, first 2 shown]
	s_delay_alu instid0(VALU_DEP_3) | instskip(SKIP_4) | instid1(VALU_DEP_1)
	v_cmp_ge_i64_e32 vcc_lo, v[24:25], v[26:27]
	s_wait_alu 0xfffe
	s_or_b32 s6, vcc_lo, s6
	s_wait_loadcnt 0x9
	v_fmac_f32_e32 v46, 0, v84
	v_dual_fmac_f32 v43, 0, v84 :: v_dual_fmac_f32 v46, v35, v85
	s_delay_alu instid0(VALU_DEP_1) | instskip(SKIP_1) | instid1(VALU_DEP_3)
	v_dual_fmac_f32 v42, v32, v84 :: v_dual_fmac_f32 v43, v33, v85
	v_fmac_f32_e32 v41, 0, v84
	v_dual_fmac_f32 v31, v35, v84 :: v_dual_fmac_f32 v46, 0, v86
	s_delay_alu instid0(VALU_DEP_3) | instskip(NEXT) | instid1(VALU_DEP_3)
	v_fmac_f32_e32 v42, 0x80000000, v85
	v_dual_fmac_f32 v44, v33, v84 :: v_dual_fmac_f32 v41, v32, v85
	v_fmac_f32_e32 v47, v34, v84
	s_delay_alu instid0(VALU_DEP_3) | instskip(NEXT) | instid1(VALU_DEP_3)
	v_dual_fmac_f32 v45, 0, v84 :: v_dual_fmac_f32 v42, v10, v86
	v_fmac_f32_e32 v44, 0x80000000, v85
	v_fmac_f32_e32 v31, 0x80000000, v85
	s_delay_alu instid0(VALU_DEP_4) | instskip(NEXT) | instid1(VALU_DEP_4)
	v_fmac_f32_e32 v47, 0x80000000, v85
	v_dual_fmac_f32 v45, v34, v85 :: v_dual_fmac_f32 v42, 0x80000000, v87
	s_delay_alu instid0(VALU_DEP_4)
	v_fmac_f32_e32 v44, v11, v86
	v_fmac_f32_e32 v43, 0, v86
	v_dual_fmac_f32 v41, 0, v86 :: v_dual_fmac_f32 v46, v13, v87
	s_wait_loadcnt 0x8
	v_dual_fmac_f32 v47, v12, v86 :: v_dual_fmac_f32 v42, v6, v88
	v_dual_fmac_f32 v44, 0x80000000, v87 :: v_dual_fmac_f32 v45, 0, v86
	s_delay_alu instid0(VALU_DEP_3) | instskip(NEXT) | instid1(VALU_DEP_3)
	v_dual_fmac_f32 v31, v13, v86 :: v_dual_fmac_f32 v46, 0, v88
	v_dual_fmac_f32 v41, v10, v87 :: v_dual_fmac_f32 v42, 0x80000000, v89
	s_delay_alu instid0(VALU_DEP_3) | instskip(NEXT) | instid1(VALU_DEP_3)
	;; [unrolled: 3-line block ×5, first 2 shown]
	v_dual_fmac_f32 v44, v3, v90 :: v_dual_fmac_f32 v45, 0, v88
	v_fmac_f32_e32 v41, v6, v89
	s_delay_alu instid0(VALU_DEP_4) | instskip(NEXT) | instid1(VALU_DEP_3)
	v_dual_fmac_f32 v47, v8, v88 :: v_dual_fmac_f32 v46, v5, v91
	v_dual_fmac_f32 v44, 0x80000000, v91 :: v_dual_fmac_f32 v43, v7, v89
	s_wait_loadcnt 0x7
	v_fmac_f32_e32 v42, v56, v92
	v_fmac_f32_e32 v31, v9, v88
	v_dual_fmac_f32 v45, v8, v89 :: v_dual_fmac_f32 v46, 0, v92
	v_dual_fmac_f32 v44, v57, v92 :: v_dual_fmac_f32 v41, 0, v90
	s_delay_alu instid0(VALU_DEP_4) | instskip(SKIP_1) | instid1(VALU_DEP_4)
	v_fmac_f32_e32 v42, 0x80000000, v93
	v_fmac_f32_e32 v47, 0x80000000, v89
	v_dual_fmac_f32 v43, 0, v90 :: v_dual_fmac_f32 v46, v59, v93
	s_delay_alu instid0(VALU_DEP_4) | instskip(NEXT) | instid1(VALU_DEP_4)
	v_fmac_f32_e32 v44, 0x80000000, v93
	v_dual_fmac_f32 v31, 0x80000000, v89 :: v_dual_fmac_f32 v42, v52, v94
	s_delay_alu instid0(VALU_DEP_4) | instskip(NEXT) | instid1(VALU_DEP_4)
	;; [unrolled: 3-line block ×3, first 2 shown]
	v_fmac_f32_e32 v44, v53, v94
	v_dual_fmac_f32 v45, 0, v90 :: v_dual_fmac_f32 v42, 0x80000000, v95
	s_delay_alu instid0(VALU_DEP_3) | instskip(NEXT) | instid1(VALU_DEP_3)
	v_dual_fmac_f32 v31, v5, v90 :: v_dual_fmac_f32 v46, v55, v95
	v_fmac_f32_e32 v44, 0x80000000, v95
	s_wait_loadcnt 0x6
	s_delay_alu instid0(VALU_DEP_3) | instskip(SKIP_3) | instid1(VALU_DEP_4)
	v_dual_fmac_f32 v43, v3, v91 :: v_dual_fmac_f32 v42, v48, v96
	v_fmac_f32_e32 v45, v4, v91
	v_dual_fmac_f32 v47, 0x80000000, v91 :: v_dual_fmac_f32 v46, 0, v96
	v_dual_fmac_f32 v44, v49, v96 :: v_dual_fmac_f32 v31, 0x80000000, v91
	;; [unrolled: 1-line block ×3, first 2 shown]
	s_delay_alu instid0(VALU_DEP_3) | instskip(NEXT) | instid1(VALU_DEP_3)
	v_dual_fmac_f32 v43, 0, v92 :: v_dual_fmac_f32 v46, v51, v97
	v_dual_fmac_f32 v44, 0x80000000, v97 :: v_dual_fmac_f32 v47, v58, v92
	s_delay_alu instid0(VALU_DEP_3) | instskip(NEXT) | instid1(VALU_DEP_3)
	v_dual_fmac_f32 v42, v36, v98 :: v_dual_fmac_f32 v45, 0, v92
	v_dual_fmac_f32 v31, v59, v92 :: v_dual_fmac_f32 v46, 0, v98
	;; [unrolled: 3-line block ×4, first 2 shown]
	s_wait_loadcnt 0x5
	s_delay_alu instid0(VALU_DEP_3) | instskip(NEXT) | instid1(VALU_DEP_3)
	v_dual_fmac_f32 v42, v72, v100 :: v_dual_fmac_f32 v31, 0x80000000, v93
	v_dual_fmac_f32 v41, 0, v94 :: v_dual_fmac_f32 v46, 0, v100
	s_delay_alu instid0(VALU_DEP_3) | instskip(NEXT) | instid1(VALU_DEP_3)
	v_dual_fmac_f32 v44, v73, v100 :: v_dual_fmac_f32 v43, 0, v94
	v_dual_fmac_f32 v42, 0x80000000, v101 :: v_dual_fmac_f32 v47, v54, v94
	;; [unrolled: 3-line block ×3, first 2 shown]
	s_delay_alu instid0(VALU_DEP_3) | instskip(SKIP_1) | instid1(VALU_DEP_3)
	v_dual_fmac_f32 v43, v53, v95 :: v_dual_fmac_f32 v42, v68, v102
	v_fmac_f32_e32 v31, v55, v94
	v_dual_fmac_f32 v44, v69, v102 :: v_dual_fmac_f32 v41, 0, v96
	v_dual_fmac_f32 v47, 0x80000000, v95 :: v_dual_fmac_f32 v46, 0, v102
	s_delay_alu instid0(VALU_DEP_4) | instskip(NEXT) | instid1(VALU_DEP_3)
	v_fmac_f32_e32 v42, 0x80000000, v103
	v_fmac_f32_e32 v44, 0x80000000, v103
	;; [unrolled: 1-line block ×4, first 2 shown]
	v_dual_fmac_f32 v43, 0, v96 :: v_dual_fmac_f32 v46, v71, v103
	s_wait_loadcnt 0x4
	v_fmac_f32_e32 v42, v64, v104
	v_fmac_f32_e32 v44, v65, v104
	;; [unrolled: 1-line block ×4, first 2 shown]
	v_dual_fmac_f32 v41, v48, v97 :: v_dual_fmac_f32 v46, 0, v104
	v_fmac_f32_e32 v42, 0x80000000, v105
	v_dual_fmac_f32 v44, 0x80000000, v105 :: v_dual_fmac_f32 v31, v51, v96
	v_fmac_f32_e32 v47, 0x80000000, v97
	s_delay_alu instid0(VALU_DEP_4) | instskip(NEXT) | instid1(VALU_DEP_4)
	v_dual_fmac_f32 v41, 0, v98 :: v_dual_fmac_f32 v46, v67, v105
	v_fmac_f32_e32 v42, v60, v106
	s_delay_alu instid0(VALU_DEP_4) | instskip(SKIP_2) | instid1(VALU_DEP_4)
	v_fmac_f32_e32 v44, v61, v106
	v_fmac_f32_e32 v43, v49, v97
	;; [unrolled: 1-line block ×3, first 2 shown]
	v_dual_fmac_f32 v31, 0x80000000, v97 :: v_dual_fmac_f32 v42, 0x80000000, v107
	s_delay_alu instid0(VALU_DEP_4) | instskip(NEXT) | instid1(VALU_DEP_3)
	v_dual_fmac_f32 v44, 0x80000000, v107 :: v_dual_fmac_f32 v47, v38, v98
	v_fmac_f32_e32 v45, 0, v98
	v_fmac_f32_e32 v46, 0, v106
	s_wait_loadcnt 0x3
	v_dual_fmac_f32 v43, 0, v98 :: v_dual_fmac_f32 v42, v80, v108
	v_dual_fmac_f32 v44, v81, v108 :: v_dual_fmac_f32 v41, v36, v99
	s_delay_alu instid0(VALU_DEP_3) | instskip(SKIP_1) | instid1(VALU_DEP_3)
	v_fmac_f32_e32 v46, v63, v107
	v_fmac_f32_e32 v31, v39, v98
	v_dual_fmac_f32 v43, v37, v99 :: v_dual_fmac_f32 v44, 0x80000000, v109
	v_dual_fmac_f32 v42, 0x80000000, v109 :: v_dual_fmac_f32 v45, v38, v99
	s_delay_alu instid0(VALU_DEP_4) | instskip(NEXT) | instid1(VALU_DEP_3)
	v_dual_fmac_f32 v46, 0, v108 :: v_dual_fmac_f32 v47, 0x80000000, v99
	v_dual_fmac_f32 v31, 0x80000000, v99 :: v_dual_fmac_f32 v44, v77, v110
	s_delay_alu instid0(VALU_DEP_3) | instskip(NEXT) | instid1(VALU_DEP_3)
	v_dual_fmac_f32 v42, v76, v110 :: v_dual_fmac_f32 v43, 0, v100
	v_dual_fmac_f32 v46, v83, v109 :: v_dual_fmac_f32 v41, 0, v100
	s_delay_alu instid0(VALU_DEP_3) | instskip(NEXT) | instid1(VALU_DEP_3)
	v_dual_fmac_f32 v47, v74, v100 :: v_dual_fmac_f32 v44, 0x80000000, v111
	v_dual_fmac_f32 v42, 0x80000000, v111 :: v_dual_fmac_f32 v43, v73, v101
	s_delay_alu instid0(VALU_DEP_3) | instskip(SKIP_1) | instid1(VALU_DEP_3)
	v_dual_fmac_f32 v46, 0, v110 :: v_dual_fmac_f32 v45, 0, v100
	s_wait_loadcnt 0x1
	v_dual_fmac_f32 v41, v72, v101 :: v_dual_fmac_f32 v44, v113, v116
	s_delay_alu instid0(VALU_DEP_3) | instskip(SKIP_2) | instid1(VALU_DEP_4)
	v_fmac_f32_e32 v42, v112, v116
	v_fmac_f32_e32 v31, v75, v100
	v_dual_fmac_f32 v46, v79, v111 :: v_dual_fmac_f32 v47, 0x80000000, v101
	v_dual_fmac_f32 v41, 0, v102 :: v_dual_fmac_f32 v44, 0x80000000, v117
	s_delay_alu instid0(VALU_DEP_4) | instskip(SKIP_1) | instid1(VALU_DEP_4)
	v_fmac_f32_e32 v42, 0x80000000, v117
	v_fmac_f32_e32 v45, v74, v101
	v_dual_fmac_f32 v31, 0x80000000, v101 :: v_dual_fmac_f32 v46, 0, v116
	v_fmac_f32_e32 v43, 0, v102
	s_wait_loadcnt 0x0
	v_fmac_f32_e32 v42, v120, v118
	v_fmac_f32_e32 v47, v70, v102
	;; [unrolled: 1-line block ×5, first 2 shown]
	v_dual_fmac_f32 v46, v115, v117 :: v_dual_fmac_f32 v41, v68, v103
	v_fmac_f32_e32 v43, v69, v103
	v_fmac_f32_e32 v42, 0x80000000, v119
	;; [unrolled: 1-line block ×8, first 2 shown]
	v_dual_fmac_f32 v31, v67, v104 :: v_dual_fmac_f32 v46, 0, v118
	v_fmac_f32_e32 v41, 0, v104
	v_fmac_f32_e32 v45, 0, v104
	;; [unrolled: 1-line block ×4, first 2 shown]
	v_dual_fmac_f32 v31, 0x80000000, v105 :: v_dual_fmac_f32 v46, v123, v119
	v_fmac_f32_e32 v41, v64, v105
	v_fmac_f32_e32 v45, v66, v105
	;; [unrolled: 1-line block ×52, first 2 shown]
	s_wait_alu 0xfffe
	s_and_not1_b32 exec_lo, exec_lo, s6
	s_cbranch_execnz .LBB130_33
; %bb.34:
	s_or_b32 exec_lo, exec_lo, s6
.LBB130_35:
	s_wait_alu 0xfffe
	s_or_b32 exec_lo, exec_lo, s2
.LBB130_36:
	s_wait_alu 0xfffe
	s_or_b32 exec_lo, exec_lo, s3
.LBB130_37:
	v_mbcnt_lo_u32_b32 v0, -1, 0
	s_delay_alu instid0(VALU_DEP_1) | instskip(NEXT) | instid1(VALU_DEP_1)
	v_xor_b32_e32 v1, 2, v0
	v_cmp_gt_i32_e32 vcc_lo, 32, v1
	s_wait_alu 0xfffd
	v_cndmask_b32_e32 v1, v0, v1, vcc_lo
	s_delay_alu instid0(VALU_DEP_1)
	v_lshlrev_b32_e32 v1, 2, v1
	ds_bpermute_b32 v2, v1, v42
	ds_bpermute_b32 v3, v1, v41
	;; [unrolled: 1-line block ×8, first 2 shown]
	v_xor_b32_e32 v1, 1, v0
	s_delay_alu instid0(VALU_DEP_1)
	v_cmp_gt_i32_e32 vcc_lo, 32, v1
	s_wait_alu 0xfffd
	v_cndmask_b32_e32 v0, v0, v1, vcc_lo
	v_cmp_eq_u32_e32 vcc_lo, 3, v40
	s_wait_dscnt 0x6
	v_add_f32_e32 v1, v41, v3
	s_delay_alu instid0(VALU_DEP_3)
	v_dual_add_f32 v0, v42, v2 :: v_dual_lshlrev_b32 v15, 2, v0
	s_wait_dscnt 0x4
	v_dual_add_f32 v2, v44, v4 :: v_dual_add_f32 v3, v43, v5
	s_wait_dscnt 0x2
	v_dual_add_f32 v4, v47, v6 :: v_dual_add_f32 v5, v45, v7
	;; [unrolled: 2-line block ×3, first 2 shown]
	ds_bpermute_b32 v8, v15, v0
	ds_bpermute_b32 v9, v15, v1
	;; [unrolled: 1-line block ×8, first 2 shown]
	s_and_b32 exec_lo, exec_lo, vcc_lo
	s_cbranch_execz .LBB130_8
; %bb.38:
	s_load_b64 s[2:3], s[0:1], 0x58
	s_wait_dscnt 0x7
	v_add_f32_e32 v8, v0, v8
	s_wait_dscnt 0x6
	v_add_f32_e32 v0, v1, v9
	s_wait_dscnt 0x4
	v_dual_add_f32 v10, v2, v10 :: v_dual_add_f32 v1, v3, v11
	s_wait_dscnt 0x2
	v_dual_add_f32 v11, v4, v12 :: v_dual_add_f32 v2, v5, v13
	v_mul_f32_e32 v5, v18, v0
	s_wait_dscnt 0x0
	v_add_f32_e32 v3, v7, v15
	v_mul_f32_e64 v4, v0, -v19
	v_add_f32_e32 v12, v6, v14
	v_mul_f32_e64 v6, v1, -v19
	v_mul_f32_e32 v7, v18, v1
	v_mul_f32_e64 v0, v2, -v19
	v_mul_f32_e32 v1, v18, v2
	;; [unrolled: 2-line block ×3, first 2 shown]
	v_cmp_eq_f32_e32 vcc_lo, 0, v16
	v_cmp_eq_f32_e64 s0, 0, v17
	v_dual_fmac_f32 v4, v18, v8 :: v_dual_fmac_f32 v7, v19, v10
	v_fmac_f32_e32 v5, v19, v8
	v_lshlrev_b64_e32 v[8:9], 5, v[20:21]
	v_dual_fmac_f32 v6, v18, v10 :: v_dual_fmac_f32 v1, v19, v11
	v_dual_fmac_f32 v0, v18, v11 :: v_dual_fmac_f32 v3, v19, v12
	v_fmac_f32_e32 v2, v18, v12
	s_and_b32 s0, vcc_lo, s0
	s_wait_alu 0xfffe
	s_and_saveexec_b32 s1, s0
	s_wait_alu 0xfffe
	s_xor_b32 s0, exec_lo, s1
	s_cbranch_execz .LBB130_40
; %bb.39:
	s_wait_kmcnt 0x0
	v_add_co_u32 v8, vcc_lo, s2, v8
	s_wait_alu 0xfffd
	v_add_co_ci_u32_e64 v9, null, s3, v9, vcc_lo
                                        ; implicit-def: $vgpr16_vgpr17
	s_clause 0x1
	global_store_b128 v[8:9], v[4:7], off
	global_store_b128 v[8:9], v[0:3], off offset:16
                                        ; implicit-def: $vgpr4
                                        ; implicit-def: $vgpr8_vgpr9
                                        ; implicit-def: $vgpr0
.LBB130_40:
	s_wait_alu 0xfffe
	s_and_not1_saveexec_b32 s0, s0
	s_cbranch_execz .LBB130_8
; %bb.41:
	s_wait_kmcnt 0x0
	v_add_co_u32 v18, vcc_lo, s2, v8
	s_wait_alu 0xfffd
	v_add_co_ci_u32_e64 v19, null, s3, v9, vcc_lo
	s_clause 0x1
	global_load_b128 v[8:11], v[18:19], off
	global_load_b128 v[12:15], v[18:19], off offset:16
	s_wait_loadcnt 0x1
	v_dual_fmac_f32 v4, v16, v8 :: v_dual_fmac_f32 v7, v17, v10
	v_dual_fmac_f32 v5, v17, v8 :: v_dual_fmac_f32 v6, v16, v10
	s_wait_loadcnt 0x0
	v_dual_fmac_f32 v0, v16, v12 :: v_dual_fmac_f32 v3, v17, v14
	v_dual_fmac_f32 v1, v17, v12 :: v_dual_fmac_f32 v2, v16, v14
	v_fma_f32 v4, -v17, v9, v4
	v_fmac_f32_e32 v5, v16, v9
	v_fma_f32 v6, -v17, v11, v6
	v_fmac_f32_e32 v7, v16, v11
	;; [unrolled: 2-line block ×4, first 2 shown]
	s_clause 0x1
	global_store_b128 v[18:19], v[4:7], off
	global_store_b128 v[18:19], v[0:3], off offset:16
	s_nop 0
	s_sendmsg sendmsg(MSG_DEALLOC_VGPRS)
	s_endpgm
	.section	.rodata,"a",@progbits
	.p2align	6, 0x0
	.amdhsa_kernel _ZN9rocsparseL18bsrxmvn_4x4_kernelILj128ELj4E21rocsparse_complex_numIfEllfS2_S2_EEvT3_20rocsparse_direction_NS_24const_host_device_scalarIT1_EES3_PKS3_PKT2_SC_S9_PKT4_PKT5_S7_PT6_21rocsparse_index_base_b
		.amdhsa_group_segment_fixed_size 0
		.amdhsa_private_segment_fixed_size 0
		.amdhsa_kernarg_size 104
		.amdhsa_user_sgpr_count 2
		.amdhsa_user_sgpr_dispatch_ptr 0
		.amdhsa_user_sgpr_queue_ptr 0
		.amdhsa_user_sgpr_kernarg_segment_ptr 1
		.amdhsa_user_sgpr_dispatch_id 0
		.amdhsa_user_sgpr_private_segment_size 0
		.amdhsa_wavefront_size32 1
		.amdhsa_uses_dynamic_stack 0
		.amdhsa_enable_private_segment 0
		.amdhsa_system_sgpr_workgroup_id_x 1
		.amdhsa_system_sgpr_workgroup_id_y 0
		.amdhsa_system_sgpr_workgroup_id_z 0
		.amdhsa_system_sgpr_workgroup_info 0
		.amdhsa_system_vgpr_workitem_id 0
		.amdhsa_next_free_vgpr 128
		.amdhsa_next_free_sgpr 12
		.amdhsa_reserve_vcc 1
		.amdhsa_float_round_mode_32 0
		.amdhsa_float_round_mode_16_64 0
		.amdhsa_float_denorm_mode_32 3
		.amdhsa_float_denorm_mode_16_64 3
		.amdhsa_fp16_overflow 0
		.amdhsa_workgroup_processor_mode 1
		.amdhsa_memory_ordered 1
		.amdhsa_forward_progress 1
		.amdhsa_inst_pref_size 61
		.amdhsa_round_robin_scheduling 0
		.amdhsa_exception_fp_ieee_invalid_op 0
		.amdhsa_exception_fp_denorm_src 0
		.amdhsa_exception_fp_ieee_div_zero 0
		.amdhsa_exception_fp_ieee_overflow 0
		.amdhsa_exception_fp_ieee_underflow 0
		.amdhsa_exception_fp_ieee_inexact 0
		.amdhsa_exception_int_div_zero 0
	.end_amdhsa_kernel
	.section	.text._ZN9rocsparseL18bsrxmvn_4x4_kernelILj128ELj4E21rocsparse_complex_numIfEllfS2_S2_EEvT3_20rocsparse_direction_NS_24const_host_device_scalarIT1_EES3_PKS3_PKT2_SC_S9_PKT4_PKT5_S7_PT6_21rocsparse_index_base_b,"axG",@progbits,_ZN9rocsparseL18bsrxmvn_4x4_kernelILj128ELj4E21rocsparse_complex_numIfEllfS2_S2_EEvT3_20rocsparse_direction_NS_24const_host_device_scalarIT1_EES3_PKS3_PKT2_SC_S9_PKT4_PKT5_S7_PT6_21rocsparse_index_base_b,comdat
.Lfunc_end130:
	.size	_ZN9rocsparseL18bsrxmvn_4x4_kernelILj128ELj4E21rocsparse_complex_numIfEllfS2_S2_EEvT3_20rocsparse_direction_NS_24const_host_device_scalarIT1_EES3_PKS3_PKT2_SC_S9_PKT4_PKT5_S7_PT6_21rocsparse_index_base_b, .Lfunc_end130-_ZN9rocsparseL18bsrxmvn_4x4_kernelILj128ELj4E21rocsparse_complex_numIfEllfS2_S2_EEvT3_20rocsparse_direction_NS_24const_host_device_scalarIT1_EES3_PKS3_PKT2_SC_S9_PKT4_PKT5_S7_PT6_21rocsparse_index_base_b
                                        ; -- End function
	.set _ZN9rocsparseL18bsrxmvn_4x4_kernelILj128ELj4E21rocsparse_complex_numIfEllfS2_S2_EEvT3_20rocsparse_direction_NS_24const_host_device_scalarIT1_EES3_PKS3_PKT2_SC_S9_PKT4_PKT5_S7_PT6_21rocsparse_index_base_b.num_vgpr, 128
	.set _ZN9rocsparseL18bsrxmvn_4x4_kernelILj128ELj4E21rocsparse_complex_numIfEllfS2_S2_EEvT3_20rocsparse_direction_NS_24const_host_device_scalarIT1_EES3_PKS3_PKT2_SC_S9_PKT4_PKT5_S7_PT6_21rocsparse_index_base_b.num_agpr, 0
	.set _ZN9rocsparseL18bsrxmvn_4x4_kernelILj128ELj4E21rocsparse_complex_numIfEllfS2_S2_EEvT3_20rocsparse_direction_NS_24const_host_device_scalarIT1_EES3_PKS3_PKT2_SC_S9_PKT4_PKT5_S7_PT6_21rocsparse_index_base_b.numbered_sgpr, 12
	.set _ZN9rocsparseL18bsrxmvn_4x4_kernelILj128ELj4E21rocsparse_complex_numIfEllfS2_S2_EEvT3_20rocsparse_direction_NS_24const_host_device_scalarIT1_EES3_PKS3_PKT2_SC_S9_PKT4_PKT5_S7_PT6_21rocsparse_index_base_b.num_named_barrier, 0
	.set _ZN9rocsparseL18bsrxmvn_4x4_kernelILj128ELj4E21rocsparse_complex_numIfEllfS2_S2_EEvT3_20rocsparse_direction_NS_24const_host_device_scalarIT1_EES3_PKS3_PKT2_SC_S9_PKT4_PKT5_S7_PT6_21rocsparse_index_base_b.private_seg_size, 0
	.set _ZN9rocsparseL18bsrxmvn_4x4_kernelILj128ELj4E21rocsparse_complex_numIfEllfS2_S2_EEvT3_20rocsparse_direction_NS_24const_host_device_scalarIT1_EES3_PKS3_PKT2_SC_S9_PKT4_PKT5_S7_PT6_21rocsparse_index_base_b.uses_vcc, 1
	.set _ZN9rocsparseL18bsrxmvn_4x4_kernelILj128ELj4E21rocsparse_complex_numIfEllfS2_S2_EEvT3_20rocsparse_direction_NS_24const_host_device_scalarIT1_EES3_PKS3_PKT2_SC_S9_PKT4_PKT5_S7_PT6_21rocsparse_index_base_b.uses_flat_scratch, 0
	.set _ZN9rocsparseL18bsrxmvn_4x4_kernelILj128ELj4E21rocsparse_complex_numIfEllfS2_S2_EEvT3_20rocsparse_direction_NS_24const_host_device_scalarIT1_EES3_PKS3_PKT2_SC_S9_PKT4_PKT5_S7_PT6_21rocsparse_index_base_b.has_dyn_sized_stack, 0
	.set _ZN9rocsparseL18bsrxmvn_4x4_kernelILj128ELj4E21rocsparse_complex_numIfEllfS2_S2_EEvT3_20rocsparse_direction_NS_24const_host_device_scalarIT1_EES3_PKS3_PKT2_SC_S9_PKT4_PKT5_S7_PT6_21rocsparse_index_base_b.has_recursion, 0
	.set _ZN9rocsparseL18bsrxmvn_4x4_kernelILj128ELj4E21rocsparse_complex_numIfEllfS2_S2_EEvT3_20rocsparse_direction_NS_24const_host_device_scalarIT1_EES3_PKS3_PKT2_SC_S9_PKT4_PKT5_S7_PT6_21rocsparse_index_base_b.has_indirect_call, 0
	.section	.AMDGPU.csdata,"",@progbits
; Kernel info:
; codeLenInByte = 7804
; TotalNumSgprs: 14
; NumVgprs: 128
; ScratchSize: 0
; MemoryBound: 0
; FloatMode: 240
; IeeeMode: 1
; LDSByteSize: 0 bytes/workgroup (compile time only)
; SGPRBlocks: 0
; VGPRBlocks: 15
; NumSGPRsForWavesPerEU: 14
; NumVGPRsForWavesPerEU: 128
; Occupancy: 10
; WaveLimiterHint : 1
; COMPUTE_PGM_RSRC2:SCRATCH_EN: 0
; COMPUTE_PGM_RSRC2:USER_SGPR: 2
; COMPUTE_PGM_RSRC2:TRAP_HANDLER: 0
; COMPUTE_PGM_RSRC2:TGID_X_EN: 1
; COMPUTE_PGM_RSRC2:TGID_Y_EN: 0
; COMPUTE_PGM_RSRC2:TGID_Z_EN: 0
; COMPUTE_PGM_RSRC2:TIDIG_COMP_CNT: 0
	.section	.text._ZN9rocsparseL18bsrxmvn_4x4_kernelILj128ELj8E21rocsparse_complex_numIfEllfS2_S2_EEvT3_20rocsparse_direction_NS_24const_host_device_scalarIT1_EES3_PKS3_PKT2_SC_S9_PKT4_PKT5_S7_PT6_21rocsparse_index_base_b,"axG",@progbits,_ZN9rocsparseL18bsrxmvn_4x4_kernelILj128ELj8E21rocsparse_complex_numIfEllfS2_S2_EEvT3_20rocsparse_direction_NS_24const_host_device_scalarIT1_EES3_PKS3_PKT2_SC_S9_PKT4_PKT5_S7_PT6_21rocsparse_index_base_b,comdat
	.globl	_ZN9rocsparseL18bsrxmvn_4x4_kernelILj128ELj8E21rocsparse_complex_numIfEllfS2_S2_EEvT3_20rocsparse_direction_NS_24const_host_device_scalarIT1_EES3_PKS3_PKT2_SC_S9_PKT4_PKT5_S7_PT6_21rocsparse_index_base_b ; -- Begin function _ZN9rocsparseL18bsrxmvn_4x4_kernelILj128ELj8E21rocsparse_complex_numIfEllfS2_S2_EEvT3_20rocsparse_direction_NS_24const_host_device_scalarIT1_EES3_PKS3_PKT2_SC_S9_PKT4_PKT5_S7_PT6_21rocsparse_index_base_b
	.p2align	8
	.type	_ZN9rocsparseL18bsrxmvn_4x4_kernelILj128ELj8E21rocsparse_complex_numIfEllfS2_S2_EEvT3_20rocsparse_direction_NS_24const_host_device_scalarIT1_EES3_PKS3_PKT2_SC_S9_PKT4_PKT5_S7_PT6_21rocsparse_index_base_b,@function
_ZN9rocsparseL18bsrxmvn_4x4_kernelILj128ELj8E21rocsparse_complex_numIfEllfS2_S2_EEvT3_20rocsparse_direction_NS_24const_host_device_scalarIT1_EES3_PKS3_PKT2_SC_S9_PKT4_PKT5_S7_PT6_21rocsparse_index_base_b: ; @_ZN9rocsparseL18bsrxmvn_4x4_kernelILj128ELj8E21rocsparse_complex_numIfEllfS2_S2_EEvT3_20rocsparse_direction_NS_24const_host_device_scalarIT1_EES3_PKS3_PKT2_SC_S9_PKT4_PKT5_S7_PT6_21rocsparse_index_base_b
; %bb.0:
	s_clause 0x2
	s_load_b64 s[8:9], s[0:1], 0x60
	s_load_b128 s[4:7], s[0:1], 0x10
	s_load_b64 s[2:3], s[0:1], 0x50
	s_add_nc_u64 s[10:11], s[0:1], 16
	s_wait_kmcnt 0x0
	s_bitcmp1_b32 s9, 0
	s_cselect_b32 s4, s10, s4
	s_cselect_b32 s5, s11, s5
	s_delay_alu instid0(SALU_CYCLE_1)
	v_dual_mov_b32 v1, s4 :: v_dual_mov_b32 v2, s5
	s_add_nc_u64 s[4:5], s[0:1], 0x50
	s_wait_alu 0xfffe
	s_cselect_b32 s2, s4, s2
	s_cselect_b32 s3, s5, s3
	flat_load_b64 v[18:19], v[1:2]
	v_dual_mov_b32 v1, s2 :: v_dual_mov_b32 v2, s3
	flat_load_b64 v[16:17], v[1:2]
	s_wait_loadcnt_dscnt 0x101
	v_cmp_eq_f32_e32 vcc_lo, 0, v18
	v_cmp_eq_f32_e64 s2, 0, v19
	s_and_b32 s4, vcc_lo, s2
	s_mov_b32 s2, -1
	s_wait_alu 0xfffe
	s_and_saveexec_b32 s3, s4
	s_cbranch_execz .LBB131_2
; %bb.1:
	s_wait_loadcnt_dscnt 0x0
	v_cmp_neq_f32_e32 vcc_lo, 1.0, v16
	v_cmp_neq_f32_e64 s2, 0, v17
	s_or_b32 s2, vcc_lo, s2
	s_wait_alu 0xfffe
	s_or_not1_b32 s2, s2, exec_lo
.LBB131_2:
	s_wait_alu 0xfffe
	s_or_b32 exec_lo, exec_lo, s3
	s_and_saveexec_b32 s3, s2
	s_cbranch_execz .LBB131_8
; %bb.3:
	s_load_b64 s[2:3], s[0:1], 0x20
	v_lshrrev_b32_e32 v1, 3, v0
	v_mov_b32_e32 v2, 0
	s_delay_alu instid0(VALU_DEP_2)
	v_lshl_or_b32 v1, ttmp9, 4, v1
	s_wait_kmcnt 0x0
	s_cmp_lg_u64 s[2:3], 0
	s_cbranch_scc0 .LBB131_9
; %bb.4:
	s_delay_alu instid0(VALU_DEP_1)
	v_cmp_gt_i64_e32 vcc_lo, s[6:7], v[1:2]
	s_mov_b32 s5, 0
	s_mov_b32 s4, 0
                                        ; implicit-def: $vgpr20_vgpr21
                                        ; implicit-def: $vgpr22_vgpr23
	s_and_saveexec_b32 s6, vcc_lo
	s_wait_alu 0xfffe
	s_xor_b32 s6, exec_lo, s6
	s_cbranch_execz .LBB131_6
; %bb.5:
	v_lshlrev_b64_e32 v[3:4], 3, v[1:2]
	s_mov_b32 s9, 0
	s_mov_b32 s4, exec_lo
	v_dual_mov_b32 v23, s9 :: v_dual_mov_b32 v22, s8
	s_delay_alu instid0(VALU_DEP_2) | instskip(NEXT) | instid1(VALU_DEP_1)
	v_add_co_u32 v3, vcc_lo, s2, v3
	v_add_co_ci_u32_e64 v4, null, s3, v4, vcc_lo
	global_load_b64 v[3:4], v[3:4], off
	s_wait_loadcnt 0x0
	v_sub_co_u32 v20, vcc_lo, v3, s8
	s_wait_alu 0xfffd
	v_subrev_co_ci_u32_e64 v21, null, 0, v4, vcc_lo
.LBB131_6:
	s_wait_alu 0xfffe
	s_or_b32 exec_lo, exec_lo, s6
	s_delay_alu instid0(SALU_CYCLE_1)
	s_and_b32 vcc_lo, exec_lo, s5
	s_wait_alu 0xfffe
	s_cbranch_vccnz .LBB131_10
.LBB131_7:
	s_wait_alu 0xfffe
	s_and_b32 exec_lo, exec_lo, s4
	s_cbranch_execnz .LBB131_13
.LBB131_8:
	s_nop 0
	s_sendmsg sendmsg(MSG_DEALLOC_VGPRS)
	s_endpgm
.LBB131_9:
	s_mov_b32 s4, 0
                                        ; implicit-def: $vgpr20_vgpr21
                                        ; implicit-def: $vgpr22_vgpr23
	s_cbranch_execz .LBB131_7
.LBB131_10:
	s_load_b64 s[2:3], s[0:1], 0x0
	s_wait_kmcnt 0x0
	v_cmp_gt_i64_e32 vcc_lo, s[2:3], v[1:2]
	s_and_saveexec_b32 s2, vcc_lo
; %bb.11:
	s_mov_b32 s9, 0
	s_or_b32 s4, s4, exec_lo
; %bb.12:
	s_wait_alu 0xfffe
	s_or_b32 exec_lo, exec_lo, s2
	v_dual_mov_b32 v23, s9 :: v_dual_mov_b32 v22, s8
	v_dual_mov_b32 v21, v2 :: v_dual_mov_b32 v20, v1
	s_and_b32 exec_lo, exec_lo, s4
	s_cbranch_execz .LBB131_8
.LBB131_13:
	s_load_b256 s[4:11], s[0:1], 0x28
	s_delay_alu instid0(VALU_DEP_1) | instskip(SKIP_3) | instid1(VALU_DEP_2)
	v_lshlrev_b64_e32 v[1:2], 3, v[20:21]
	v_dual_mov_b32 v41, 0 :: v_dual_and_b32 v40, 7, v0
	s_load_b32 s3, s[0:1], 0x8
	s_wait_kmcnt 0x0
	v_add_co_u32 v3, vcc_lo, s4, v1
	s_wait_alu 0xfffd
	v_add_co_ci_u32_e64 v4, null, s5, v2, vcc_lo
	v_add_co_u32 v1, vcc_lo, s6, v1
	s_wait_alu 0xfffd
	v_add_co_ci_u32_e64 v2, null, s7, v2, vcc_lo
	v_add_co_u32 v5, vcc_lo, v3, 8
	global_load_b64 v[32:33], v[3:4], off
	s_wait_alu 0xfffd
	v_add_co_ci_u32_e64 v6, null, 0, v4, vcc_lo
	s_cmp_eq_u64 s[6:7], 0
	s_load_b64 s[4:5], s[0:1], 0x48
	s_cselect_b32 vcc_lo, -1, 0
	s_cmp_eq_u32 s3, 1
	s_wait_alu 0xfffe
	v_dual_cndmask_b32 v2, v2, v6 :: v_dual_cndmask_b32 v1, v1, v5
	global_load_b64 v[1:2], v[1:2], off
	s_wait_loadcnt 0x1
	v_sub_co_u32 v0, vcc_lo, v32, v22
	s_wait_alu 0xfffd
	v_sub_co_ci_u32_e64 v3, null, v33, v23, vcc_lo
	s_delay_alu instid0(VALU_DEP_2) | instskip(SKIP_1) | instid1(VALU_DEP_2)
	v_add_co_u32 v24, vcc_lo, v0, v40
	s_wait_alu 0xfffd
	v_add_co_ci_u32_e64 v25, null, 0, v3, vcc_lo
	s_wait_loadcnt 0x0
	v_sub_co_u32 v26, vcc_lo, v1, v22
	s_delay_alu instid0(VALU_DEP_2) | instskip(SKIP_2) | instid1(VALU_DEP_2)
	v_lshlrev_b64_e32 v[0:1], 6, v[24:25]
	s_wait_alu 0xfffd
	v_sub_co_ci_u32_e64 v27, null, v2, v23, vcc_lo
	v_add_co_u32 v28, vcc_lo, s10, v0
	s_delay_alu instid0(VALU_DEP_2)
	v_cmp_lt_i64_e64 s2, v[24:25], v[26:27]
	s_wait_alu 0xfffd
	v_add_co_ci_u32_e64 v29, null, s11, v1, vcc_lo
	s_cbranch_scc1 .LBB131_25
; %bb.14:
	v_dual_mov_b32 v42, 0 :: v_dual_mov_b32 v43, 0
	v_dual_mov_b32 v44, 0 :: v_dual_mov_b32 v45, 0
	;; [unrolled: 1-line block ×3, first 2 shown]
	v_mov_b32_e32 v31, 0
	s_and_saveexec_b32 s6, s2
	s_cbranch_execz .LBB131_24
; %bb.15:
	v_or_b32_e32 v0, 8, v40
	v_not_b32_e32 v3, v32
	v_sub_co_u32 v4, s3, v22, v40
	v_not_b32_e32 v2, v33
	s_delay_alu instid0(VALU_DEP_4)
	v_sub_co_u32 v0, vcc_lo, v0, v22
	s_wait_alu 0xfffd
	v_sub_co_ci_u32_e64 v1, null, 0, v23, vcc_lo
	s_wait_alu 0xf1ff
	v_subrev_co_ci_u32_e64 v5, null, 0, v23, s3
	v_add_co_u32 v0, vcc_lo, v0, v32
	s_wait_alu 0xfffd
	v_add_co_ci_u32_e64 v1, null, v1, v33, vcc_lo
	v_mov_b32_e32 v35, v29
	v_dual_mov_b32 v37, v25 :: v_dual_mov_b32 v36, v24
	s_delay_alu instid0(VALU_DEP_3)
	v_cmp_gt_i64_e32 vcc_lo, v[0:1], v[26:27]
	v_mov_b32_e32 v31, 0
	s_mov_b32 s3, exec_lo
	s_wait_alu 0xfffd
	v_dual_mov_b32 v34, v28 :: v_dual_cndmask_b32 v1, v27, v1
	v_cndmask_b32_e32 v0, v26, v0, vcc_lo
	v_add_co_u32 v3, vcc_lo, v4, v3
	s_wait_alu 0xfffd
	v_add_co_ci_u32_e64 v2, null, v5, v2, vcc_lo
	v_dual_mov_b32 v46, v31 :: v_dual_mov_b32 v47, v31
	s_delay_alu instid0(VALU_DEP_3) | instskip(SKIP_2) | instid1(VALU_DEP_3)
	v_add_co_u32 v0, vcc_lo, v3, v0
	v_dual_mov_b32 v45, v31 :: v_dual_mov_b32 v44, v31
	v_dual_mov_b32 v43, v31 :: v_dual_mov_b32 v42, v31
	v_and_b32_e32 v30, 24, v0
	s_wait_alu 0xfffd
	v_add_co_ci_u32_e64 v1, null, v2, v1, vcc_lo
	v_mov_b32_e32 v41, v31
	s_delay_alu instid0(VALU_DEP_3)
	v_cmpx_ne_u64_e32 24, v[30:31]
	s_cbranch_execz .LBB131_19
; %bb.16:
	v_lshrrev_b32_e32 v2, 3, v0
	v_mov_b32_e32 v41, 0
	v_dual_mov_b32 v37, v25 :: v_dual_mov_b32 v36, v24
	v_dual_mov_b32 v35, v29 :: v_dual_mov_b32 v34, v28
	s_delay_alu instid0(VALU_DEP_4) | instskip(SKIP_2) | instid1(VALU_DEP_3)
	v_add_nc_u32_e32 v4, 1, v2
	v_lshlrev_b64_e32 v[2:3], 3, v[24:25]
	v_dual_mov_b32 v42, 0 :: v_dual_mov_b32 v43, 0
	v_dual_mov_b32 v45, 0 :: v_dual_and_b32 v4, 3, v4
	v_dual_mov_b32 v44, 0 :: v_dual_mov_b32 v47, 0
	s_delay_alu instid0(VALU_DEP_4) | instskip(NEXT) | instid1(VALU_DEP_3)
	v_add_co_u32 v2, vcc_lo, s8, v2
	v_sub_co_u32 v4, s7, 0, v4
	s_wait_alu 0xfffd
	v_add_co_ci_u32_e64 v3, null, s9, v3, vcc_lo
	s_wait_alu 0xf1ff
	v_sub_co_ci_u32_e64 v5, null, 0, 0, s7
	v_dual_mov_b32 v46, 0 :: v_dual_mov_b32 v31, 0
	s_mov_b32 s7, 0
.LBB131_17:                             ; =>This Inner Loop Header: Depth=1
	global_load_b64 v[14:15], v[2:3], off
	s_clause 0x3
	global_load_b128 v[6:9], v[34:35], off offset:48
	global_load_b128 v[10:13], v[34:35], off offset:32
	;; [unrolled: 1-line block ×3, first 2 shown]
	global_load_b128 v[52:55], v[34:35], off
	s_wait_loadcnt 0x4
	v_sub_co_u32 v14, vcc_lo, v14, v22
	s_wait_alu 0xfffd
	v_sub_co_ci_u32_e64 v15, null, v15, v23, vcc_lo
	s_delay_alu instid0(VALU_DEP_1) | instskip(SKIP_1) | instid1(VALU_DEP_1)
	v_lshlrev_b64_e32 v[14:15], 5, v[14:15]
	s_wait_kmcnt 0x0
	v_add_co_u32 v14, vcc_lo, s4, v14
	s_wait_alu 0xfffd
	s_delay_alu instid0(VALU_DEP_2)
	v_add_co_ci_u32_e64 v15, null, s5, v15, vcc_lo
	v_add_co_u32 v34, vcc_lo, 0x200, v34
	s_wait_alu 0xfffd
	v_add_co_ci_u32_e64 v35, null, 0, v35, vcc_lo
	s_clause 0x1
	global_load_b128 v[56:59], v[14:15], off
	global_load_b128 v[60:63], v[14:15], off offset:16
	v_add_co_u32 v36, vcc_lo, v36, 8
	s_wait_alu 0xfffd
	v_add_co_ci_u32_e64 v37, null, 0, v37, vcc_lo
	v_add_co_u32 v4, vcc_lo, v4, 1
	s_wait_alu 0xfffd
	v_add_co_ci_u32_e64 v5, null, 0, v5, vcc_lo
	;; [unrolled: 3-line block ×3, first 2 shown]
	s_delay_alu instid0(VALU_DEP_3) | instskip(SKIP_4) | instid1(VALU_DEP_1)
	v_cmp_eq_u64_e32 vcc_lo, 0, v[4:5]
	s_wait_alu 0xfffe
	s_or_b32 s7, vcc_lo, s7
	s_wait_loadcnt 0x1
	v_fmac_f32_e32 v47, v10, v56
	v_dual_fmac_f32 v42, v52, v56 :: v_dual_fmac_f32 v47, 0x80000000, v57
	s_delay_alu instid0(VALU_DEP_1) | instskip(NEXT) | instid1(VALU_DEP_1)
	v_dual_fmac_f32 v41, 0, v56 :: v_dual_fmac_f32 v42, 0x80000000, v57
	v_dual_fmac_f32 v46, 0, v56 :: v_dual_fmac_f32 v41, v52, v57
	s_delay_alu instid0(VALU_DEP_1) | instskip(SKIP_1) | instid1(VALU_DEP_2)
	v_dual_fmac_f32 v45, 0, v56 :: v_dual_fmac_f32 v46, v6, v57
	v_fmac_f32_e32 v44, v48, v56
	v_dual_fmac_f32 v42, v53, v58 :: v_dual_fmac_f32 v45, v10, v57
	s_delay_alu instid0(VALU_DEP_2) | instskip(NEXT) | instid1(VALU_DEP_4)
	v_dual_fmac_f32 v43, 0, v56 :: v_dual_fmac_f32 v44, 0x80000000, v57
	v_dual_fmac_f32 v31, v6, v56 :: v_dual_fmac_f32 v46, 0, v58
	s_delay_alu instid0(VALU_DEP_2) | instskip(NEXT) | instid1(VALU_DEP_2)
	v_dual_fmac_f32 v42, 0x80000000, v59 :: v_dual_fmac_f32 v43, v48, v57
	v_dual_fmac_f32 v44, v49, v58 :: v_dual_fmac_f32 v31, 0x80000000, v57
	s_delay_alu instid0(VALU_DEP_3) | instskip(NEXT) | instid1(VALU_DEP_2)
	v_dual_fmac_f32 v41, 0, v58 :: v_dual_fmac_f32 v46, v7, v59
	v_dual_fmac_f32 v43, 0, v58 :: v_dual_fmac_f32 v44, 0x80000000, v59
	s_wait_loadcnt 0x0
	v_dual_fmac_f32 v47, v11, v58 :: v_dual_fmac_f32 v42, v54, v60
	v_fmac_f32_e32 v45, 0, v58
	v_dual_fmac_f32 v31, v7, v58 :: v_dual_fmac_f32 v46, 0, v60
	v_dual_fmac_f32 v44, v50, v60 :: v_dual_fmac_f32 v41, v53, v59
	s_delay_alu instid0(VALU_DEP_4) | instskip(NEXT) | instid1(VALU_DEP_3)
	v_dual_fmac_f32 v42, 0x80000000, v61 :: v_dual_fmac_f32 v43, v49, v59
	v_dual_fmac_f32 v47, 0x80000000, v59 :: v_dual_fmac_f32 v46, v8, v61
	v_fmac_f32_e32 v45, v11, v59
	s_delay_alu instid0(VALU_DEP_3) | instskip(SKIP_2) | instid1(VALU_DEP_3)
	v_dual_fmac_f32 v31, 0x80000000, v59 :: v_dual_fmac_f32 v42, v55, v62
	v_dual_fmac_f32 v44, 0x80000000, v61 :: v_dual_fmac_f32 v41, 0, v60
	v_fmac_f32_e32 v43, 0, v60
	v_dual_fmac_f32 v31, v8, v60 :: v_dual_fmac_f32 v46, 0, v62
	s_delay_alu instid0(VALU_DEP_3) | instskip(SKIP_2) | instid1(VALU_DEP_4)
	v_dual_fmac_f32 v45, 0, v60 :: v_dual_fmac_f32 v44, v51, v62
	v_fmac_f32_e32 v47, v12, v60
	v_fmac_f32_e32 v41, v54, v61
	v_dual_fmac_f32 v31, 0x80000000, v61 :: v_dual_fmac_f32 v42, 0x80000000, v63
	s_delay_alu instid0(VALU_DEP_4) | instskip(NEXT) | instid1(VALU_DEP_4)
	v_dual_fmac_f32 v43, v50, v61 :: v_dual_fmac_f32 v44, 0x80000000, v63
	v_dual_fmac_f32 v47, 0x80000000, v61 :: v_dual_fmac_f32 v46, v9, v63
	v_fmac_f32_e32 v45, v12, v61
	v_fmac_f32_e32 v41, 0, v62
	s_delay_alu instid0(VALU_DEP_4) | instskip(NEXT) | instid1(VALU_DEP_4)
	v_fmac_f32_e32 v43, 0, v62
	v_fmac_f32_e32 v47, v13, v62
	v_fmac_f32_e32 v31, v9, v62
	v_fmac_f32_e32 v45, 0, v62
	v_fmac_f32_e32 v41, v55, v63
	v_fmac_f32_e32 v43, v51, v63
	v_fmac_f32_e32 v47, 0x80000000, v63
	v_fmac_f32_e32 v31, 0x80000000, v63
	v_fmac_f32_e32 v45, v13, v63
	s_wait_alu 0xfffe
	s_and_not1_b32 exec_lo, exec_lo, s7
	s_cbranch_execnz .LBB131_17
; %bb.18:
	s_or_b32 exec_lo, exec_lo, s7
.LBB131_19:
	s_wait_alu 0xfffe
	s_or_b32 exec_lo, exec_lo, s3
	s_delay_alu instid0(SALU_CYCLE_1)
	s_mov_b32 s3, exec_lo
	v_cmpx_lt_u64_e32 23, v[0:1]
	s_cbranch_execz .LBB131_23
; %bb.20:
	v_lshlrev_b64_e32 v[0:1], 3, v[36:37]
	s_mov_b32 s7, 0
	s_delay_alu instid0(VALU_DEP_1) | instskip(SKIP_1) | instid1(VALU_DEP_2)
	v_add_co_u32 v0, vcc_lo, s8, v0
	s_wait_alu 0xfffd
	v_add_co_ci_u32_e64 v1, null, s9, v1, vcc_lo
	s_delay_alu instid0(VALU_DEP_2) | instskip(SKIP_1) | instid1(VALU_DEP_2)
	v_add_co_u32 v38, vcc_lo, 0x80, v0
	s_wait_alu 0xfffd
	v_add_co_ci_u32_e64 v39, null, 0, v1, vcc_lo
.LBB131_21:                             ; =>This Inner Loop Header: Depth=1
	s_clause 0x3
	global_load_b64 v[96:97], v[38:39], off offset:-128
	global_load_b64 v[98:99], v[38:39], off offset:-64
	global_load_b64 v[100:101], v[38:39], off
	global_load_b64 v[102:103], v[38:39], off offset:64
	s_clause 0xf
	global_load_b128 v[48:51], v[34:35], off offset:48
	global_load_b128 v[52:55], v[34:35], off offset:32
	;; [unrolled: 1-line block ×3, first 2 shown]
	global_load_b128 v[60:63], v[34:35], off
	global_load_b128 v[64:67], v[34:35], off offset:560
	global_load_b128 v[68:71], v[34:35], off offset:544
	;; [unrolled: 1-line block ×12, first 2 shown]
	s_wait_loadcnt 0x13
	v_sub_co_u32 v96, vcc_lo, v96, v22
	s_wait_alu 0xfffd
	v_sub_co_ci_u32_e64 v97, null, v97, v23, vcc_lo
	s_wait_loadcnt 0x12
	v_sub_co_u32 v98, vcc_lo, v98, v22
	s_wait_alu 0xfffd
	v_sub_co_ci_u32_e64 v99, null, v99, v23, vcc_lo
	;; [unrolled: 4-line block ×3, first 2 shown]
	s_wait_loadcnt 0x10
	v_sub_co_u32 v102, vcc_lo, v102, v22
	v_lshlrev_b64_e32 v[96:97], 5, v[96:97]
	s_wait_alu 0xfffd
	v_sub_co_ci_u32_e64 v103, null, v103, v23, vcc_lo
	v_lshlrev_b64_e32 v[98:99], 5, v[98:99]
	v_lshlrev_b64_e32 v[100:101], 5, v[100:101]
	s_delay_alu instid0(VALU_DEP_3)
	v_lshlrev_b64_e32 v[102:103], 5, v[102:103]
	s_wait_kmcnt 0x0
	v_add_co_u32 v104, vcc_lo, s4, v96
	s_wait_alu 0xfffd
	v_add_co_ci_u32_e64 v105, null, s5, v97, vcc_lo
	v_add_co_u32 v108, vcc_lo, s4, v98
	s_wait_alu 0xfffd
	v_add_co_ci_u32_e64 v109, null, s5, v99, vcc_lo
	;; [unrolled: 3-line block ×4, first 2 shown]
	s_clause 0x7
	global_load_b128 v[96:99], v[104:105], off
	global_load_b128 v[100:103], v[104:105], off offset:16
	global_load_b128 v[104:107], v[108:109], off
	global_load_b128 v[108:111], v[108:109], off offset:16
	;; [unrolled: 2-line block ×4, first 2 shown]
	v_add_co_u32 v36, vcc_lo, v36, 32
	s_wait_alu 0xfffd
	v_add_co_ci_u32_e64 v37, null, 0, v37, vcc_lo
	v_add_co_u32 v34, vcc_lo, 0x800, v34
	s_wait_alu 0xfffd
	v_add_co_ci_u32_e64 v35, null, 0, v35, vcc_lo
	;; [unrolled: 3-line block ×3, first 2 shown]
	v_cmp_ge_i64_e32 vcc_lo, v[36:37], v[26:27]
	s_wait_alu 0xfffe
	s_or_b32 s7, vcc_lo, s7
	s_wait_loadcnt 0x7
	v_fmac_f32_e32 v47, v52, v96
	v_fmac_f32_e32 v42, v60, v96
	;; [unrolled: 1-line block ×3, first 2 shown]
	s_delay_alu instid0(VALU_DEP_3) | instskip(NEXT) | instid1(VALU_DEP_3)
	v_dual_fmac_f32 v44, v56, v96 :: v_dual_fmac_f32 v47, 0x80000000, v97
	v_dual_fmac_f32 v41, 0, v96 :: v_dual_fmac_f32 v42, 0x80000000, v97
	s_delay_alu instid0(VALU_DEP_3) | instskip(NEXT) | instid1(VALU_DEP_3)
	v_dual_fmac_f32 v46, 0, v96 :: v_dual_fmac_f32 v31, 0x80000000, v97
	v_dual_fmac_f32 v43, 0, v96 :: v_dual_fmac_f32 v44, 0x80000000, v97
	s_delay_alu instid0(VALU_DEP_3) | instskip(NEXT) | instid1(VALU_DEP_3)
	v_fmac_f32_e32 v41, v60, v97
	v_dual_fmac_f32 v45, 0, v96 :: v_dual_fmac_f32 v46, v48, v97
	s_delay_alu instid0(VALU_DEP_3) | instskip(NEXT) | instid1(VALU_DEP_2)
	v_dual_fmac_f32 v42, v61, v98 :: v_dual_fmac_f32 v43, v56, v97
	v_dual_fmac_f32 v44, v57, v98 :: v_dual_fmac_f32 v45, v52, v97
	s_delay_alu instid0(VALU_DEP_3) | instskip(NEXT) | instid1(VALU_DEP_3)
	v_fmac_f32_e32 v46, 0, v98
	v_dual_fmac_f32 v42, 0x80000000, v99 :: v_dual_fmac_f32 v41, 0, v98
	s_delay_alu instid0(VALU_DEP_3) | instskip(NEXT) | instid1(VALU_DEP_3)
	v_dual_fmac_f32 v44, 0x80000000, v99 :: v_dual_fmac_f32 v43, 0, v98
	v_fmac_f32_e32 v46, v49, v99
	s_wait_loadcnt 0x6
	s_delay_alu instid0(VALU_DEP_3) | instskip(NEXT) | instid1(VALU_DEP_3)
	v_dual_fmac_f32 v47, v53, v98 :: v_dual_fmac_f32 v42, v62, v100
	v_dual_fmac_f32 v45, 0, v98 :: v_dual_fmac_f32 v44, v58, v100
	s_delay_alu instid0(VALU_DEP_3) | instskip(NEXT) | instid1(VALU_DEP_3)
	v_dual_fmac_f32 v31, v49, v98 :: v_dual_fmac_f32 v46, 0, v100
	v_dual_fmac_f32 v41, v61, v99 :: v_dual_fmac_f32 v42, 0x80000000, v101
	s_delay_alu instid0(VALU_DEP_3) | instskip(NEXT) | instid1(VALU_DEP_3)
	v_dual_fmac_f32 v43, v57, v99 :: v_dual_fmac_f32 v44, 0x80000000, v101
	v_dual_fmac_f32 v47, 0x80000000, v99 :: v_dual_fmac_f32 v46, v50, v101
	s_delay_alu instid0(VALU_DEP_3) | instskip(NEXT) | instid1(VALU_DEP_3)
	v_dual_fmac_f32 v45, v53, v99 :: v_dual_fmac_f32 v42, v63, v102
	v_dual_fmac_f32 v31, 0x80000000, v99 :: v_dual_fmac_f32 v44, v59, v102
	s_delay_alu instid0(VALU_DEP_3) | instskip(NEXT) | instid1(VALU_DEP_3)
	v_dual_fmac_f32 v41, 0, v100 :: v_dual_fmac_f32 v46, 0, v102
	v_dual_fmac_f32 v43, 0, v100 :: v_dual_fmac_f32 v42, 0x80000000, v103
	s_delay_alu instid0(VALU_DEP_3) | instskip(NEXT) | instid1(VALU_DEP_3)
	v_dual_fmac_f32 v47, v54, v100 :: v_dual_fmac_f32 v44, 0x80000000, v103
	v_dual_fmac_f32 v45, 0, v100 :: v_dual_fmac_f32 v46, v51, v103
	s_wait_loadcnt 0x5
	s_delay_alu instid0(VALU_DEP_3) | instskip(SKIP_3) | instid1(VALU_DEP_4)
	v_dual_fmac_f32 v41, v62, v101 :: v_dual_fmac_f32 v42, v76, v104
	v_fmac_f32_e32 v31, v50, v100
	v_dual_fmac_f32 v43, v58, v101 :: v_dual_fmac_f32 v44, v72, v104
	v_dual_fmac_f32 v47, 0x80000000, v101 :: v_dual_fmac_f32 v46, 0, v104
	v_fmac_f32_e32 v42, 0x80000000, v105
	v_fmac_f32_e32 v45, v54, v101
	s_delay_alu instid0(VALU_DEP_4) | instskip(NEXT) | instid1(VALU_DEP_4)
	v_dual_fmac_f32 v41, 0, v102 :: v_dual_fmac_f32 v44, 0x80000000, v105
	v_dual_fmac_f32 v43, 0, v102 :: v_dual_fmac_f32 v46, v64, v105
	s_delay_alu instid0(VALU_DEP_4) | instskip(NEXT) | instid1(VALU_DEP_3)
	v_dual_fmac_f32 v42, v77, v106 :: v_dual_fmac_f32 v31, 0x80000000, v101
	v_fmac_f32_e32 v44, v73, v106
	v_fmac_f32_e32 v47, v55, v102
	s_delay_alu instid0(VALU_DEP_4) | instskip(NEXT) | instid1(VALU_DEP_4)
	v_dual_fmac_f32 v41, v63, v103 :: v_dual_fmac_f32 v46, 0, v106
	v_dual_fmac_f32 v42, 0x80000000, v107 :: v_dual_fmac_f32 v45, 0, v102
	s_delay_alu instid0(VALU_DEP_4) | instskip(NEXT) | instid1(VALU_DEP_3)
	v_dual_fmac_f32 v44, 0x80000000, v107 :: v_dual_fmac_f32 v31, v51, v102
	v_fmac_f32_e32 v46, v65, v107
	s_wait_loadcnt 0x4
	s_delay_alu instid0(VALU_DEP_3) | instskip(NEXT) | instid1(VALU_DEP_3)
	v_dual_fmac_f32 v43, v59, v103 :: v_dual_fmac_f32 v42, v78, v108
	v_dual_fmac_f32 v47, 0x80000000, v103 :: v_dual_fmac_f32 v44, v74, v108
	s_delay_alu instid0(VALU_DEP_3) | instskip(NEXT) | instid1(VALU_DEP_3)
	v_dual_fmac_f32 v45, v55, v103 :: v_dual_fmac_f32 v46, 0, v108
	v_dual_fmac_f32 v31, 0x80000000, v103 :: v_dual_fmac_f32 v42, 0x80000000, v109
	;; [unrolled: 3-line block ×6, first 2 shown]
	s_wait_loadcnt 0x3
	s_delay_alu instid0(VALU_DEP_3) | instskip(SKIP_2) | instid1(VALU_DEP_3)
	v_dual_fmac_f32 v31, 0x80000000, v105 :: v_dual_fmac_f32 v42, v92, v112
	v_fmac_f32_e32 v45, v68, v105
	v_dual_fmac_f32 v41, 0, v106 :: v_dual_fmac_f32 v44, v88, v112
	v_dual_fmac_f32 v43, 0, v106 :: v_dual_fmac_f32 v42, 0x80000000, v113
	;; [unrolled: 1-line block ×3, first 2 shown]
	s_delay_alu instid0(VALU_DEP_3) | instskip(NEXT) | instid1(VALU_DEP_2)
	v_dual_fmac_f32 v45, 0, v106 :: v_dual_fmac_f32 v44, 0x80000000, v113
	v_dual_fmac_f32 v42, v93, v114 :: v_dual_fmac_f32 v47, 0x80000000, v107
	s_delay_alu instid0(VALU_DEP_3) | instskip(SKIP_1) | instid1(VALU_DEP_4)
	v_dual_fmac_f32 v31, v65, v106 :: v_dual_fmac_f32 v46, v80, v113
	v_fmac_f32_e32 v41, v77, v107
	v_fmac_f32_e32 v44, v89, v114
	s_delay_alu instid0(VALU_DEP_4) | instskip(SKIP_2) | instid1(VALU_DEP_4)
	v_fmac_f32_e32 v42, 0x80000000, v115
	v_fmac_f32_e32 v43, v73, v107
	v_dual_fmac_f32 v31, 0x80000000, v107 :: v_dual_fmac_f32 v46, 0, v114
	v_dual_fmac_f32 v41, 0, v108 :: v_dual_fmac_f32 v44, 0x80000000, v115
	s_wait_loadcnt 0x2
	v_fmac_f32_e32 v42, v94, v116
	s_delay_alu instid0(VALU_DEP_3) | instskip(NEXT) | instid1(VALU_DEP_3)
	v_dual_fmac_f32 v43, 0, v108 :: v_dual_fmac_f32 v46, v81, v115
	v_dual_fmac_f32 v45, v69, v107 :: v_dual_fmac_f32 v44, v90, v116
	v_fmac_f32_e32 v41, v78, v109
	s_delay_alu instid0(VALU_DEP_4) | instskip(NEXT) | instid1(VALU_DEP_4)
	v_dual_fmac_f32 v47, v70, v108 :: v_dual_fmac_f32 v42, 0x80000000, v117
	v_fmac_f32_e32 v46, 0, v116
	s_delay_alu instid0(VALU_DEP_4) | instskip(NEXT) | instid1(VALU_DEP_4)
	;; [unrolled: 3-line block ×3, first 2 shown]
	v_dual_fmac_f32 v31, v66, v108 :: v_dual_fmac_f32 v42, v95, v118
	v_fmac_f32_e32 v46, v82, v117
	s_delay_alu instid0(VALU_DEP_4) | instskip(SKIP_1) | instid1(VALU_DEP_4)
	v_dual_fmac_f32 v43, v74, v109 :: v_dual_fmac_f32 v44, v91, v118
	v_fmac_f32_e32 v47, 0x80000000, v109
	v_dual_fmac_f32 v45, v70, v109 :: v_dual_fmac_f32 v42, 0x80000000, v119
	s_delay_alu instid0(VALU_DEP_4) | instskip(NEXT) | instid1(VALU_DEP_4)
	v_dual_fmac_f32 v46, 0, v118 :: v_dual_fmac_f32 v31, 0x80000000, v109
	v_dual_fmac_f32 v44, 0x80000000, v119 :: v_dual_fmac_f32 v43, 0, v110
	s_wait_loadcnt 0x1
	s_delay_alu instid0(VALU_DEP_3) | instskip(NEXT) | instid1(VALU_DEP_3)
	v_dual_fmac_f32 v47, v71, v110 :: v_dual_fmac_f32 v42, v12, v120
	v_dual_fmac_f32 v46, v83, v119 :: v_dual_fmac_f32 v45, 0, v110
	s_delay_alu instid0(VALU_DEP_3) | instskip(NEXT) | instid1(VALU_DEP_3)
	v_dual_fmac_f32 v44, v8, v120 :: v_dual_fmac_f32 v31, v67, v110
	v_dual_fmac_f32 v41, v79, v111 :: v_dual_fmac_f32 v42, 0x80000000, v121
	;; [unrolled: 3-line block ×6, first 2 shown]
	s_wait_loadcnt 0x0
	s_delay_alu instid0(VALU_DEP_3) | instskip(NEXT) | instid1(VALU_DEP_3)
	v_dual_fmac_f32 v41, v92, v113 :: v_dual_fmac_f32 v42, v14, v124
	v_dual_fmac_f32 v46, v1, v123 :: v_dual_fmac_f32 v31, v80, v112
	s_delay_alu instid0(VALU_DEP_3) | instskip(NEXT) | instid1(VALU_DEP_2)
	v_dual_fmac_f32 v43, v88, v113 :: v_dual_fmac_f32 v44, v10, v124
	v_dual_fmac_f32 v47, 0x80000000, v113 :: v_dual_fmac_f32 v46, 0, v124
	s_delay_alu instid0(VALU_DEP_4) | instskip(NEXT) | instid1(VALU_DEP_3)
	v_fmac_f32_e32 v41, 0, v114
	v_dual_fmac_f32 v43, 0, v114 :: v_dual_fmac_f32 v42, 0x80000000, v125
	v_fmac_f32_e32 v45, v84, v113
	v_fmac_f32_e32 v44, 0x80000000, v125
	;; [unrolled: 1-line block ×3, first 2 shown]
	v_dual_fmac_f32 v46, v2, v125 :: v_dual_fmac_f32 v41, v93, v115
	v_fmac_f32_e32 v42, v15, v126
	v_fmac_f32_e32 v47, v85, v114
	;; [unrolled: 1-line block ×73, first 2 shown]
	s_wait_alu 0xfffe
	s_and_not1_b32 exec_lo, exec_lo, s7
	s_cbranch_execnz .LBB131_21
; %bb.22:
	s_or_b32 exec_lo, exec_lo, s7
.LBB131_23:
	s_wait_alu 0xfffe
	s_or_b32 exec_lo, exec_lo, s3
.LBB131_24:
	s_wait_alu 0xfffe
	s_or_b32 exec_lo, exec_lo, s6
	s_cbranch_execz .LBB131_26
	s_branch .LBB131_37
.LBB131_25:
                                        ; implicit-def: $vgpr41
                                        ; implicit-def: $vgpr42
                                        ; implicit-def: $vgpr43
                                        ; implicit-def: $vgpr44
                                        ; implicit-def: $vgpr45
                                        ; implicit-def: $vgpr47
                                        ; implicit-def: $vgpr46
                                        ; implicit-def: $vgpr31
.LBB131_26:
	v_dual_mov_b32 v41, 0 :: v_dual_mov_b32 v42, 0
	v_dual_mov_b32 v43, 0 :: v_dual_mov_b32 v44, 0
	;; [unrolled: 1-line block ×3, first 2 shown]
	v_mov_b32_e32 v47, 0
	v_mov_b32_e32 v31, 0
	s_and_saveexec_b32 s3, s2
	s_cbranch_execz .LBB131_36
; %bb.27:
	v_or_b32_e32 v0, 8, v40
	v_not_b32_e32 v3, v32
	v_not_b32_e32 v2, v33
	s_delay_alu instid0(VALU_DEP_3) | instskip(SKIP_2) | instid1(VALU_DEP_2)
	v_sub_co_u32 v0, vcc_lo, v0, v22
	s_wait_alu 0xfffd
	v_sub_co_ci_u32_e64 v1, null, 0, v23, vcc_lo
	v_add_co_u32 v0, vcc_lo, v0, v32
	s_wait_alu 0xfffd
	s_delay_alu instid0(VALU_DEP_2) | instskip(SKIP_3) | instid1(VALU_DEP_3)
	v_add_co_ci_u32_e64 v1, null, v1, v33, vcc_lo
	v_sub_co_u32 v4, vcc_lo, v22, v40
	s_wait_alu 0xfffd
	v_subrev_co_ci_u32_e64 v5, null, 0, v23, vcc_lo
	v_cmp_gt_i64_e64 s2, v[0:1], v[26:27]
	s_delay_alu instid0(VALU_DEP_3) | instskip(SKIP_1) | instid1(VALU_DEP_3)
	v_add_co_u32 v3, vcc_lo, v4, v3
	s_wait_alu 0xfffd
	v_add_co_ci_u32_e64 v2, null, v5, v2, vcc_lo
	s_wait_alu 0xf1ff
	s_delay_alu instid0(VALU_DEP_3) | instskip(SKIP_2) | instid1(VALU_DEP_2)
	v_cndmask_b32_e64 v0, v26, v0, s2
	v_cndmask_b32_e64 v1, v27, v1, s2
	s_mov_b32 s2, exec_lo
	v_add_co_u32 v0, vcc_lo, v3, v0
	v_mov_b32_e32 v31, 0
	s_wait_alu 0xfffd
	v_add_co_ci_u32_e64 v1, null, v2, v1, vcc_lo
	s_delay_alu instid0(VALU_DEP_3) | instskip(NEXT) | instid1(VALU_DEP_3)
	v_and_b32_e32 v30, 24, v0
	v_dual_mov_b32 v46, v31 :: v_dual_mov_b32 v47, v31
	v_dual_mov_b32 v45, v31 :: v_dual_mov_b32 v44, v31
	;; [unrolled: 1-line block ×3, first 2 shown]
	v_mov_b32_e32 v41, v31
	v_cmpx_ne_u64_e32 24, v[30:31]
	s_cbranch_execz .LBB131_31
; %bb.28:
	v_lshrrev_b32_e32 v2, 3, v0
	v_dual_mov_b32 v41, 0 :: v_dual_mov_b32 v42, 0
	v_dual_mov_b32 v43, 0 :: v_dual_mov_b32 v44, 0
	s_delay_alu instid0(VALU_DEP_3) | instskip(SKIP_2) | instid1(VALU_DEP_3)
	v_dual_mov_b32 v45, 0 :: v_dual_add_nc_u32 v4, 1, v2
	v_lshlrev_b64_e32 v[2:3], 3, v[24:25]
	v_dual_mov_b32 v46, 0 :: v_dual_mov_b32 v31, 0
	v_dual_mov_b32 v47, 0 :: v_dual_and_b32 v4, 3, v4
	s_delay_alu instid0(VALU_DEP_3) | instskip(SKIP_1) | instid1(VALU_DEP_4)
	v_add_co_u32 v2, vcc_lo, s8, v2
	s_wait_alu 0xfffd
	v_add_co_ci_u32_e64 v3, null, s9, v3, vcc_lo
	s_delay_alu instid0(VALU_DEP_3)
	v_sub_co_u32 v4, s6, 0, v4
	s_wait_alu 0xf1ff
	v_sub_co_ci_u32_e64 v5, null, 0, 0, s6
	s_mov_b32 s6, 0
.LBB131_29:                             ; =>This Inner Loop Header: Depth=1
	global_load_b64 v[14:15], v[2:3], off
	s_clause 0x1
	global_load_b128 v[6:9], v[28:29], off offset:16
	global_load_b128 v[10:13], v[28:29], off
	s_wait_loadcnt 0x2
	v_sub_co_u32 v14, vcc_lo, v14, v22
	s_wait_alu 0xfffd
	v_sub_co_ci_u32_e64 v15, null, v15, v23, vcc_lo
	s_delay_alu instid0(VALU_DEP_1) | instskip(SKIP_1) | instid1(VALU_DEP_1)
	v_lshlrev_b64_e32 v[14:15], 5, v[14:15]
	s_wait_kmcnt 0x0
	v_add_co_u32 v14, vcc_lo, s4, v14
	s_wait_alu 0xfffd
	s_delay_alu instid0(VALU_DEP_2)
	v_add_co_ci_u32_e64 v15, null, s5, v15, vcc_lo
	s_clause 0x1
	global_load_b128 v[32:35], v[14:15], off
	global_load_b128 v[36:39], v[14:15], off offset:16
	s_clause 0x1
	global_load_b128 v[48:51], v[28:29], off offset:32
	global_load_b128 v[52:55], v[28:29], off offset:48
	v_add_co_u32 v28, vcc_lo, 0x200, v28
	s_wait_alu 0xfffd
	v_add_co_ci_u32_e64 v29, null, 0, v29, vcc_lo
	v_add_co_u32 v24, vcc_lo, v24, 8
	s_wait_alu 0xfffd
	v_add_co_ci_u32_e64 v25, null, 0, v25, vcc_lo
	;; [unrolled: 3-line block ×4, first 2 shown]
	s_delay_alu instid0(VALU_DEP_3)
	v_cmp_eq_u64_e32 vcc_lo, 0, v[4:5]
	s_wait_alu 0xfffe
	s_or_b32 s6, vcc_lo, s6
	s_wait_loadcnt 0x3
	v_fmac_f32_e32 v43, 0, v32
	v_fmac_f32_e32 v42, v10, v32
	;; [unrolled: 1-line block ×4, first 2 shown]
	s_delay_alu instid0(VALU_DEP_4) | instskip(NEXT) | instid1(VALU_DEP_4)
	v_fmac_f32_e32 v43, v11, v33
	v_dual_fmac_f32 v41, 0, v32 :: v_dual_fmac_f32 v42, 0x80000000, v33
	v_fmac_f32_e32 v44, v11, v32
	v_dual_fmac_f32 v45, 0, v32 :: v_dual_fmac_f32 v46, v13, v33
	s_delay_alu instid0(VALU_DEP_3) | instskip(NEXT) | instid1(VALU_DEP_4)
	v_fmac_f32_e32 v41, v10, v33
	v_fmac_f32_e32 v42, v6, v34
	s_delay_alu instid0(VALU_DEP_4) | instskip(NEXT) | instid1(VALU_DEP_4)
	v_dual_fmac_f32 v44, 0x80000000, v33 :: v_dual_fmac_f32 v31, v13, v32
	v_dual_fmac_f32 v45, v12, v33 :: v_dual_fmac_f32 v46, 0, v34
	s_delay_alu instid0(VALU_DEP_2) | instskip(NEXT) | instid1(VALU_DEP_3)
	v_dual_fmac_f32 v47, 0x80000000, v33 :: v_dual_fmac_f32 v44, v7, v34
	v_dual_fmac_f32 v31, 0x80000000, v33 :: v_dual_fmac_f32 v42, 0x80000000, v35
	v_fmac_f32_e32 v41, 0, v34
	s_delay_alu instid0(VALU_DEP_4) | instskip(NEXT) | instid1(VALU_DEP_4)
	v_dual_fmac_f32 v43, 0, v34 :: v_dual_fmac_f32 v46, v9, v35
	v_dual_fmac_f32 v44, 0x80000000, v35 :: v_dual_fmac_f32 v47, v8, v34
	s_wait_loadcnt 0x1
	v_dual_fmac_f32 v45, 0, v34 :: v_dual_fmac_f32 v42, v48, v36
	s_delay_alu instid0(VALU_DEP_3) | instskip(NEXT) | instid1(VALU_DEP_3)
	v_dual_fmac_f32 v31, v9, v34 :: v_dual_fmac_f32 v46, 0, v36
	v_dual_fmac_f32 v44, v49, v36 :: v_dual_fmac_f32 v41, v6, v35
	s_delay_alu instid0(VALU_DEP_3) | instskip(NEXT) | instid1(VALU_DEP_3)
	v_dual_fmac_f32 v42, 0x80000000, v37 :: v_dual_fmac_f32 v43, v7, v35
	v_dual_fmac_f32 v47, 0x80000000, v35 :: v_dual_fmac_f32 v46, v51, v37
	s_wait_loadcnt 0x0
	s_delay_alu instid0(VALU_DEP_2) | instskip(SKIP_1) | instid1(VALU_DEP_3)
	v_dual_fmac_f32 v31, 0x80000000, v35 :: v_dual_fmac_f32 v42, v52, v38
	v_dual_fmac_f32 v44, 0x80000000, v37 :: v_dual_fmac_f32 v45, v8, v35
	v_dual_fmac_f32 v41, 0, v36 :: v_dual_fmac_f32 v46, 0, v38
	s_delay_alu instid0(VALU_DEP_3) | instskip(NEXT) | instid1(VALU_DEP_3)
	v_dual_fmac_f32 v43, 0, v36 :: v_dual_fmac_f32 v42, 0x80000000, v39
	v_dual_fmac_f32 v31, v51, v36 :: v_dual_fmac_f32 v44, v53, v38
	v_fmac_f32_e32 v47, v50, v36
	s_delay_alu instid0(VALU_DEP_4) | instskip(SKIP_3) | instid1(VALU_DEP_4)
	v_dual_fmac_f32 v45, 0, v36 :: v_dual_fmac_f32 v46, v55, v39
	v_fmac_f32_e32 v41, v48, v37
	v_fmac_f32_e32 v43, v49, v37
	v_fmac_f32_e32 v31, 0x80000000, v37
	v_dual_fmac_f32 v45, v50, v37 :: v_dual_fmac_f32 v44, 0x80000000, v39
	v_fmac_f32_e32 v47, 0x80000000, v37
	v_fmac_f32_e32 v41, 0, v38
	;; [unrolled: 1-line block ×3, first 2 shown]
	s_delay_alu instid0(VALU_DEP_4)
	v_fmac_f32_e32 v45, 0, v38
	v_fmac_f32_e32 v31, v55, v38
	;; [unrolled: 1-line block ×8, first 2 shown]
	s_wait_alu 0xfffe
	s_and_not1_b32 exec_lo, exec_lo, s6
	s_cbranch_execnz .LBB131_29
; %bb.30:
	s_or_b32 exec_lo, exec_lo, s6
.LBB131_31:
	s_wait_alu 0xfffe
	s_or_b32 exec_lo, exec_lo, s2
	s_delay_alu instid0(SALU_CYCLE_1)
	s_mov_b32 s2, exec_lo
	v_cmpx_lt_u64_e32 23, v[0:1]
	s_cbranch_execz .LBB131_35
; %bb.32:
	v_lshlrev_b64_e32 v[0:1], 3, v[24:25]
	s_mov_b32 s6, 0
	s_delay_alu instid0(VALU_DEP_1) | instskip(SKIP_1) | instid1(VALU_DEP_2)
	v_add_co_u32 v0, vcc_lo, s8, v0
	s_wait_alu 0xfffd
	v_add_co_ci_u32_e64 v1, null, s9, v1, vcc_lo
	s_delay_alu instid0(VALU_DEP_2) | instskip(SKIP_1) | instid1(VALU_DEP_2)
	v_add_co_u32 v0, vcc_lo, 0x80, v0
	s_wait_alu 0xfffd
	v_add_co_ci_u32_e64 v1, null, 0, v1, vcc_lo
.LBB131_33:                             ; =>This Inner Loop Header: Depth=1
	s_clause 0x3
	global_load_b64 v[14:15], v[0:1], off offset:-128
	global_load_b64 v[84:85], v[0:1], off offset:-64
	global_load_b64 v[86:87], v[0:1], off
	global_load_b64 v[88:89], v[0:1], off offset:64
	s_clause 0xd
	global_load_b128 v[2:5], v[28:29], off offset:48
	global_load_b128 v[6:9], v[28:29], off offset:32
	;; [unrolled: 1-line block ×3, first 2 shown]
	global_load_b128 v[32:35], v[28:29], off
	global_load_b128 v[36:39], v[28:29], off offset:560
	global_load_b128 v[48:51], v[28:29], off offset:544
	;; [unrolled: 1-line block ×10, first 2 shown]
	s_wait_loadcnt 0x11
	v_sub_co_u32 v14, vcc_lo, v14, v22
	s_wait_alu 0xfffd
	v_sub_co_ci_u32_e64 v15, null, v15, v23, vcc_lo
	s_wait_loadcnt 0x10
	v_sub_co_u32 v84, vcc_lo, v84, v22
	s_wait_alu 0xfffd
	v_sub_co_ci_u32_e64 v85, null, v85, v23, vcc_lo
	;; [unrolled: 4-line block ×3, first 2 shown]
	s_wait_loadcnt 0xe
	v_sub_co_u32 v88, vcc_lo, v88, v22
	v_lshlrev_b64_e32 v[14:15], 5, v[14:15]
	s_wait_alu 0xfffd
	v_sub_co_ci_u32_e64 v89, null, v89, v23, vcc_lo
	v_lshlrev_b64_e32 v[84:85], 5, v[84:85]
	v_lshlrev_b64_e32 v[86:87], 5, v[86:87]
	s_delay_alu instid0(VALU_DEP_3)
	v_lshlrev_b64_e32 v[88:89], 5, v[88:89]
	s_wait_kmcnt 0x0
	v_add_co_u32 v14, vcc_lo, s4, v14
	s_wait_alu 0xfffd
	v_add_co_ci_u32_e64 v15, null, s5, v15, vcc_lo
	v_add_co_u32 v96, vcc_lo, s4, v84
	s_wait_alu 0xfffd
	v_add_co_ci_u32_e64 v97, null, s5, v85, vcc_lo
	;; [unrolled: 3-line block ×4, first 2 shown]
	s_clause 0x6
	global_load_b128 v[84:87], v[14:15], off
	global_load_b128 v[88:91], v[14:15], off offset:16
	global_load_b128 v[92:95], v[96:97], off
	global_load_b128 v[96:99], v[96:97], off offset:16
	;; [unrolled: 2-line block ×4, first 2 shown]
	global_load_b128 v[116:119], v[116:117], off offset:16
	global_load_b128 v[120:123], v[28:29], off offset:1584
	v_add_co_u32 v28, vcc_lo, 0x800, v28
	s_wait_alu 0xfffd
	v_add_co_ci_u32_e64 v29, null, 0, v29, vcc_lo
	v_add_co_u32 v24, vcc_lo, v24, 32
	s_wait_alu 0xfffd
	v_add_co_ci_u32_e64 v25, null, 0, v25, vcc_lo
	;; [unrolled: 3-line block ×3, first 2 shown]
	s_delay_alu instid0(VALU_DEP_3) | instskip(SKIP_4) | instid1(VALU_DEP_1)
	v_cmp_ge_i64_e32 vcc_lo, v[24:25], v[26:27]
	s_wait_alu 0xfffe
	s_or_b32 s6, vcc_lo, s6
	s_wait_loadcnt 0x9
	v_fmac_f32_e32 v46, 0, v84
	v_dual_fmac_f32 v43, 0, v84 :: v_dual_fmac_f32 v46, v35, v85
	s_delay_alu instid0(VALU_DEP_1) | instskip(SKIP_1) | instid1(VALU_DEP_3)
	v_dual_fmac_f32 v42, v32, v84 :: v_dual_fmac_f32 v43, v33, v85
	v_fmac_f32_e32 v41, 0, v84
	v_dual_fmac_f32 v31, v35, v84 :: v_dual_fmac_f32 v46, 0, v86
	s_delay_alu instid0(VALU_DEP_3) | instskip(NEXT) | instid1(VALU_DEP_3)
	v_fmac_f32_e32 v42, 0x80000000, v85
	v_dual_fmac_f32 v44, v33, v84 :: v_dual_fmac_f32 v41, v32, v85
	v_fmac_f32_e32 v47, v34, v84
	s_delay_alu instid0(VALU_DEP_3) | instskip(NEXT) | instid1(VALU_DEP_3)
	v_dual_fmac_f32 v45, 0, v84 :: v_dual_fmac_f32 v42, v10, v86
	v_fmac_f32_e32 v44, 0x80000000, v85
	v_fmac_f32_e32 v31, 0x80000000, v85
	s_delay_alu instid0(VALU_DEP_4) | instskip(NEXT) | instid1(VALU_DEP_4)
	v_fmac_f32_e32 v47, 0x80000000, v85
	v_dual_fmac_f32 v45, v34, v85 :: v_dual_fmac_f32 v42, 0x80000000, v87
	s_delay_alu instid0(VALU_DEP_4)
	v_fmac_f32_e32 v44, v11, v86
	v_fmac_f32_e32 v43, 0, v86
	v_dual_fmac_f32 v41, 0, v86 :: v_dual_fmac_f32 v46, v13, v87
	s_wait_loadcnt 0x8
	v_dual_fmac_f32 v47, v12, v86 :: v_dual_fmac_f32 v42, v6, v88
	v_dual_fmac_f32 v44, 0x80000000, v87 :: v_dual_fmac_f32 v45, 0, v86
	s_delay_alu instid0(VALU_DEP_3) | instskip(NEXT) | instid1(VALU_DEP_3)
	v_dual_fmac_f32 v31, v13, v86 :: v_dual_fmac_f32 v46, 0, v88
	v_dual_fmac_f32 v41, v10, v87 :: v_dual_fmac_f32 v42, 0x80000000, v89
	s_delay_alu instid0(VALU_DEP_3) | instskip(NEXT) | instid1(VALU_DEP_3)
	;; [unrolled: 3-line block ×5, first 2 shown]
	v_dual_fmac_f32 v44, v3, v90 :: v_dual_fmac_f32 v45, 0, v88
	v_fmac_f32_e32 v41, v6, v89
	s_delay_alu instid0(VALU_DEP_4) | instskip(NEXT) | instid1(VALU_DEP_3)
	v_dual_fmac_f32 v47, v8, v88 :: v_dual_fmac_f32 v46, v5, v91
	v_dual_fmac_f32 v44, 0x80000000, v91 :: v_dual_fmac_f32 v43, v7, v89
	s_wait_loadcnt 0x7
	v_fmac_f32_e32 v42, v56, v92
	v_fmac_f32_e32 v31, v9, v88
	v_dual_fmac_f32 v45, v8, v89 :: v_dual_fmac_f32 v46, 0, v92
	v_dual_fmac_f32 v44, v57, v92 :: v_dual_fmac_f32 v41, 0, v90
	s_delay_alu instid0(VALU_DEP_4) | instskip(SKIP_1) | instid1(VALU_DEP_4)
	v_fmac_f32_e32 v42, 0x80000000, v93
	v_fmac_f32_e32 v47, 0x80000000, v89
	v_dual_fmac_f32 v43, 0, v90 :: v_dual_fmac_f32 v46, v59, v93
	s_delay_alu instid0(VALU_DEP_4) | instskip(NEXT) | instid1(VALU_DEP_4)
	v_fmac_f32_e32 v44, 0x80000000, v93
	v_dual_fmac_f32 v31, 0x80000000, v89 :: v_dual_fmac_f32 v42, v52, v94
	s_delay_alu instid0(VALU_DEP_4) | instskip(NEXT) | instid1(VALU_DEP_4)
	;; [unrolled: 3-line block ×3, first 2 shown]
	v_fmac_f32_e32 v44, v53, v94
	v_dual_fmac_f32 v45, 0, v90 :: v_dual_fmac_f32 v42, 0x80000000, v95
	s_delay_alu instid0(VALU_DEP_3) | instskip(NEXT) | instid1(VALU_DEP_3)
	v_dual_fmac_f32 v31, v5, v90 :: v_dual_fmac_f32 v46, v55, v95
	v_fmac_f32_e32 v44, 0x80000000, v95
	s_wait_loadcnt 0x6
	s_delay_alu instid0(VALU_DEP_3) | instskip(SKIP_3) | instid1(VALU_DEP_4)
	v_dual_fmac_f32 v43, v3, v91 :: v_dual_fmac_f32 v42, v48, v96
	v_fmac_f32_e32 v45, v4, v91
	v_dual_fmac_f32 v47, 0x80000000, v91 :: v_dual_fmac_f32 v46, 0, v96
	v_dual_fmac_f32 v44, v49, v96 :: v_dual_fmac_f32 v31, 0x80000000, v91
	;; [unrolled: 1-line block ×3, first 2 shown]
	s_delay_alu instid0(VALU_DEP_3) | instskip(NEXT) | instid1(VALU_DEP_3)
	v_dual_fmac_f32 v43, 0, v92 :: v_dual_fmac_f32 v46, v51, v97
	v_dual_fmac_f32 v44, 0x80000000, v97 :: v_dual_fmac_f32 v47, v58, v92
	s_delay_alu instid0(VALU_DEP_3) | instskip(NEXT) | instid1(VALU_DEP_3)
	v_dual_fmac_f32 v42, v36, v98 :: v_dual_fmac_f32 v45, 0, v92
	v_dual_fmac_f32 v31, v59, v92 :: v_dual_fmac_f32 v46, 0, v98
	;; [unrolled: 3-line block ×4, first 2 shown]
	s_wait_loadcnt 0x5
	s_delay_alu instid0(VALU_DEP_3) | instskip(NEXT) | instid1(VALU_DEP_3)
	v_dual_fmac_f32 v42, v72, v100 :: v_dual_fmac_f32 v31, 0x80000000, v93
	v_dual_fmac_f32 v41, 0, v94 :: v_dual_fmac_f32 v46, 0, v100
	s_delay_alu instid0(VALU_DEP_3) | instskip(NEXT) | instid1(VALU_DEP_3)
	v_dual_fmac_f32 v44, v73, v100 :: v_dual_fmac_f32 v43, 0, v94
	v_dual_fmac_f32 v42, 0x80000000, v101 :: v_dual_fmac_f32 v47, v54, v94
	;; [unrolled: 3-line block ×3, first 2 shown]
	s_delay_alu instid0(VALU_DEP_3) | instskip(SKIP_1) | instid1(VALU_DEP_3)
	v_dual_fmac_f32 v43, v53, v95 :: v_dual_fmac_f32 v42, v68, v102
	v_fmac_f32_e32 v31, v55, v94
	v_dual_fmac_f32 v44, v69, v102 :: v_dual_fmac_f32 v41, 0, v96
	v_dual_fmac_f32 v47, 0x80000000, v95 :: v_dual_fmac_f32 v46, 0, v102
	s_delay_alu instid0(VALU_DEP_4) | instskip(NEXT) | instid1(VALU_DEP_3)
	v_fmac_f32_e32 v42, 0x80000000, v103
	v_fmac_f32_e32 v44, 0x80000000, v103
	;; [unrolled: 1-line block ×4, first 2 shown]
	v_dual_fmac_f32 v43, 0, v96 :: v_dual_fmac_f32 v46, v71, v103
	s_wait_loadcnt 0x4
	v_fmac_f32_e32 v42, v64, v104
	v_fmac_f32_e32 v44, v65, v104
	;; [unrolled: 1-line block ×4, first 2 shown]
	v_dual_fmac_f32 v41, v48, v97 :: v_dual_fmac_f32 v46, 0, v104
	v_fmac_f32_e32 v42, 0x80000000, v105
	v_dual_fmac_f32 v44, 0x80000000, v105 :: v_dual_fmac_f32 v31, v51, v96
	v_fmac_f32_e32 v47, 0x80000000, v97
	s_delay_alu instid0(VALU_DEP_4) | instskip(NEXT) | instid1(VALU_DEP_4)
	v_dual_fmac_f32 v41, 0, v98 :: v_dual_fmac_f32 v46, v67, v105
	v_fmac_f32_e32 v42, v60, v106
	s_delay_alu instid0(VALU_DEP_4) | instskip(SKIP_2) | instid1(VALU_DEP_4)
	v_fmac_f32_e32 v44, v61, v106
	v_fmac_f32_e32 v43, v49, v97
	;; [unrolled: 1-line block ×3, first 2 shown]
	v_dual_fmac_f32 v31, 0x80000000, v97 :: v_dual_fmac_f32 v42, 0x80000000, v107
	s_delay_alu instid0(VALU_DEP_4) | instskip(NEXT) | instid1(VALU_DEP_3)
	v_dual_fmac_f32 v44, 0x80000000, v107 :: v_dual_fmac_f32 v47, v38, v98
	v_fmac_f32_e32 v45, 0, v98
	v_fmac_f32_e32 v46, 0, v106
	s_wait_loadcnt 0x3
	v_dual_fmac_f32 v43, 0, v98 :: v_dual_fmac_f32 v42, v80, v108
	v_dual_fmac_f32 v44, v81, v108 :: v_dual_fmac_f32 v41, v36, v99
	s_delay_alu instid0(VALU_DEP_3) | instskip(SKIP_1) | instid1(VALU_DEP_3)
	v_fmac_f32_e32 v46, v63, v107
	v_fmac_f32_e32 v31, v39, v98
	v_dual_fmac_f32 v43, v37, v99 :: v_dual_fmac_f32 v44, 0x80000000, v109
	v_dual_fmac_f32 v42, 0x80000000, v109 :: v_dual_fmac_f32 v45, v38, v99
	s_delay_alu instid0(VALU_DEP_4) | instskip(NEXT) | instid1(VALU_DEP_3)
	v_dual_fmac_f32 v46, 0, v108 :: v_dual_fmac_f32 v47, 0x80000000, v99
	v_dual_fmac_f32 v31, 0x80000000, v99 :: v_dual_fmac_f32 v44, v77, v110
	s_delay_alu instid0(VALU_DEP_3) | instskip(NEXT) | instid1(VALU_DEP_3)
	v_dual_fmac_f32 v42, v76, v110 :: v_dual_fmac_f32 v43, 0, v100
	v_dual_fmac_f32 v46, v83, v109 :: v_dual_fmac_f32 v41, 0, v100
	s_delay_alu instid0(VALU_DEP_3) | instskip(NEXT) | instid1(VALU_DEP_3)
	v_dual_fmac_f32 v47, v74, v100 :: v_dual_fmac_f32 v44, 0x80000000, v111
	v_dual_fmac_f32 v42, 0x80000000, v111 :: v_dual_fmac_f32 v43, v73, v101
	s_delay_alu instid0(VALU_DEP_3) | instskip(SKIP_1) | instid1(VALU_DEP_3)
	v_dual_fmac_f32 v46, 0, v110 :: v_dual_fmac_f32 v45, 0, v100
	s_wait_loadcnt 0x1
	v_dual_fmac_f32 v41, v72, v101 :: v_dual_fmac_f32 v44, v113, v116
	s_delay_alu instid0(VALU_DEP_3) | instskip(SKIP_2) | instid1(VALU_DEP_4)
	v_fmac_f32_e32 v42, v112, v116
	v_fmac_f32_e32 v31, v75, v100
	v_dual_fmac_f32 v46, v79, v111 :: v_dual_fmac_f32 v47, 0x80000000, v101
	v_dual_fmac_f32 v41, 0, v102 :: v_dual_fmac_f32 v44, 0x80000000, v117
	s_delay_alu instid0(VALU_DEP_4) | instskip(SKIP_1) | instid1(VALU_DEP_4)
	v_fmac_f32_e32 v42, 0x80000000, v117
	v_fmac_f32_e32 v45, v74, v101
	v_dual_fmac_f32 v31, 0x80000000, v101 :: v_dual_fmac_f32 v46, 0, v116
	v_fmac_f32_e32 v43, 0, v102
	s_wait_loadcnt 0x0
	v_fmac_f32_e32 v42, v120, v118
	v_fmac_f32_e32 v47, v70, v102
	;; [unrolled: 1-line block ×5, first 2 shown]
	v_dual_fmac_f32 v46, v115, v117 :: v_dual_fmac_f32 v41, v68, v103
	v_fmac_f32_e32 v43, v69, v103
	v_fmac_f32_e32 v42, 0x80000000, v119
	;; [unrolled: 1-line block ×8, first 2 shown]
	v_dual_fmac_f32 v31, v67, v104 :: v_dual_fmac_f32 v46, 0, v118
	v_fmac_f32_e32 v41, 0, v104
	v_fmac_f32_e32 v45, 0, v104
	;; [unrolled: 1-line block ×4, first 2 shown]
	v_dual_fmac_f32 v31, 0x80000000, v105 :: v_dual_fmac_f32 v46, v123, v119
	v_fmac_f32_e32 v41, v64, v105
	v_fmac_f32_e32 v45, v66, v105
	;; [unrolled: 1-line block ×52, first 2 shown]
	s_wait_alu 0xfffe
	s_and_not1_b32 exec_lo, exec_lo, s6
	s_cbranch_execnz .LBB131_33
; %bb.34:
	s_or_b32 exec_lo, exec_lo, s6
.LBB131_35:
	s_wait_alu 0xfffe
	s_or_b32 exec_lo, exec_lo, s2
.LBB131_36:
	s_wait_alu 0xfffe
	s_or_b32 exec_lo, exec_lo, s3
.LBB131_37:
	v_mbcnt_lo_u32_b32 v0, -1, 0
	s_delay_alu instid0(VALU_DEP_1) | instskip(SKIP_2) | instid1(VALU_DEP_3)
	v_xor_b32_e32 v1, 4, v0
	v_xor_b32_e32 v9, 2, v0
	;; [unrolled: 1-line block ×3, first 2 shown]
	v_cmp_gt_i32_e32 vcc_lo, 32, v1
	s_wait_alu 0xfffd
	v_cndmask_b32_e32 v1, v0, v1, vcc_lo
	v_cmp_gt_i32_e32 vcc_lo, 32, v9
	s_delay_alu instid0(VALU_DEP_2)
	v_lshlrev_b32_e32 v1, 2, v1
	ds_bpermute_b32 v4, v1, v44
	s_wait_dscnt 0x0
	v_add_f32_e32 v4, v44, v4
	ds_bpermute_b32 v2, v1, v42
	ds_bpermute_b32 v6, v1, v47
	;; [unrolled: 1-line block ×7, first 2 shown]
	s_wait_alu 0xfffd
	v_cndmask_b32_e32 v9, v0, v9, vcc_lo
	v_cmp_gt_i32_e32 vcc_lo, 32, v23
	s_wait_alu 0xfffd
	v_cndmask_b32_e32 v0, v0, v23, vcc_lo
	v_cmp_eq_u32_e32 vcc_lo, 7, v40
	s_wait_dscnt 0x6
	v_add_f32_e32 v2, v42, v2
	s_wait_dscnt 0x5
	v_dual_add_f32 v6, v47, v6 :: v_dual_lshlrev_b32 v9, 2, v9
	s_wait_dscnt 0x4
	v_add_f32_e32 v3, v41, v3
	s_wait_dscnt 0x3
	v_add_f32_e32 v5, v43, v5
	;; [unrolled: 2-line block ×4, first 2 shown]
	ds_bpermute_b32 v1, v9, v2
	v_add_f32_e32 v7, v45, v7
	ds_bpermute_b32 v11, v9, v3
	ds_bpermute_b32 v12, v9, v4
	;; [unrolled: 1-line block ×5, first 2 shown]
	s_wait_dscnt 0x5
	v_dual_add_f32 v0, v2, v1 :: v_dual_lshlrev_b32 v23, 2, v0
	ds_bpermute_b32 v15, v9, v7
	ds_bpermute_b32 v9, v9, v10
	s_wait_dscnt 0x5
	v_dual_add_f32 v1, v3, v11 :: v_dual_add_f32 v2, v4, v12
	s_wait_dscnt 0x3
	v_dual_add_f32 v3, v5, v13 :: v_dual_add_f32 v4, v6, v14
	s_wait_dscnt 0x2
	v_add_f32_e32 v6, v8, v22
	ds_bpermute_b32 v8, v23, v0
	ds_bpermute_b32 v11, v23, v3
	;; [unrolled: 1-line block ×4, first 2 shown]
	s_wait_dscnt 0x5
	v_add_f32_e32 v5, v7, v15
	s_wait_dscnt 0x4
	v_add_f32_e32 v7, v10, v9
	ds_bpermute_b32 v9, v23, v1
	ds_bpermute_b32 v10, v23, v2
	;; [unrolled: 1-line block ×4, first 2 shown]
	s_and_b32 exec_lo, exec_lo, vcc_lo
	s_cbranch_execz .LBB131_8
; %bb.38:
	s_load_b64 s[2:3], s[0:1], 0x58
	s_wait_dscnt 0x7
	v_add_f32_e32 v8, v0, v8
	s_wait_dscnt 0x3
	v_add_f32_e32 v0, v1, v9
	s_wait_dscnt 0x2
	v_dual_add_f32 v10, v2, v10 :: v_dual_add_f32 v1, v3, v11
	s_wait_dscnt 0x1
	v_dual_add_f32 v11, v4, v12 :: v_dual_add_f32 v2, v5, v13
	v_mul_f32_e32 v5, v18, v0
	s_wait_dscnt 0x0
	v_add_f32_e32 v3, v7, v15
	v_mul_f32_e64 v4, v0, -v19
	v_add_f32_e32 v12, v6, v14
	v_mul_f32_e64 v6, v1, -v19
	v_mul_f32_e32 v7, v18, v1
	v_mul_f32_e64 v0, v2, -v19
	v_mul_f32_e32 v1, v18, v2
	;; [unrolled: 2-line block ×3, first 2 shown]
	v_cmp_eq_f32_e32 vcc_lo, 0, v16
	v_cmp_eq_f32_e64 s0, 0, v17
	v_dual_fmac_f32 v4, v18, v8 :: v_dual_fmac_f32 v7, v19, v10
	v_fmac_f32_e32 v5, v19, v8
	v_lshlrev_b64_e32 v[8:9], 5, v[20:21]
	v_dual_fmac_f32 v6, v18, v10 :: v_dual_fmac_f32 v1, v19, v11
	v_dual_fmac_f32 v0, v18, v11 :: v_dual_fmac_f32 v3, v19, v12
	v_fmac_f32_e32 v2, v18, v12
	s_and_b32 s0, vcc_lo, s0
	s_wait_alu 0xfffe
	s_and_saveexec_b32 s1, s0
	s_wait_alu 0xfffe
	s_xor_b32 s0, exec_lo, s1
	s_cbranch_execz .LBB131_40
; %bb.39:
	s_wait_kmcnt 0x0
	v_add_co_u32 v8, vcc_lo, s2, v8
	s_wait_alu 0xfffd
	v_add_co_ci_u32_e64 v9, null, s3, v9, vcc_lo
                                        ; implicit-def: $vgpr16_vgpr17
	s_clause 0x1
	global_store_b128 v[8:9], v[4:7], off
	global_store_b128 v[8:9], v[0:3], off offset:16
                                        ; implicit-def: $vgpr4
                                        ; implicit-def: $vgpr8_vgpr9
                                        ; implicit-def: $vgpr0
.LBB131_40:
	s_wait_alu 0xfffe
	s_and_not1_saveexec_b32 s0, s0
	s_cbranch_execz .LBB131_8
; %bb.41:
	s_wait_kmcnt 0x0
	v_add_co_u32 v18, vcc_lo, s2, v8
	s_wait_alu 0xfffd
	v_add_co_ci_u32_e64 v19, null, s3, v9, vcc_lo
	s_clause 0x1
	global_load_b128 v[8:11], v[18:19], off
	global_load_b128 v[12:15], v[18:19], off offset:16
	s_wait_loadcnt 0x1
	v_dual_fmac_f32 v4, v16, v8 :: v_dual_fmac_f32 v7, v17, v10
	v_dual_fmac_f32 v5, v17, v8 :: v_dual_fmac_f32 v6, v16, v10
	s_wait_loadcnt 0x0
	v_dual_fmac_f32 v0, v16, v12 :: v_dual_fmac_f32 v3, v17, v14
	v_dual_fmac_f32 v1, v17, v12 :: v_dual_fmac_f32 v2, v16, v14
	v_fma_f32 v4, -v17, v9, v4
	v_fmac_f32_e32 v5, v16, v9
	v_fma_f32 v6, -v17, v11, v6
	v_fmac_f32_e32 v7, v16, v11
	;; [unrolled: 2-line block ×4, first 2 shown]
	s_clause 0x1
	global_store_b128 v[18:19], v[4:7], off
	global_store_b128 v[18:19], v[0:3], off offset:16
	s_nop 0
	s_sendmsg sendmsg(MSG_DEALLOC_VGPRS)
	s_endpgm
	.section	.rodata,"a",@progbits
	.p2align	6, 0x0
	.amdhsa_kernel _ZN9rocsparseL18bsrxmvn_4x4_kernelILj128ELj8E21rocsparse_complex_numIfEllfS2_S2_EEvT3_20rocsparse_direction_NS_24const_host_device_scalarIT1_EES3_PKS3_PKT2_SC_S9_PKT4_PKT5_S7_PT6_21rocsparse_index_base_b
		.amdhsa_group_segment_fixed_size 0
		.amdhsa_private_segment_fixed_size 0
		.amdhsa_kernarg_size 104
		.amdhsa_user_sgpr_count 2
		.amdhsa_user_sgpr_dispatch_ptr 0
		.amdhsa_user_sgpr_queue_ptr 0
		.amdhsa_user_sgpr_kernarg_segment_ptr 1
		.amdhsa_user_sgpr_dispatch_id 0
		.amdhsa_user_sgpr_private_segment_size 0
		.amdhsa_wavefront_size32 1
		.amdhsa_uses_dynamic_stack 0
		.amdhsa_enable_private_segment 0
		.amdhsa_system_sgpr_workgroup_id_x 1
		.amdhsa_system_sgpr_workgroup_id_y 0
		.amdhsa_system_sgpr_workgroup_id_z 0
		.amdhsa_system_sgpr_workgroup_info 0
		.amdhsa_system_vgpr_workitem_id 0
		.amdhsa_next_free_vgpr 128
		.amdhsa_next_free_sgpr 12
		.amdhsa_reserve_vcc 1
		.amdhsa_float_round_mode_32 0
		.amdhsa_float_round_mode_16_64 0
		.amdhsa_float_denorm_mode_32 3
		.amdhsa_float_denorm_mode_16_64 3
		.amdhsa_fp16_overflow 0
		.amdhsa_workgroup_processor_mode 1
		.amdhsa_memory_ordered 1
		.amdhsa_forward_progress 1
		.amdhsa_inst_pref_size 63
		.amdhsa_round_robin_scheduling 0
		.amdhsa_exception_fp_ieee_invalid_op 0
		.amdhsa_exception_fp_denorm_src 0
		.amdhsa_exception_fp_ieee_div_zero 0
		.amdhsa_exception_fp_ieee_overflow 0
		.amdhsa_exception_fp_ieee_underflow 0
		.amdhsa_exception_fp_ieee_inexact 0
		.amdhsa_exception_int_div_zero 0
	.end_amdhsa_kernel
	.section	.text._ZN9rocsparseL18bsrxmvn_4x4_kernelILj128ELj8E21rocsparse_complex_numIfEllfS2_S2_EEvT3_20rocsparse_direction_NS_24const_host_device_scalarIT1_EES3_PKS3_PKT2_SC_S9_PKT4_PKT5_S7_PT6_21rocsparse_index_base_b,"axG",@progbits,_ZN9rocsparseL18bsrxmvn_4x4_kernelILj128ELj8E21rocsparse_complex_numIfEllfS2_S2_EEvT3_20rocsparse_direction_NS_24const_host_device_scalarIT1_EES3_PKS3_PKT2_SC_S9_PKT4_PKT5_S7_PT6_21rocsparse_index_base_b,comdat
.Lfunc_end131:
	.size	_ZN9rocsparseL18bsrxmvn_4x4_kernelILj128ELj8E21rocsparse_complex_numIfEllfS2_S2_EEvT3_20rocsparse_direction_NS_24const_host_device_scalarIT1_EES3_PKS3_PKT2_SC_S9_PKT4_PKT5_S7_PT6_21rocsparse_index_base_b, .Lfunc_end131-_ZN9rocsparseL18bsrxmvn_4x4_kernelILj128ELj8E21rocsparse_complex_numIfEllfS2_S2_EEvT3_20rocsparse_direction_NS_24const_host_device_scalarIT1_EES3_PKS3_PKT2_SC_S9_PKT4_PKT5_S7_PT6_21rocsparse_index_base_b
                                        ; -- End function
	.set _ZN9rocsparseL18bsrxmvn_4x4_kernelILj128ELj8E21rocsparse_complex_numIfEllfS2_S2_EEvT3_20rocsparse_direction_NS_24const_host_device_scalarIT1_EES3_PKS3_PKT2_SC_S9_PKT4_PKT5_S7_PT6_21rocsparse_index_base_b.num_vgpr, 128
	.set _ZN9rocsparseL18bsrxmvn_4x4_kernelILj128ELj8E21rocsparse_complex_numIfEllfS2_S2_EEvT3_20rocsparse_direction_NS_24const_host_device_scalarIT1_EES3_PKS3_PKT2_SC_S9_PKT4_PKT5_S7_PT6_21rocsparse_index_base_b.num_agpr, 0
	.set _ZN9rocsparseL18bsrxmvn_4x4_kernelILj128ELj8E21rocsparse_complex_numIfEllfS2_S2_EEvT3_20rocsparse_direction_NS_24const_host_device_scalarIT1_EES3_PKS3_PKT2_SC_S9_PKT4_PKT5_S7_PT6_21rocsparse_index_base_b.numbered_sgpr, 12
	.set _ZN9rocsparseL18bsrxmvn_4x4_kernelILj128ELj8E21rocsparse_complex_numIfEllfS2_S2_EEvT3_20rocsparse_direction_NS_24const_host_device_scalarIT1_EES3_PKS3_PKT2_SC_S9_PKT4_PKT5_S7_PT6_21rocsparse_index_base_b.num_named_barrier, 0
	.set _ZN9rocsparseL18bsrxmvn_4x4_kernelILj128ELj8E21rocsparse_complex_numIfEllfS2_S2_EEvT3_20rocsparse_direction_NS_24const_host_device_scalarIT1_EES3_PKS3_PKT2_SC_S9_PKT4_PKT5_S7_PT6_21rocsparse_index_base_b.private_seg_size, 0
	.set _ZN9rocsparseL18bsrxmvn_4x4_kernelILj128ELj8E21rocsparse_complex_numIfEllfS2_S2_EEvT3_20rocsparse_direction_NS_24const_host_device_scalarIT1_EES3_PKS3_PKT2_SC_S9_PKT4_PKT5_S7_PT6_21rocsparse_index_base_b.uses_vcc, 1
	.set _ZN9rocsparseL18bsrxmvn_4x4_kernelILj128ELj8E21rocsparse_complex_numIfEllfS2_S2_EEvT3_20rocsparse_direction_NS_24const_host_device_scalarIT1_EES3_PKS3_PKT2_SC_S9_PKT4_PKT5_S7_PT6_21rocsparse_index_base_b.uses_flat_scratch, 0
	.set _ZN9rocsparseL18bsrxmvn_4x4_kernelILj128ELj8E21rocsparse_complex_numIfEllfS2_S2_EEvT3_20rocsparse_direction_NS_24const_host_device_scalarIT1_EES3_PKS3_PKT2_SC_S9_PKT4_PKT5_S7_PT6_21rocsparse_index_base_b.has_dyn_sized_stack, 0
	.set _ZN9rocsparseL18bsrxmvn_4x4_kernelILj128ELj8E21rocsparse_complex_numIfEllfS2_S2_EEvT3_20rocsparse_direction_NS_24const_host_device_scalarIT1_EES3_PKS3_PKT2_SC_S9_PKT4_PKT5_S7_PT6_21rocsparse_index_base_b.has_recursion, 0
	.set _ZN9rocsparseL18bsrxmvn_4x4_kernelILj128ELj8E21rocsparse_complex_numIfEllfS2_S2_EEvT3_20rocsparse_direction_NS_24const_host_device_scalarIT1_EES3_PKS3_PKT2_SC_S9_PKT4_PKT5_S7_PT6_21rocsparse_index_base_b.has_indirect_call, 0
	.section	.AMDGPU.csdata,"",@progbits
; Kernel info:
; codeLenInByte = 7956
; TotalNumSgprs: 14
; NumVgprs: 128
; ScratchSize: 0
; MemoryBound: 0
; FloatMode: 240
; IeeeMode: 1
; LDSByteSize: 0 bytes/workgroup (compile time only)
; SGPRBlocks: 0
; VGPRBlocks: 15
; NumSGPRsForWavesPerEU: 14
; NumVGPRsForWavesPerEU: 128
; Occupancy: 10
; WaveLimiterHint : 1
; COMPUTE_PGM_RSRC2:SCRATCH_EN: 0
; COMPUTE_PGM_RSRC2:USER_SGPR: 2
; COMPUTE_PGM_RSRC2:TRAP_HANDLER: 0
; COMPUTE_PGM_RSRC2:TGID_X_EN: 1
; COMPUTE_PGM_RSRC2:TGID_Y_EN: 0
; COMPUTE_PGM_RSRC2:TGID_Z_EN: 0
; COMPUTE_PGM_RSRC2:TIDIG_COMP_CNT: 0
	.section	.text._ZN9rocsparseL18bsrxmvn_4x4_kernelILj128ELj16E21rocsparse_complex_numIfEllfS2_S2_EEvT3_20rocsparse_direction_NS_24const_host_device_scalarIT1_EES3_PKS3_PKT2_SC_S9_PKT4_PKT5_S7_PT6_21rocsparse_index_base_b,"axG",@progbits,_ZN9rocsparseL18bsrxmvn_4x4_kernelILj128ELj16E21rocsparse_complex_numIfEllfS2_S2_EEvT3_20rocsparse_direction_NS_24const_host_device_scalarIT1_EES3_PKS3_PKT2_SC_S9_PKT4_PKT5_S7_PT6_21rocsparse_index_base_b,comdat
	.globl	_ZN9rocsparseL18bsrxmvn_4x4_kernelILj128ELj16E21rocsparse_complex_numIfEllfS2_S2_EEvT3_20rocsparse_direction_NS_24const_host_device_scalarIT1_EES3_PKS3_PKT2_SC_S9_PKT4_PKT5_S7_PT6_21rocsparse_index_base_b ; -- Begin function _ZN9rocsparseL18bsrxmvn_4x4_kernelILj128ELj16E21rocsparse_complex_numIfEllfS2_S2_EEvT3_20rocsparse_direction_NS_24const_host_device_scalarIT1_EES3_PKS3_PKT2_SC_S9_PKT4_PKT5_S7_PT6_21rocsparse_index_base_b
	.p2align	8
	.type	_ZN9rocsparseL18bsrxmvn_4x4_kernelILj128ELj16E21rocsparse_complex_numIfEllfS2_S2_EEvT3_20rocsparse_direction_NS_24const_host_device_scalarIT1_EES3_PKS3_PKT2_SC_S9_PKT4_PKT5_S7_PT6_21rocsparse_index_base_b,@function
_ZN9rocsparseL18bsrxmvn_4x4_kernelILj128ELj16E21rocsparse_complex_numIfEllfS2_S2_EEvT3_20rocsparse_direction_NS_24const_host_device_scalarIT1_EES3_PKS3_PKT2_SC_S9_PKT4_PKT5_S7_PT6_21rocsparse_index_base_b: ; @_ZN9rocsparseL18bsrxmvn_4x4_kernelILj128ELj16E21rocsparse_complex_numIfEllfS2_S2_EEvT3_20rocsparse_direction_NS_24const_host_device_scalarIT1_EES3_PKS3_PKT2_SC_S9_PKT4_PKT5_S7_PT6_21rocsparse_index_base_b
; %bb.0:
	s_clause 0x2
	s_load_b64 s[8:9], s[0:1], 0x60
	s_load_b128 s[4:7], s[0:1], 0x10
	s_load_b64 s[2:3], s[0:1], 0x50
	s_add_nc_u64 s[10:11], s[0:1], 16
	s_wait_kmcnt 0x0
	s_bitcmp1_b32 s9, 0
	s_cselect_b32 s4, s10, s4
	s_cselect_b32 s5, s11, s5
	s_delay_alu instid0(SALU_CYCLE_1)
	v_dual_mov_b32 v1, s4 :: v_dual_mov_b32 v2, s5
	s_add_nc_u64 s[4:5], s[0:1], 0x50
	s_wait_alu 0xfffe
	s_cselect_b32 s2, s4, s2
	s_cselect_b32 s3, s5, s3
	flat_load_b64 v[18:19], v[1:2]
	v_dual_mov_b32 v1, s2 :: v_dual_mov_b32 v2, s3
	flat_load_b64 v[16:17], v[1:2]
	s_wait_loadcnt_dscnt 0x101
	v_cmp_eq_f32_e32 vcc_lo, 0, v18
	v_cmp_eq_f32_e64 s2, 0, v19
	s_and_b32 s4, vcc_lo, s2
	s_mov_b32 s2, -1
	s_wait_alu 0xfffe
	s_and_saveexec_b32 s3, s4
	s_cbranch_execz .LBB132_2
; %bb.1:
	s_wait_loadcnt_dscnt 0x0
	v_cmp_neq_f32_e32 vcc_lo, 1.0, v16
	v_cmp_neq_f32_e64 s2, 0, v17
	s_or_b32 s2, vcc_lo, s2
	s_wait_alu 0xfffe
	s_or_not1_b32 s2, s2, exec_lo
.LBB132_2:
	s_wait_alu 0xfffe
	s_or_b32 exec_lo, exec_lo, s3
	s_and_saveexec_b32 s3, s2
	s_cbranch_execz .LBB132_8
; %bb.3:
	s_load_b64 s[2:3], s[0:1], 0x20
	v_lshrrev_b32_e32 v1, 4, v0
	v_mov_b32_e32 v2, 0
	s_delay_alu instid0(VALU_DEP_2)
	v_lshl_or_b32 v1, ttmp9, 3, v1
	s_wait_kmcnt 0x0
	s_cmp_lg_u64 s[2:3], 0
	s_cbranch_scc0 .LBB132_9
; %bb.4:
	s_delay_alu instid0(VALU_DEP_1)
	v_cmp_gt_i64_e32 vcc_lo, s[6:7], v[1:2]
	s_mov_b32 s5, 0
	s_mov_b32 s4, 0
                                        ; implicit-def: $vgpr20_vgpr21
                                        ; implicit-def: $vgpr22_vgpr23
	s_and_saveexec_b32 s6, vcc_lo
	s_wait_alu 0xfffe
	s_xor_b32 s6, exec_lo, s6
	s_cbranch_execz .LBB132_6
; %bb.5:
	v_lshlrev_b64_e32 v[3:4], 3, v[1:2]
	s_mov_b32 s9, 0
	s_mov_b32 s4, exec_lo
	v_dual_mov_b32 v23, s9 :: v_dual_mov_b32 v22, s8
	s_delay_alu instid0(VALU_DEP_2) | instskip(NEXT) | instid1(VALU_DEP_1)
	v_add_co_u32 v3, vcc_lo, s2, v3
	v_add_co_ci_u32_e64 v4, null, s3, v4, vcc_lo
	global_load_b64 v[3:4], v[3:4], off
	s_wait_loadcnt 0x0
	v_sub_co_u32 v20, vcc_lo, v3, s8
	s_wait_alu 0xfffd
	v_subrev_co_ci_u32_e64 v21, null, 0, v4, vcc_lo
.LBB132_6:
	s_wait_alu 0xfffe
	s_or_b32 exec_lo, exec_lo, s6
	s_delay_alu instid0(SALU_CYCLE_1)
	s_and_b32 vcc_lo, exec_lo, s5
	s_wait_alu 0xfffe
	s_cbranch_vccnz .LBB132_10
.LBB132_7:
	s_wait_alu 0xfffe
	s_and_b32 exec_lo, exec_lo, s4
	s_cbranch_execnz .LBB132_13
.LBB132_8:
	s_nop 0
	s_sendmsg sendmsg(MSG_DEALLOC_VGPRS)
	s_endpgm
.LBB132_9:
	s_mov_b32 s4, 0
                                        ; implicit-def: $vgpr20_vgpr21
                                        ; implicit-def: $vgpr22_vgpr23
	s_cbranch_execz .LBB132_7
.LBB132_10:
	s_load_b64 s[2:3], s[0:1], 0x0
	s_wait_kmcnt 0x0
	v_cmp_gt_i64_e32 vcc_lo, s[2:3], v[1:2]
	s_and_saveexec_b32 s2, vcc_lo
; %bb.11:
	s_mov_b32 s9, 0
	s_or_b32 s4, s4, exec_lo
; %bb.12:
	s_wait_alu 0xfffe
	s_or_b32 exec_lo, exec_lo, s2
	v_dual_mov_b32 v23, s9 :: v_dual_mov_b32 v22, s8
	v_dual_mov_b32 v21, v2 :: v_dual_mov_b32 v20, v1
	s_and_b32 exec_lo, exec_lo, s4
	s_cbranch_execz .LBB132_8
.LBB132_13:
	s_load_b256 s[4:11], s[0:1], 0x28
	s_delay_alu instid0(VALU_DEP_1) | instskip(SKIP_3) | instid1(VALU_DEP_2)
	v_lshlrev_b64_e32 v[1:2], 3, v[20:21]
	v_dual_mov_b32 v41, 0 :: v_dual_and_b32 v40, 15, v0
	s_load_b32 s3, s[0:1], 0x8
	s_wait_kmcnt 0x0
	v_add_co_u32 v3, vcc_lo, s4, v1
	s_wait_alu 0xfffd
	v_add_co_ci_u32_e64 v4, null, s5, v2, vcc_lo
	v_add_co_u32 v1, vcc_lo, s6, v1
	s_wait_alu 0xfffd
	v_add_co_ci_u32_e64 v2, null, s7, v2, vcc_lo
	v_add_co_u32 v5, vcc_lo, v3, 8
	global_load_b64 v[32:33], v[3:4], off
	s_wait_alu 0xfffd
	v_add_co_ci_u32_e64 v6, null, 0, v4, vcc_lo
	s_cmp_eq_u64 s[6:7], 0
	s_load_b64 s[4:5], s[0:1], 0x48
	s_cselect_b32 vcc_lo, -1, 0
	s_cmp_eq_u32 s3, 1
	s_wait_alu 0xfffe
	v_dual_cndmask_b32 v2, v2, v6 :: v_dual_cndmask_b32 v1, v1, v5
	global_load_b64 v[1:2], v[1:2], off
	s_wait_loadcnt 0x1
	v_sub_co_u32 v0, vcc_lo, v32, v22
	s_wait_alu 0xfffd
	v_sub_co_ci_u32_e64 v3, null, v33, v23, vcc_lo
	s_delay_alu instid0(VALU_DEP_2) | instskip(SKIP_1) | instid1(VALU_DEP_2)
	v_add_co_u32 v24, vcc_lo, v0, v40
	s_wait_alu 0xfffd
	v_add_co_ci_u32_e64 v25, null, 0, v3, vcc_lo
	s_wait_loadcnt 0x0
	v_sub_co_u32 v26, vcc_lo, v1, v22
	s_delay_alu instid0(VALU_DEP_2) | instskip(SKIP_2) | instid1(VALU_DEP_2)
	v_lshlrev_b64_e32 v[0:1], 6, v[24:25]
	s_wait_alu 0xfffd
	v_sub_co_ci_u32_e64 v27, null, v2, v23, vcc_lo
	v_add_co_u32 v28, vcc_lo, s10, v0
	s_delay_alu instid0(VALU_DEP_2)
	v_cmp_lt_i64_e64 s2, v[24:25], v[26:27]
	s_wait_alu 0xfffd
	v_add_co_ci_u32_e64 v29, null, s11, v1, vcc_lo
	s_cbranch_scc1 .LBB132_25
; %bb.14:
	v_dual_mov_b32 v42, 0 :: v_dual_mov_b32 v43, 0
	v_dual_mov_b32 v44, 0 :: v_dual_mov_b32 v45, 0
	;; [unrolled: 1-line block ×3, first 2 shown]
	v_mov_b32_e32 v31, 0
	s_and_saveexec_b32 s6, s2
	s_cbranch_execz .LBB132_24
; %bb.15:
	v_or_b32_e32 v0, 16, v40
	v_not_b32_e32 v3, v32
	v_sub_co_u32 v4, s3, v22, v40
	v_not_b32_e32 v2, v33
	s_delay_alu instid0(VALU_DEP_4)
	v_sub_co_u32 v0, vcc_lo, v0, v22
	s_wait_alu 0xfffd
	v_sub_co_ci_u32_e64 v1, null, 0, v23, vcc_lo
	s_wait_alu 0xf1ff
	v_subrev_co_ci_u32_e64 v5, null, 0, v23, s3
	v_add_co_u32 v0, vcc_lo, v0, v32
	s_wait_alu 0xfffd
	v_add_co_ci_u32_e64 v1, null, v1, v33, vcc_lo
	v_mov_b32_e32 v35, v29
	v_dual_mov_b32 v37, v25 :: v_dual_mov_b32 v36, v24
	s_delay_alu instid0(VALU_DEP_3)
	v_cmp_gt_i64_e32 vcc_lo, v[0:1], v[26:27]
	v_mov_b32_e32 v31, 0
	s_mov_b32 s3, exec_lo
	s_wait_alu 0xfffd
	v_dual_mov_b32 v34, v28 :: v_dual_cndmask_b32 v1, v27, v1
	v_cndmask_b32_e32 v0, v26, v0, vcc_lo
	v_add_co_u32 v3, vcc_lo, v4, v3
	s_wait_alu 0xfffd
	v_add_co_ci_u32_e64 v2, null, v5, v2, vcc_lo
	v_dual_mov_b32 v46, v31 :: v_dual_mov_b32 v47, v31
	s_delay_alu instid0(VALU_DEP_3) | instskip(SKIP_2) | instid1(VALU_DEP_3)
	v_add_co_u32 v0, vcc_lo, v3, v0
	v_dual_mov_b32 v45, v31 :: v_dual_mov_b32 v44, v31
	v_dual_mov_b32 v43, v31 :: v_dual_mov_b32 v42, v31
	v_and_b32_e32 v30, 48, v0
	s_wait_alu 0xfffd
	v_add_co_ci_u32_e64 v1, null, v2, v1, vcc_lo
	v_mov_b32_e32 v41, v31
	s_delay_alu instid0(VALU_DEP_3)
	v_cmpx_ne_u64_e32 48, v[30:31]
	s_cbranch_execz .LBB132_19
; %bb.16:
	v_lshrrev_b32_e32 v2, 4, v0
	v_mov_b32_e32 v41, 0
	v_dual_mov_b32 v37, v25 :: v_dual_mov_b32 v36, v24
	v_dual_mov_b32 v35, v29 :: v_dual_mov_b32 v34, v28
	s_delay_alu instid0(VALU_DEP_4) | instskip(SKIP_2) | instid1(VALU_DEP_3)
	v_add_nc_u32_e32 v4, 1, v2
	v_lshlrev_b64_e32 v[2:3], 3, v[24:25]
	v_dual_mov_b32 v42, 0 :: v_dual_mov_b32 v43, 0
	v_dual_mov_b32 v45, 0 :: v_dual_and_b32 v4, 3, v4
	v_dual_mov_b32 v44, 0 :: v_dual_mov_b32 v47, 0
	s_delay_alu instid0(VALU_DEP_4) | instskip(NEXT) | instid1(VALU_DEP_3)
	v_add_co_u32 v2, vcc_lo, s8, v2
	v_sub_co_u32 v4, s7, 0, v4
	s_wait_alu 0xfffd
	v_add_co_ci_u32_e64 v3, null, s9, v3, vcc_lo
	s_wait_alu 0xf1ff
	v_sub_co_ci_u32_e64 v5, null, 0, 0, s7
	v_dual_mov_b32 v46, 0 :: v_dual_mov_b32 v31, 0
	s_mov_b32 s7, 0
.LBB132_17:                             ; =>This Inner Loop Header: Depth=1
	global_load_b64 v[14:15], v[2:3], off
	s_clause 0x3
	global_load_b128 v[6:9], v[34:35], off offset:48
	global_load_b128 v[10:13], v[34:35], off offset:32
	;; [unrolled: 1-line block ×3, first 2 shown]
	global_load_b128 v[52:55], v[34:35], off
	s_wait_loadcnt 0x4
	v_sub_co_u32 v14, vcc_lo, v14, v22
	s_wait_alu 0xfffd
	v_sub_co_ci_u32_e64 v15, null, v15, v23, vcc_lo
	s_delay_alu instid0(VALU_DEP_1) | instskip(SKIP_1) | instid1(VALU_DEP_1)
	v_lshlrev_b64_e32 v[14:15], 5, v[14:15]
	s_wait_kmcnt 0x0
	v_add_co_u32 v14, vcc_lo, s4, v14
	s_wait_alu 0xfffd
	s_delay_alu instid0(VALU_DEP_2)
	v_add_co_ci_u32_e64 v15, null, s5, v15, vcc_lo
	v_add_co_u32 v34, vcc_lo, 0x400, v34
	s_wait_alu 0xfffd
	v_add_co_ci_u32_e64 v35, null, 0, v35, vcc_lo
	s_clause 0x1
	global_load_b128 v[56:59], v[14:15], off
	global_load_b128 v[60:63], v[14:15], off offset:16
	v_add_co_u32 v36, vcc_lo, v36, 16
	s_wait_alu 0xfffd
	v_add_co_ci_u32_e64 v37, null, 0, v37, vcc_lo
	v_add_co_u32 v4, vcc_lo, v4, 1
	s_wait_alu 0xfffd
	v_add_co_ci_u32_e64 v5, null, 0, v5, vcc_lo
	;; [unrolled: 3-line block ×3, first 2 shown]
	s_delay_alu instid0(VALU_DEP_3) | instskip(SKIP_4) | instid1(VALU_DEP_1)
	v_cmp_eq_u64_e32 vcc_lo, 0, v[4:5]
	s_wait_alu 0xfffe
	s_or_b32 s7, vcc_lo, s7
	s_wait_loadcnt 0x1
	v_fmac_f32_e32 v47, v10, v56
	v_dual_fmac_f32 v42, v52, v56 :: v_dual_fmac_f32 v47, 0x80000000, v57
	s_delay_alu instid0(VALU_DEP_1) | instskip(NEXT) | instid1(VALU_DEP_1)
	v_dual_fmac_f32 v41, 0, v56 :: v_dual_fmac_f32 v42, 0x80000000, v57
	v_dual_fmac_f32 v46, 0, v56 :: v_dual_fmac_f32 v41, v52, v57
	s_delay_alu instid0(VALU_DEP_1) | instskip(SKIP_1) | instid1(VALU_DEP_2)
	v_dual_fmac_f32 v45, 0, v56 :: v_dual_fmac_f32 v46, v6, v57
	v_fmac_f32_e32 v44, v48, v56
	v_dual_fmac_f32 v42, v53, v58 :: v_dual_fmac_f32 v45, v10, v57
	s_delay_alu instid0(VALU_DEP_2) | instskip(NEXT) | instid1(VALU_DEP_4)
	v_dual_fmac_f32 v43, 0, v56 :: v_dual_fmac_f32 v44, 0x80000000, v57
	v_dual_fmac_f32 v31, v6, v56 :: v_dual_fmac_f32 v46, 0, v58
	s_delay_alu instid0(VALU_DEP_2) | instskip(NEXT) | instid1(VALU_DEP_2)
	v_dual_fmac_f32 v42, 0x80000000, v59 :: v_dual_fmac_f32 v43, v48, v57
	v_dual_fmac_f32 v44, v49, v58 :: v_dual_fmac_f32 v31, 0x80000000, v57
	s_delay_alu instid0(VALU_DEP_3) | instskip(NEXT) | instid1(VALU_DEP_2)
	v_dual_fmac_f32 v41, 0, v58 :: v_dual_fmac_f32 v46, v7, v59
	v_dual_fmac_f32 v43, 0, v58 :: v_dual_fmac_f32 v44, 0x80000000, v59
	s_wait_loadcnt 0x0
	v_dual_fmac_f32 v47, v11, v58 :: v_dual_fmac_f32 v42, v54, v60
	v_fmac_f32_e32 v45, 0, v58
	v_dual_fmac_f32 v31, v7, v58 :: v_dual_fmac_f32 v46, 0, v60
	v_dual_fmac_f32 v44, v50, v60 :: v_dual_fmac_f32 v41, v53, v59
	s_delay_alu instid0(VALU_DEP_4) | instskip(NEXT) | instid1(VALU_DEP_3)
	v_dual_fmac_f32 v42, 0x80000000, v61 :: v_dual_fmac_f32 v43, v49, v59
	v_dual_fmac_f32 v47, 0x80000000, v59 :: v_dual_fmac_f32 v46, v8, v61
	v_fmac_f32_e32 v45, v11, v59
	s_delay_alu instid0(VALU_DEP_3) | instskip(SKIP_2) | instid1(VALU_DEP_3)
	v_dual_fmac_f32 v31, 0x80000000, v59 :: v_dual_fmac_f32 v42, v55, v62
	v_dual_fmac_f32 v44, 0x80000000, v61 :: v_dual_fmac_f32 v41, 0, v60
	v_fmac_f32_e32 v43, 0, v60
	v_dual_fmac_f32 v31, v8, v60 :: v_dual_fmac_f32 v46, 0, v62
	s_delay_alu instid0(VALU_DEP_3) | instskip(SKIP_2) | instid1(VALU_DEP_4)
	v_dual_fmac_f32 v45, 0, v60 :: v_dual_fmac_f32 v44, v51, v62
	v_fmac_f32_e32 v47, v12, v60
	v_fmac_f32_e32 v41, v54, v61
	v_dual_fmac_f32 v31, 0x80000000, v61 :: v_dual_fmac_f32 v42, 0x80000000, v63
	s_delay_alu instid0(VALU_DEP_4) | instskip(NEXT) | instid1(VALU_DEP_4)
	v_dual_fmac_f32 v43, v50, v61 :: v_dual_fmac_f32 v44, 0x80000000, v63
	v_dual_fmac_f32 v47, 0x80000000, v61 :: v_dual_fmac_f32 v46, v9, v63
	v_fmac_f32_e32 v45, v12, v61
	v_fmac_f32_e32 v41, 0, v62
	s_delay_alu instid0(VALU_DEP_4) | instskip(NEXT) | instid1(VALU_DEP_4)
	v_fmac_f32_e32 v43, 0, v62
	v_fmac_f32_e32 v47, v13, v62
	;; [unrolled: 1-line block ×9, first 2 shown]
	s_wait_alu 0xfffe
	s_and_not1_b32 exec_lo, exec_lo, s7
	s_cbranch_execnz .LBB132_17
; %bb.18:
	s_or_b32 exec_lo, exec_lo, s7
.LBB132_19:
	s_wait_alu 0xfffe
	s_or_b32 exec_lo, exec_lo, s3
	s_delay_alu instid0(SALU_CYCLE_1)
	s_mov_b32 s3, exec_lo
	v_cmpx_lt_u64_e32 47, v[0:1]
	s_cbranch_execz .LBB132_23
; %bb.20:
	v_lshlrev_b64_e32 v[0:1], 3, v[36:37]
	s_mov_b32 s7, 0
	s_delay_alu instid0(VALU_DEP_1) | instskip(SKIP_1) | instid1(VALU_DEP_2)
	v_add_co_u32 v0, vcc_lo, s8, v0
	s_wait_alu 0xfffd
	v_add_co_ci_u32_e64 v1, null, s9, v1, vcc_lo
	s_delay_alu instid0(VALU_DEP_2) | instskip(SKIP_1) | instid1(VALU_DEP_2)
	v_add_co_u32 v38, vcc_lo, 0x100, v0
	s_wait_alu 0xfffd
	v_add_co_ci_u32_e64 v39, null, 0, v1, vcc_lo
.LBB132_21:                             ; =>This Inner Loop Header: Depth=1
	s_clause 0x3
	global_load_b64 v[96:97], v[38:39], off offset:-256
	global_load_b64 v[98:99], v[38:39], off offset:-128
	global_load_b64 v[100:101], v[38:39], off
	global_load_b64 v[102:103], v[38:39], off offset:128
	s_clause 0xf
	global_load_b128 v[48:51], v[34:35], off offset:48
	global_load_b128 v[52:55], v[34:35], off offset:32
	;; [unrolled: 1-line block ×3, first 2 shown]
	global_load_b128 v[60:63], v[34:35], off
	global_load_b128 v[64:67], v[34:35], off offset:1072
	global_load_b128 v[68:71], v[34:35], off offset:1056
	;; [unrolled: 1-line block ×12, first 2 shown]
	s_wait_loadcnt 0x13
	v_sub_co_u32 v96, vcc_lo, v96, v22
	s_wait_alu 0xfffd
	v_sub_co_ci_u32_e64 v97, null, v97, v23, vcc_lo
	s_wait_loadcnt 0x12
	v_sub_co_u32 v98, vcc_lo, v98, v22
	s_wait_alu 0xfffd
	v_sub_co_ci_u32_e64 v99, null, v99, v23, vcc_lo
	;; [unrolled: 4-line block ×3, first 2 shown]
	s_wait_loadcnt 0x10
	v_sub_co_u32 v102, vcc_lo, v102, v22
	v_lshlrev_b64_e32 v[96:97], 5, v[96:97]
	s_wait_alu 0xfffd
	v_sub_co_ci_u32_e64 v103, null, v103, v23, vcc_lo
	v_lshlrev_b64_e32 v[98:99], 5, v[98:99]
	v_lshlrev_b64_e32 v[100:101], 5, v[100:101]
	s_delay_alu instid0(VALU_DEP_3)
	v_lshlrev_b64_e32 v[102:103], 5, v[102:103]
	s_wait_kmcnt 0x0
	v_add_co_u32 v104, vcc_lo, s4, v96
	s_wait_alu 0xfffd
	v_add_co_ci_u32_e64 v105, null, s5, v97, vcc_lo
	v_add_co_u32 v108, vcc_lo, s4, v98
	s_wait_alu 0xfffd
	v_add_co_ci_u32_e64 v109, null, s5, v99, vcc_lo
	v_add_co_u32 v116, vcc_lo, s4, v100
	s_wait_alu 0xfffd
	v_add_co_ci_u32_e64 v117, null, s5, v101, vcc_lo
	v_add_co_u32 v124, vcc_lo, s4, v102
	s_wait_alu 0xfffd
	v_add_co_ci_u32_e64 v125, null, s5, v103, vcc_lo
	s_clause 0x7
	global_load_b128 v[96:99], v[104:105], off
	global_load_b128 v[100:103], v[104:105], off offset:16
	global_load_b128 v[104:107], v[108:109], off
	global_load_b128 v[108:111], v[108:109], off offset:16
	;; [unrolled: 2-line block ×4, first 2 shown]
	v_add_co_u32 v36, vcc_lo, v36, 64
	s_wait_alu 0xfffd
	v_add_co_ci_u32_e64 v37, null, 0, v37, vcc_lo
	v_add_co_u32 v34, vcc_lo, 0x1000, v34
	s_wait_alu 0xfffd
	v_add_co_ci_u32_e64 v35, null, 0, v35, vcc_lo
	;; [unrolled: 3-line block ×3, first 2 shown]
	v_cmp_ge_i64_e32 vcc_lo, v[36:37], v[26:27]
	s_wait_alu 0xfffe
	s_or_b32 s7, vcc_lo, s7
	s_wait_loadcnt 0x7
	v_fmac_f32_e32 v47, v52, v96
	v_fmac_f32_e32 v42, v60, v96
	;; [unrolled: 1-line block ×3, first 2 shown]
	s_delay_alu instid0(VALU_DEP_3) | instskip(NEXT) | instid1(VALU_DEP_3)
	v_dual_fmac_f32 v44, v56, v96 :: v_dual_fmac_f32 v47, 0x80000000, v97
	v_dual_fmac_f32 v41, 0, v96 :: v_dual_fmac_f32 v42, 0x80000000, v97
	s_delay_alu instid0(VALU_DEP_3) | instskip(NEXT) | instid1(VALU_DEP_3)
	v_dual_fmac_f32 v46, 0, v96 :: v_dual_fmac_f32 v31, 0x80000000, v97
	v_dual_fmac_f32 v43, 0, v96 :: v_dual_fmac_f32 v44, 0x80000000, v97
	s_delay_alu instid0(VALU_DEP_3) | instskip(NEXT) | instid1(VALU_DEP_3)
	v_fmac_f32_e32 v41, v60, v97
	v_dual_fmac_f32 v45, 0, v96 :: v_dual_fmac_f32 v46, v48, v97
	s_delay_alu instid0(VALU_DEP_3) | instskip(NEXT) | instid1(VALU_DEP_2)
	v_dual_fmac_f32 v42, v61, v98 :: v_dual_fmac_f32 v43, v56, v97
	v_dual_fmac_f32 v44, v57, v98 :: v_dual_fmac_f32 v45, v52, v97
	s_delay_alu instid0(VALU_DEP_3) | instskip(NEXT) | instid1(VALU_DEP_3)
	v_fmac_f32_e32 v46, 0, v98
	v_dual_fmac_f32 v42, 0x80000000, v99 :: v_dual_fmac_f32 v41, 0, v98
	s_delay_alu instid0(VALU_DEP_3) | instskip(NEXT) | instid1(VALU_DEP_3)
	v_dual_fmac_f32 v44, 0x80000000, v99 :: v_dual_fmac_f32 v43, 0, v98
	v_fmac_f32_e32 v46, v49, v99
	s_wait_loadcnt 0x6
	s_delay_alu instid0(VALU_DEP_3) | instskip(NEXT) | instid1(VALU_DEP_3)
	v_dual_fmac_f32 v47, v53, v98 :: v_dual_fmac_f32 v42, v62, v100
	v_dual_fmac_f32 v45, 0, v98 :: v_dual_fmac_f32 v44, v58, v100
	s_delay_alu instid0(VALU_DEP_3) | instskip(NEXT) | instid1(VALU_DEP_3)
	v_dual_fmac_f32 v31, v49, v98 :: v_dual_fmac_f32 v46, 0, v100
	v_dual_fmac_f32 v41, v61, v99 :: v_dual_fmac_f32 v42, 0x80000000, v101
	;; [unrolled: 3-line block ×6, first 2 shown]
	s_wait_loadcnt 0x5
	s_delay_alu instid0(VALU_DEP_3) | instskip(SKIP_3) | instid1(VALU_DEP_4)
	v_dual_fmac_f32 v41, v62, v101 :: v_dual_fmac_f32 v42, v76, v104
	v_fmac_f32_e32 v31, v50, v100
	v_dual_fmac_f32 v43, v58, v101 :: v_dual_fmac_f32 v44, v72, v104
	v_dual_fmac_f32 v47, 0x80000000, v101 :: v_dual_fmac_f32 v46, 0, v104
	v_fmac_f32_e32 v42, 0x80000000, v105
	v_fmac_f32_e32 v45, v54, v101
	s_delay_alu instid0(VALU_DEP_4) | instskip(NEXT) | instid1(VALU_DEP_4)
	v_dual_fmac_f32 v41, 0, v102 :: v_dual_fmac_f32 v44, 0x80000000, v105
	v_dual_fmac_f32 v43, 0, v102 :: v_dual_fmac_f32 v46, v64, v105
	s_delay_alu instid0(VALU_DEP_4) | instskip(NEXT) | instid1(VALU_DEP_3)
	v_dual_fmac_f32 v42, v77, v106 :: v_dual_fmac_f32 v31, 0x80000000, v101
	v_fmac_f32_e32 v44, v73, v106
	v_fmac_f32_e32 v47, v55, v102
	s_delay_alu instid0(VALU_DEP_4) | instskip(NEXT) | instid1(VALU_DEP_4)
	v_dual_fmac_f32 v41, v63, v103 :: v_dual_fmac_f32 v46, 0, v106
	v_dual_fmac_f32 v42, 0x80000000, v107 :: v_dual_fmac_f32 v45, 0, v102
	s_delay_alu instid0(VALU_DEP_4) | instskip(NEXT) | instid1(VALU_DEP_3)
	v_dual_fmac_f32 v44, 0x80000000, v107 :: v_dual_fmac_f32 v31, v51, v102
	v_fmac_f32_e32 v46, v65, v107
	s_wait_loadcnt 0x4
	s_delay_alu instid0(VALU_DEP_3) | instskip(NEXT) | instid1(VALU_DEP_3)
	v_dual_fmac_f32 v43, v59, v103 :: v_dual_fmac_f32 v42, v78, v108
	v_dual_fmac_f32 v47, 0x80000000, v103 :: v_dual_fmac_f32 v44, v74, v108
	s_delay_alu instid0(VALU_DEP_3) | instskip(NEXT) | instid1(VALU_DEP_3)
	v_dual_fmac_f32 v45, v55, v103 :: v_dual_fmac_f32 v46, 0, v108
	v_dual_fmac_f32 v31, 0x80000000, v103 :: v_dual_fmac_f32 v42, 0x80000000, v109
	;; [unrolled: 3-line block ×6, first 2 shown]
	s_wait_loadcnt 0x3
	s_delay_alu instid0(VALU_DEP_3) | instskip(SKIP_2) | instid1(VALU_DEP_3)
	v_dual_fmac_f32 v31, 0x80000000, v105 :: v_dual_fmac_f32 v42, v92, v112
	v_fmac_f32_e32 v45, v68, v105
	v_dual_fmac_f32 v41, 0, v106 :: v_dual_fmac_f32 v44, v88, v112
	v_dual_fmac_f32 v43, 0, v106 :: v_dual_fmac_f32 v42, 0x80000000, v113
	;; [unrolled: 1-line block ×3, first 2 shown]
	s_delay_alu instid0(VALU_DEP_3) | instskip(NEXT) | instid1(VALU_DEP_2)
	v_dual_fmac_f32 v45, 0, v106 :: v_dual_fmac_f32 v44, 0x80000000, v113
	v_dual_fmac_f32 v42, v93, v114 :: v_dual_fmac_f32 v47, 0x80000000, v107
	s_delay_alu instid0(VALU_DEP_3) | instskip(SKIP_1) | instid1(VALU_DEP_4)
	v_dual_fmac_f32 v31, v65, v106 :: v_dual_fmac_f32 v46, v80, v113
	v_fmac_f32_e32 v41, v77, v107
	v_fmac_f32_e32 v44, v89, v114
	s_delay_alu instid0(VALU_DEP_4) | instskip(SKIP_2) | instid1(VALU_DEP_4)
	v_fmac_f32_e32 v42, 0x80000000, v115
	v_fmac_f32_e32 v43, v73, v107
	v_dual_fmac_f32 v31, 0x80000000, v107 :: v_dual_fmac_f32 v46, 0, v114
	v_dual_fmac_f32 v41, 0, v108 :: v_dual_fmac_f32 v44, 0x80000000, v115
	s_wait_loadcnt 0x2
	v_fmac_f32_e32 v42, v94, v116
	s_delay_alu instid0(VALU_DEP_3) | instskip(NEXT) | instid1(VALU_DEP_3)
	v_dual_fmac_f32 v43, 0, v108 :: v_dual_fmac_f32 v46, v81, v115
	v_dual_fmac_f32 v45, v69, v107 :: v_dual_fmac_f32 v44, v90, v116
	v_fmac_f32_e32 v41, v78, v109
	s_delay_alu instid0(VALU_DEP_4) | instskip(NEXT) | instid1(VALU_DEP_4)
	v_dual_fmac_f32 v47, v70, v108 :: v_dual_fmac_f32 v42, 0x80000000, v117
	v_fmac_f32_e32 v46, 0, v116
	s_delay_alu instid0(VALU_DEP_4) | instskip(NEXT) | instid1(VALU_DEP_4)
	;; [unrolled: 3-line block ×3, first 2 shown]
	v_dual_fmac_f32 v31, v66, v108 :: v_dual_fmac_f32 v42, v95, v118
	v_fmac_f32_e32 v46, v82, v117
	s_delay_alu instid0(VALU_DEP_4) | instskip(SKIP_1) | instid1(VALU_DEP_4)
	v_dual_fmac_f32 v43, v74, v109 :: v_dual_fmac_f32 v44, v91, v118
	v_fmac_f32_e32 v47, 0x80000000, v109
	v_dual_fmac_f32 v45, v70, v109 :: v_dual_fmac_f32 v42, 0x80000000, v119
	s_delay_alu instid0(VALU_DEP_4) | instskip(NEXT) | instid1(VALU_DEP_4)
	v_dual_fmac_f32 v46, 0, v118 :: v_dual_fmac_f32 v31, 0x80000000, v109
	v_dual_fmac_f32 v44, 0x80000000, v119 :: v_dual_fmac_f32 v43, 0, v110
	s_wait_loadcnt 0x1
	s_delay_alu instid0(VALU_DEP_3) | instskip(NEXT) | instid1(VALU_DEP_3)
	v_dual_fmac_f32 v47, v71, v110 :: v_dual_fmac_f32 v42, v12, v120
	v_dual_fmac_f32 v46, v83, v119 :: v_dual_fmac_f32 v45, 0, v110
	s_delay_alu instid0(VALU_DEP_3) | instskip(NEXT) | instid1(VALU_DEP_3)
	v_dual_fmac_f32 v44, v8, v120 :: v_dual_fmac_f32 v31, v67, v110
	v_dual_fmac_f32 v41, v79, v111 :: v_dual_fmac_f32 v42, 0x80000000, v121
	;; [unrolled: 3-line block ×6, first 2 shown]
	s_wait_loadcnt 0x0
	s_delay_alu instid0(VALU_DEP_3) | instskip(NEXT) | instid1(VALU_DEP_3)
	v_dual_fmac_f32 v41, v92, v113 :: v_dual_fmac_f32 v42, v14, v124
	v_dual_fmac_f32 v46, v1, v123 :: v_dual_fmac_f32 v31, v80, v112
	s_delay_alu instid0(VALU_DEP_3) | instskip(NEXT) | instid1(VALU_DEP_2)
	v_dual_fmac_f32 v43, v88, v113 :: v_dual_fmac_f32 v44, v10, v124
	v_dual_fmac_f32 v47, 0x80000000, v113 :: v_dual_fmac_f32 v46, 0, v124
	s_delay_alu instid0(VALU_DEP_4) | instskip(NEXT) | instid1(VALU_DEP_3)
	v_fmac_f32_e32 v41, 0, v114
	v_dual_fmac_f32 v43, 0, v114 :: v_dual_fmac_f32 v42, 0x80000000, v125
	v_fmac_f32_e32 v45, v84, v113
	v_fmac_f32_e32 v44, 0x80000000, v125
	;; [unrolled: 1-line block ×3, first 2 shown]
	v_dual_fmac_f32 v46, v2, v125 :: v_dual_fmac_f32 v41, v93, v115
	v_fmac_f32_e32 v42, v15, v126
	v_fmac_f32_e32 v47, v85, v114
	;; [unrolled: 1-line block ×73, first 2 shown]
	s_wait_alu 0xfffe
	s_and_not1_b32 exec_lo, exec_lo, s7
	s_cbranch_execnz .LBB132_21
; %bb.22:
	s_or_b32 exec_lo, exec_lo, s7
.LBB132_23:
	s_wait_alu 0xfffe
	s_or_b32 exec_lo, exec_lo, s3
.LBB132_24:
	s_wait_alu 0xfffe
	s_or_b32 exec_lo, exec_lo, s6
	s_cbranch_execz .LBB132_26
	s_branch .LBB132_37
.LBB132_25:
                                        ; implicit-def: $vgpr41
                                        ; implicit-def: $vgpr42
                                        ; implicit-def: $vgpr43
                                        ; implicit-def: $vgpr44
                                        ; implicit-def: $vgpr45
                                        ; implicit-def: $vgpr47
                                        ; implicit-def: $vgpr46
                                        ; implicit-def: $vgpr31
.LBB132_26:
	v_dual_mov_b32 v41, 0 :: v_dual_mov_b32 v42, 0
	v_dual_mov_b32 v43, 0 :: v_dual_mov_b32 v44, 0
	;; [unrolled: 1-line block ×3, first 2 shown]
	v_mov_b32_e32 v47, 0
	v_mov_b32_e32 v31, 0
	s_and_saveexec_b32 s3, s2
	s_cbranch_execz .LBB132_36
; %bb.27:
	v_or_b32_e32 v0, 16, v40
	v_not_b32_e32 v3, v32
	v_not_b32_e32 v2, v33
	s_delay_alu instid0(VALU_DEP_3) | instskip(SKIP_2) | instid1(VALU_DEP_2)
	v_sub_co_u32 v0, vcc_lo, v0, v22
	s_wait_alu 0xfffd
	v_sub_co_ci_u32_e64 v1, null, 0, v23, vcc_lo
	v_add_co_u32 v0, vcc_lo, v0, v32
	s_wait_alu 0xfffd
	s_delay_alu instid0(VALU_DEP_2) | instskip(SKIP_3) | instid1(VALU_DEP_3)
	v_add_co_ci_u32_e64 v1, null, v1, v33, vcc_lo
	v_sub_co_u32 v4, vcc_lo, v22, v40
	s_wait_alu 0xfffd
	v_subrev_co_ci_u32_e64 v5, null, 0, v23, vcc_lo
	v_cmp_gt_i64_e64 s2, v[0:1], v[26:27]
	s_delay_alu instid0(VALU_DEP_3) | instskip(SKIP_1) | instid1(VALU_DEP_3)
	v_add_co_u32 v3, vcc_lo, v4, v3
	s_wait_alu 0xfffd
	v_add_co_ci_u32_e64 v2, null, v5, v2, vcc_lo
	s_wait_alu 0xf1ff
	s_delay_alu instid0(VALU_DEP_3) | instskip(SKIP_2) | instid1(VALU_DEP_2)
	v_cndmask_b32_e64 v0, v26, v0, s2
	v_cndmask_b32_e64 v1, v27, v1, s2
	s_mov_b32 s2, exec_lo
	v_add_co_u32 v0, vcc_lo, v3, v0
	v_mov_b32_e32 v31, 0
	s_wait_alu 0xfffd
	v_add_co_ci_u32_e64 v1, null, v2, v1, vcc_lo
	s_delay_alu instid0(VALU_DEP_3) | instskip(NEXT) | instid1(VALU_DEP_3)
	v_and_b32_e32 v30, 48, v0
	v_dual_mov_b32 v46, v31 :: v_dual_mov_b32 v47, v31
	v_dual_mov_b32 v45, v31 :: v_dual_mov_b32 v44, v31
	;; [unrolled: 1-line block ×3, first 2 shown]
	v_mov_b32_e32 v41, v31
	v_cmpx_ne_u64_e32 48, v[30:31]
	s_cbranch_execz .LBB132_31
; %bb.28:
	v_lshrrev_b32_e32 v2, 4, v0
	v_dual_mov_b32 v41, 0 :: v_dual_mov_b32 v42, 0
	v_dual_mov_b32 v43, 0 :: v_dual_mov_b32 v44, 0
	s_delay_alu instid0(VALU_DEP_3) | instskip(SKIP_2) | instid1(VALU_DEP_3)
	v_dual_mov_b32 v45, 0 :: v_dual_add_nc_u32 v4, 1, v2
	v_lshlrev_b64_e32 v[2:3], 3, v[24:25]
	v_dual_mov_b32 v46, 0 :: v_dual_mov_b32 v31, 0
	v_dual_mov_b32 v47, 0 :: v_dual_and_b32 v4, 3, v4
	s_delay_alu instid0(VALU_DEP_3) | instskip(SKIP_1) | instid1(VALU_DEP_4)
	v_add_co_u32 v2, vcc_lo, s8, v2
	s_wait_alu 0xfffd
	v_add_co_ci_u32_e64 v3, null, s9, v3, vcc_lo
	s_delay_alu instid0(VALU_DEP_3)
	v_sub_co_u32 v4, s6, 0, v4
	s_wait_alu 0xf1ff
	v_sub_co_ci_u32_e64 v5, null, 0, 0, s6
	s_mov_b32 s6, 0
.LBB132_29:                             ; =>This Inner Loop Header: Depth=1
	global_load_b64 v[14:15], v[2:3], off
	s_clause 0x1
	global_load_b128 v[6:9], v[28:29], off offset:16
	global_load_b128 v[10:13], v[28:29], off
	s_wait_loadcnt 0x2
	v_sub_co_u32 v14, vcc_lo, v14, v22
	s_wait_alu 0xfffd
	v_sub_co_ci_u32_e64 v15, null, v15, v23, vcc_lo
	s_delay_alu instid0(VALU_DEP_1) | instskip(SKIP_1) | instid1(VALU_DEP_1)
	v_lshlrev_b64_e32 v[14:15], 5, v[14:15]
	s_wait_kmcnt 0x0
	v_add_co_u32 v14, vcc_lo, s4, v14
	s_wait_alu 0xfffd
	s_delay_alu instid0(VALU_DEP_2)
	v_add_co_ci_u32_e64 v15, null, s5, v15, vcc_lo
	s_clause 0x1
	global_load_b128 v[32:35], v[14:15], off
	global_load_b128 v[36:39], v[14:15], off offset:16
	s_clause 0x1
	global_load_b128 v[48:51], v[28:29], off offset:32
	global_load_b128 v[52:55], v[28:29], off offset:48
	v_add_co_u32 v28, vcc_lo, 0x400, v28
	s_wait_alu 0xfffd
	v_add_co_ci_u32_e64 v29, null, 0, v29, vcc_lo
	v_add_co_u32 v24, vcc_lo, v24, 16
	s_wait_alu 0xfffd
	v_add_co_ci_u32_e64 v25, null, 0, v25, vcc_lo
	;; [unrolled: 3-line block ×4, first 2 shown]
	s_delay_alu instid0(VALU_DEP_3)
	v_cmp_eq_u64_e32 vcc_lo, 0, v[4:5]
	s_wait_alu 0xfffe
	s_or_b32 s6, vcc_lo, s6
	s_wait_loadcnt 0x3
	v_fmac_f32_e32 v43, 0, v32
	v_fmac_f32_e32 v42, v10, v32
	;; [unrolled: 1-line block ×4, first 2 shown]
	s_delay_alu instid0(VALU_DEP_4) | instskip(NEXT) | instid1(VALU_DEP_4)
	v_fmac_f32_e32 v43, v11, v33
	v_dual_fmac_f32 v41, 0, v32 :: v_dual_fmac_f32 v42, 0x80000000, v33
	v_fmac_f32_e32 v44, v11, v32
	v_dual_fmac_f32 v45, 0, v32 :: v_dual_fmac_f32 v46, v13, v33
	s_delay_alu instid0(VALU_DEP_3) | instskip(NEXT) | instid1(VALU_DEP_4)
	v_fmac_f32_e32 v41, v10, v33
	v_fmac_f32_e32 v42, v6, v34
	s_delay_alu instid0(VALU_DEP_4) | instskip(NEXT) | instid1(VALU_DEP_4)
	v_dual_fmac_f32 v44, 0x80000000, v33 :: v_dual_fmac_f32 v31, v13, v32
	v_dual_fmac_f32 v45, v12, v33 :: v_dual_fmac_f32 v46, 0, v34
	s_delay_alu instid0(VALU_DEP_2) | instskip(NEXT) | instid1(VALU_DEP_3)
	v_dual_fmac_f32 v47, 0x80000000, v33 :: v_dual_fmac_f32 v44, v7, v34
	v_dual_fmac_f32 v31, 0x80000000, v33 :: v_dual_fmac_f32 v42, 0x80000000, v35
	v_fmac_f32_e32 v41, 0, v34
	s_delay_alu instid0(VALU_DEP_4) | instskip(NEXT) | instid1(VALU_DEP_4)
	v_dual_fmac_f32 v43, 0, v34 :: v_dual_fmac_f32 v46, v9, v35
	v_dual_fmac_f32 v44, 0x80000000, v35 :: v_dual_fmac_f32 v47, v8, v34
	s_wait_loadcnt 0x1
	v_dual_fmac_f32 v45, 0, v34 :: v_dual_fmac_f32 v42, v48, v36
	s_delay_alu instid0(VALU_DEP_3) | instskip(NEXT) | instid1(VALU_DEP_3)
	v_dual_fmac_f32 v31, v9, v34 :: v_dual_fmac_f32 v46, 0, v36
	v_dual_fmac_f32 v44, v49, v36 :: v_dual_fmac_f32 v41, v6, v35
	s_delay_alu instid0(VALU_DEP_3) | instskip(NEXT) | instid1(VALU_DEP_3)
	v_dual_fmac_f32 v42, 0x80000000, v37 :: v_dual_fmac_f32 v43, v7, v35
	v_dual_fmac_f32 v47, 0x80000000, v35 :: v_dual_fmac_f32 v46, v51, v37
	s_wait_loadcnt 0x0
	s_delay_alu instid0(VALU_DEP_2) | instskip(SKIP_1) | instid1(VALU_DEP_3)
	v_dual_fmac_f32 v31, 0x80000000, v35 :: v_dual_fmac_f32 v42, v52, v38
	v_dual_fmac_f32 v44, 0x80000000, v37 :: v_dual_fmac_f32 v45, v8, v35
	;; [unrolled: 1-line block ×3, first 2 shown]
	s_delay_alu instid0(VALU_DEP_3) | instskip(NEXT) | instid1(VALU_DEP_3)
	v_dual_fmac_f32 v43, 0, v36 :: v_dual_fmac_f32 v42, 0x80000000, v39
	v_dual_fmac_f32 v31, v51, v36 :: v_dual_fmac_f32 v44, v53, v38
	v_fmac_f32_e32 v47, v50, v36
	s_delay_alu instid0(VALU_DEP_4) | instskip(SKIP_3) | instid1(VALU_DEP_4)
	v_dual_fmac_f32 v45, 0, v36 :: v_dual_fmac_f32 v46, v55, v39
	v_fmac_f32_e32 v41, v48, v37
	v_fmac_f32_e32 v43, v49, v37
	;; [unrolled: 1-line block ×3, first 2 shown]
	v_dual_fmac_f32 v45, v50, v37 :: v_dual_fmac_f32 v44, 0x80000000, v39
	v_fmac_f32_e32 v47, 0x80000000, v37
	v_fmac_f32_e32 v41, 0, v38
	;; [unrolled: 1-line block ×3, first 2 shown]
	s_delay_alu instid0(VALU_DEP_4)
	v_fmac_f32_e32 v45, 0, v38
	v_fmac_f32_e32 v31, v55, v38
	;; [unrolled: 1-line block ×8, first 2 shown]
	s_wait_alu 0xfffe
	s_and_not1_b32 exec_lo, exec_lo, s6
	s_cbranch_execnz .LBB132_29
; %bb.30:
	s_or_b32 exec_lo, exec_lo, s6
.LBB132_31:
	s_wait_alu 0xfffe
	s_or_b32 exec_lo, exec_lo, s2
	s_delay_alu instid0(SALU_CYCLE_1)
	s_mov_b32 s2, exec_lo
	v_cmpx_lt_u64_e32 47, v[0:1]
	s_cbranch_execz .LBB132_35
; %bb.32:
	v_lshlrev_b64_e32 v[0:1], 3, v[24:25]
	s_mov_b32 s6, 0
	s_delay_alu instid0(VALU_DEP_1) | instskip(SKIP_1) | instid1(VALU_DEP_2)
	v_add_co_u32 v0, vcc_lo, s8, v0
	s_wait_alu 0xfffd
	v_add_co_ci_u32_e64 v1, null, s9, v1, vcc_lo
	s_delay_alu instid0(VALU_DEP_2) | instskip(SKIP_1) | instid1(VALU_DEP_2)
	v_add_co_u32 v0, vcc_lo, 0x100, v0
	s_wait_alu 0xfffd
	v_add_co_ci_u32_e64 v1, null, 0, v1, vcc_lo
.LBB132_33:                             ; =>This Inner Loop Header: Depth=1
	s_clause 0x3
	global_load_b64 v[14:15], v[0:1], off offset:-256
	global_load_b64 v[84:85], v[0:1], off offset:-128
	global_load_b64 v[86:87], v[0:1], off
	global_load_b64 v[88:89], v[0:1], off offset:128
	s_clause 0xd
	global_load_b128 v[2:5], v[28:29], off offset:48
	global_load_b128 v[6:9], v[28:29], off offset:32
	;; [unrolled: 1-line block ×3, first 2 shown]
	global_load_b128 v[32:35], v[28:29], off
	global_load_b128 v[36:39], v[28:29], off offset:1072
	global_load_b128 v[48:51], v[28:29], off offset:1056
	;; [unrolled: 1-line block ×10, first 2 shown]
	s_wait_loadcnt 0x11
	v_sub_co_u32 v14, vcc_lo, v14, v22
	s_wait_alu 0xfffd
	v_sub_co_ci_u32_e64 v15, null, v15, v23, vcc_lo
	s_wait_loadcnt 0x10
	v_sub_co_u32 v84, vcc_lo, v84, v22
	s_wait_alu 0xfffd
	v_sub_co_ci_u32_e64 v85, null, v85, v23, vcc_lo
	;; [unrolled: 4-line block ×3, first 2 shown]
	s_wait_loadcnt 0xe
	v_sub_co_u32 v88, vcc_lo, v88, v22
	v_lshlrev_b64_e32 v[14:15], 5, v[14:15]
	s_wait_alu 0xfffd
	v_sub_co_ci_u32_e64 v89, null, v89, v23, vcc_lo
	v_lshlrev_b64_e32 v[84:85], 5, v[84:85]
	v_lshlrev_b64_e32 v[86:87], 5, v[86:87]
	s_delay_alu instid0(VALU_DEP_3)
	v_lshlrev_b64_e32 v[88:89], 5, v[88:89]
	s_wait_kmcnt 0x0
	v_add_co_u32 v14, vcc_lo, s4, v14
	s_wait_alu 0xfffd
	v_add_co_ci_u32_e64 v15, null, s5, v15, vcc_lo
	v_add_co_u32 v96, vcc_lo, s4, v84
	s_wait_alu 0xfffd
	v_add_co_ci_u32_e64 v97, null, s5, v85, vcc_lo
	;; [unrolled: 3-line block ×4, first 2 shown]
	s_clause 0x6
	global_load_b128 v[84:87], v[14:15], off
	global_load_b128 v[88:91], v[14:15], off offset:16
	global_load_b128 v[92:95], v[96:97], off
	global_load_b128 v[96:99], v[96:97], off offset:16
	;; [unrolled: 2-line block ×4, first 2 shown]
	global_load_b128 v[116:119], v[116:117], off offset:16
	global_load_b128 v[120:123], v[28:29], off offset:3120
	v_add_co_u32 v28, vcc_lo, 0x1000, v28
	s_wait_alu 0xfffd
	v_add_co_ci_u32_e64 v29, null, 0, v29, vcc_lo
	v_add_co_u32 v24, vcc_lo, v24, 64
	s_wait_alu 0xfffd
	v_add_co_ci_u32_e64 v25, null, 0, v25, vcc_lo
	;; [unrolled: 3-line block ×3, first 2 shown]
	s_delay_alu instid0(VALU_DEP_3) | instskip(SKIP_4) | instid1(VALU_DEP_1)
	v_cmp_ge_i64_e32 vcc_lo, v[24:25], v[26:27]
	s_wait_alu 0xfffe
	s_or_b32 s6, vcc_lo, s6
	s_wait_loadcnt 0x9
	v_fmac_f32_e32 v46, 0, v84
	v_dual_fmac_f32 v43, 0, v84 :: v_dual_fmac_f32 v46, v35, v85
	s_delay_alu instid0(VALU_DEP_1) | instskip(SKIP_1) | instid1(VALU_DEP_3)
	v_dual_fmac_f32 v42, v32, v84 :: v_dual_fmac_f32 v43, v33, v85
	v_fmac_f32_e32 v41, 0, v84
	v_dual_fmac_f32 v31, v35, v84 :: v_dual_fmac_f32 v46, 0, v86
	s_delay_alu instid0(VALU_DEP_3) | instskip(NEXT) | instid1(VALU_DEP_3)
	v_fmac_f32_e32 v42, 0x80000000, v85
	v_dual_fmac_f32 v44, v33, v84 :: v_dual_fmac_f32 v41, v32, v85
	v_fmac_f32_e32 v47, v34, v84
	s_delay_alu instid0(VALU_DEP_3) | instskip(NEXT) | instid1(VALU_DEP_3)
	v_dual_fmac_f32 v45, 0, v84 :: v_dual_fmac_f32 v42, v10, v86
	v_fmac_f32_e32 v44, 0x80000000, v85
	v_fmac_f32_e32 v31, 0x80000000, v85
	s_delay_alu instid0(VALU_DEP_4) | instskip(NEXT) | instid1(VALU_DEP_4)
	v_fmac_f32_e32 v47, 0x80000000, v85
	v_dual_fmac_f32 v45, v34, v85 :: v_dual_fmac_f32 v42, 0x80000000, v87
	s_delay_alu instid0(VALU_DEP_4)
	v_fmac_f32_e32 v44, v11, v86
	v_fmac_f32_e32 v43, 0, v86
	v_dual_fmac_f32 v41, 0, v86 :: v_dual_fmac_f32 v46, v13, v87
	s_wait_loadcnt 0x8
	v_dual_fmac_f32 v47, v12, v86 :: v_dual_fmac_f32 v42, v6, v88
	v_dual_fmac_f32 v44, 0x80000000, v87 :: v_dual_fmac_f32 v45, 0, v86
	s_delay_alu instid0(VALU_DEP_3) | instskip(NEXT) | instid1(VALU_DEP_3)
	v_dual_fmac_f32 v31, v13, v86 :: v_dual_fmac_f32 v46, 0, v88
	v_dual_fmac_f32 v41, v10, v87 :: v_dual_fmac_f32 v42, 0x80000000, v89
	s_delay_alu instid0(VALU_DEP_3) | instskip(NEXT) | instid1(VALU_DEP_3)
	;; [unrolled: 3-line block ×5, first 2 shown]
	v_dual_fmac_f32 v44, v3, v90 :: v_dual_fmac_f32 v45, 0, v88
	v_fmac_f32_e32 v41, v6, v89
	s_delay_alu instid0(VALU_DEP_4) | instskip(NEXT) | instid1(VALU_DEP_3)
	v_dual_fmac_f32 v47, v8, v88 :: v_dual_fmac_f32 v46, v5, v91
	v_dual_fmac_f32 v44, 0x80000000, v91 :: v_dual_fmac_f32 v43, v7, v89
	s_wait_loadcnt 0x7
	v_fmac_f32_e32 v42, v56, v92
	v_fmac_f32_e32 v31, v9, v88
	v_dual_fmac_f32 v45, v8, v89 :: v_dual_fmac_f32 v46, 0, v92
	v_dual_fmac_f32 v44, v57, v92 :: v_dual_fmac_f32 v41, 0, v90
	s_delay_alu instid0(VALU_DEP_4) | instskip(SKIP_1) | instid1(VALU_DEP_4)
	v_fmac_f32_e32 v42, 0x80000000, v93
	v_fmac_f32_e32 v47, 0x80000000, v89
	v_dual_fmac_f32 v43, 0, v90 :: v_dual_fmac_f32 v46, v59, v93
	s_delay_alu instid0(VALU_DEP_4) | instskip(NEXT) | instid1(VALU_DEP_4)
	v_fmac_f32_e32 v44, 0x80000000, v93
	v_dual_fmac_f32 v31, 0x80000000, v89 :: v_dual_fmac_f32 v42, v52, v94
	s_delay_alu instid0(VALU_DEP_4) | instskip(NEXT) | instid1(VALU_DEP_4)
	;; [unrolled: 3-line block ×3, first 2 shown]
	v_fmac_f32_e32 v44, v53, v94
	v_dual_fmac_f32 v45, 0, v90 :: v_dual_fmac_f32 v42, 0x80000000, v95
	s_delay_alu instid0(VALU_DEP_3) | instskip(NEXT) | instid1(VALU_DEP_3)
	v_dual_fmac_f32 v31, v5, v90 :: v_dual_fmac_f32 v46, v55, v95
	v_fmac_f32_e32 v44, 0x80000000, v95
	s_wait_loadcnt 0x6
	s_delay_alu instid0(VALU_DEP_3) | instskip(SKIP_3) | instid1(VALU_DEP_4)
	v_dual_fmac_f32 v43, v3, v91 :: v_dual_fmac_f32 v42, v48, v96
	v_fmac_f32_e32 v45, v4, v91
	v_dual_fmac_f32 v47, 0x80000000, v91 :: v_dual_fmac_f32 v46, 0, v96
	v_dual_fmac_f32 v44, v49, v96 :: v_dual_fmac_f32 v31, 0x80000000, v91
	;; [unrolled: 1-line block ×3, first 2 shown]
	s_delay_alu instid0(VALU_DEP_3) | instskip(NEXT) | instid1(VALU_DEP_3)
	v_dual_fmac_f32 v43, 0, v92 :: v_dual_fmac_f32 v46, v51, v97
	v_dual_fmac_f32 v44, 0x80000000, v97 :: v_dual_fmac_f32 v47, v58, v92
	s_delay_alu instid0(VALU_DEP_3) | instskip(NEXT) | instid1(VALU_DEP_3)
	v_dual_fmac_f32 v42, v36, v98 :: v_dual_fmac_f32 v45, 0, v92
	v_dual_fmac_f32 v31, v59, v92 :: v_dual_fmac_f32 v46, 0, v98
	;; [unrolled: 3-line block ×4, first 2 shown]
	s_wait_loadcnt 0x5
	s_delay_alu instid0(VALU_DEP_3) | instskip(NEXT) | instid1(VALU_DEP_3)
	v_dual_fmac_f32 v42, v72, v100 :: v_dual_fmac_f32 v31, 0x80000000, v93
	v_dual_fmac_f32 v41, 0, v94 :: v_dual_fmac_f32 v46, 0, v100
	s_delay_alu instid0(VALU_DEP_3) | instskip(NEXT) | instid1(VALU_DEP_3)
	v_dual_fmac_f32 v44, v73, v100 :: v_dual_fmac_f32 v43, 0, v94
	v_dual_fmac_f32 v42, 0x80000000, v101 :: v_dual_fmac_f32 v47, v54, v94
	;; [unrolled: 3-line block ×3, first 2 shown]
	s_delay_alu instid0(VALU_DEP_3) | instskip(SKIP_1) | instid1(VALU_DEP_3)
	v_dual_fmac_f32 v43, v53, v95 :: v_dual_fmac_f32 v42, v68, v102
	v_fmac_f32_e32 v31, v55, v94
	v_dual_fmac_f32 v44, v69, v102 :: v_dual_fmac_f32 v41, 0, v96
	v_dual_fmac_f32 v47, 0x80000000, v95 :: v_dual_fmac_f32 v46, 0, v102
	s_delay_alu instid0(VALU_DEP_4) | instskip(NEXT) | instid1(VALU_DEP_3)
	v_fmac_f32_e32 v42, 0x80000000, v103
	v_fmac_f32_e32 v44, 0x80000000, v103
	;; [unrolled: 1-line block ×4, first 2 shown]
	v_dual_fmac_f32 v43, 0, v96 :: v_dual_fmac_f32 v46, v71, v103
	s_wait_loadcnt 0x4
	v_fmac_f32_e32 v42, v64, v104
	v_fmac_f32_e32 v44, v65, v104
	;; [unrolled: 1-line block ×4, first 2 shown]
	v_dual_fmac_f32 v41, v48, v97 :: v_dual_fmac_f32 v46, 0, v104
	v_fmac_f32_e32 v42, 0x80000000, v105
	v_dual_fmac_f32 v44, 0x80000000, v105 :: v_dual_fmac_f32 v31, v51, v96
	v_fmac_f32_e32 v47, 0x80000000, v97
	s_delay_alu instid0(VALU_DEP_4) | instskip(NEXT) | instid1(VALU_DEP_4)
	v_dual_fmac_f32 v41, 0, v98 :: v_dual_fmac_f32 v46, v67, v105
	v_fmac_f32_e32 v42, v60, v106
	s_delay_alu instid0(VALU_DEP_4) | instskip(SKIP_2) | instid1(VALU_DEP_4)
	v_fmac_f32_e32 v44, v61, v106
	v_fmac_f32_e32 v43, v49, v97
	;; [unrolled: 1-line block ×3, first 2 shown]
	v_dual_fmac_f32 v31, 0x80000000, v97 :: v_dual_fmac_f32 v42, 0x80000000, v107
	s_delay_alu instid0(VALU_DEP_4) | instskip(NEXT) | instid1(VALU_DEP_3)
	v_dual_fmac_f32 v44, 0x80000000, v107 :: v_dual_fmac_f32 v47, v38, v98
	v_fmac_f32_e32 v45, 0, v98
	v_fmac_f32_e32 v46, 0, v106
	s_wait_loadcnt 0x3
	v_dual_fmac_f32 v43, 0, v98 :: v_dual_fmac_f32 v42, v80, v108
	v_dual_fmac_f32 v44, v81, v108 :: v_dual_fmac_f32 v41, v36, v99
	s_delay_alu instid0(VALU_DEP_3) | instskip(SKIP_1) | instid1(VALU_DEP_3)
	v_fmac_f32_e32 v46, v63, v107
	v_fmac_f32_e32 v31, v39, v98
	v_dual_fmac_f32 v43, v37, v99 :: v_dual_fmac_f32 v44, 0x80000000, v109
	v_dual_fmac_f32 v42, 0x80000000, v109 :: v_dual_fmac_f32 v45, v38, v99
	s_delay_alu instid0(VALU_DEP_4) | instskip(NEXT) | instid1(VALU_DEP_3)
	v_dual_fmac_f32 v46, 0, v108 :: v_dual_fmac_f32 v47, 0x80000000, v99
	v_dual_fmac_f32 v31, 0x80000000, v99 :: v_dual_fmac_f32 v44, v77, v110
	s_delay_alu instid0(VALU_DEP_3) | instskip(NEXT) | instid1(VALU_DEP_3)
	v_dual_fmac_f32 v42, v76, v110 :: v_dual_fmac_f32 v43, 0, v100
	v_dual_fmac_f32 v46, v83, v109 :: v_dual_fmac_f32 v41, 0, v100
	s_delay_alu instid0(VALU_DEP_3) | instskip(NEXT) | instid1(VALU_DEP_3)
	v_dual_fmac_f32 v47, v74, v100 :: v_dual_fmac_f32 v44, 0x80000000, v111
	v_dual_fmac_f32 v42, 0x80000000, v111 :: v_dual_fmac_f32 v43, v73, v101
	s_delay_alu instid0(VALU_DEP_3) | instskip(SKIP_1) | instid1(VALU_DEP_3)
	v_dual_fmac_f32 v46, 0, v110 :: v_dual_fmac_f32 v45, 0, v100
	s_wait_loadcnt 0x1
	v_dual_fmac_f32 v41, v72, v101 :: v_dual_fmac_f32 v44, v113, v116
	s_delay_alu instid0(VALU_DEP_3) | instskip(SKIP_2) | instid1(VALU_DEP_4)
	v_fmac_f32_e32 v42, v112, v116
	v_fmac_f32_e32 v31, v75, v100
	v_dual_fmac_f32 v46, v79, v111 :: v_dual_fmac_f32 v47, 0x80000000, v101
	v_dual_fmac_f32 v41, 0, v102 :: v_dual_fmac_f32 v44, 0x80000000, v117
	s_delay_alu instid0(VALU_DEP_4) | instskip(SKIP_1) | instid1(VALU_DEP_4)
	v_fmac_f32_e32 v42, 0x80000000, v117
	v_fmac_f32_e32 v45, v74, v101
	v_dual_fmac_f32 v31, 0x80000000, v101 :: v_dual_fmac_f32 v46, 0, v116
	v_fmac_f32_e32 v43, 0, v102
	s_wait_loadcnt 0x0
	v_fmac_f32_e32 v42, v120, v118
	v_fmac_f32_e32 v47, v70, v102
	;; [unrolled: 1-line block ×5, first 2 shown]
	v_dual_fmac_f32 v46, v115, v117 :: v_dual_fmac_f32 v41, v68, v103
	v_fmac_f32_e32 v43, v69, v103
	v_fmac_f32_e32 v42, 0x80000000, v119
	;; [unrolled: 1-line block ×8, first 2 shown]
	v_dual_fmac_f32 v31, v67, v104 :: v_dual_fmac_f32 v46, 0, v118
	v_fmac_f32_e32 v41, 0, v104
	v_fmac_f32_e32 v45, 0, v104
	;; [unrolled: 1-line block ×4, first 2 shown]
	v_dual_fmac_f32 v31, 0x80000000, v105 :: v_dual_fmac_f32 v46, v123, v119
	v_fmac_f32_e32 v41, v64, v105
	v_fmac_f32_e32 v45, v66, v105
	;; [unrolled: 1-line block ×52, first 2 shown]
	s_wait_alu 0xfffe
	s_and_not1_b32 exec_lo, exec_lo, s6
	s_cbranch_execnz .LBB132_33
; %bb.34:
	s_or_b32 exec_lo, exec_lo, s6
.LBB132_35:
	s_wait_alu 0xfffe
	s_or_b32 exec_lo, exec_lo, s2
.LBB132_36:
	s_wait_alu 0xfffe
	s_or_b32 exec_lo, exec_lo, s3
.LBB132_37:
	v_mbcnt_lo_u32_b32 v0, -1, 0
	s_delay_alu instid0(VALU_DEP_1) | instskip(SKIP_2) | instid1(VALU_DEP_3)
	v_xor_b32_e32 v1, 8, v0
	v_xor_b32_e32 v9, 4, v0
	;; [unrolled: 1-line block ×3, first 2 shown]
	v_cmp_gt_i32_e32 vcc_lo, 32, v1
	s_wait_alu 0xfffd
	v_cndmask_b32_e32 v1, v0, v1, vcc_lo
	v_cmp_gt_i32_e32 vcc_lo, 32, v9
	s_delay_alu instid0(VALU_DEP_2)
	v_lshlrev_b32_e32 v1, 2, v1
	ds_bpermute_b32 v4, v1, v44
	s_wait_dscnt 0x0
	v_add_f32_e32 v4, v44, v4
	ds_bpermute_b32 v2, v1, v42
	ds_bpermute_b32 v6, v1, v47
	ds_bpermute_b32 v8, v1, v31
	s_wait_alu 0xfffd
	v_cndmask_b32_e32 v9, v0, v9, vcc_lo
	ds_bpermute_b32 v3, v1, v41
	ds_bpermute_b32 v5, v1, v43
	;; [unrolled: 1-line block ×4, first 2 shown]
	v_cmp_gt_i32_e32 vcc_lo, 32, v23
	s_wait_dscnt 0x6
	v_add_f32_e32 v2, v42, v2
	s_wait_dscnt 0x5
	v_dual_add_f32 v6, v47, v6 :: v_dual_lshlrev_b32 v9, 2, v9
	s_wait_dscnt 0x4
	v_add_f32_e32 v8, v31, v8
	ds_bpermute_b32 v10, v9, v2
	ds_bpermute_b32 v12, v9, v4
	;; [unrolled: 1-line block ×4, first 2 shown]
	s_wait_dscnt 0x7
	v_add_f32_e32 v3, v41, v3
	s_wait_dscnt 0x6
	v_add_f32_e32 v5, v43, v5
	s_wait_dscnt 0x5
	v_add_f32_e32 v7, v45, v7
	s_wait_dscnt 0x4
	v_add_f32_e32 v1, v46, v1
	s_wait_dscnt 0x3
	v_add_f32_e32 v2, v2, v10
	ds_bpermute_b32 v11, v9, v3
	s_wait_dscnt 0x3
	v_add_f32_e32 v4, v4, v12
	ds_bpermute_b32 v13, v9, v5
	s_wait_dscnt 0x3
	v_add_f32_e32 v6, v6, v14
	;; [unrolled: 3-line block ×3, first 2 shown]
	ds_bpermute_b32 v9, v9, v1
	s_wait_alu 0xfffd
	v_cndmask_b32_e32 v23, v0, v23, vcc_lo
	s_delay_alu instid0(VALU_DEP_1)
	v_lshlrev_b32_e32 v23, 2, v23
	s_wait_dscnt 0x3
	v_add_f32_e32 v3, v3, v11
	ds_bpermute_b32 v11, v23, v4
	s_wait_dscnt 0x3
	v_add_f32_e32 v5, v5, v13
	ds_bpermute_b32 v13, v23, v6
	;; [unrolled: 3-line block ×4, first 2 shown]
	ds_bpermute_b32 v12, v23, v5
	ds_bpermute_b32 v14, v23, v7
	;; [unrolled: 1-line block ×4, first 2 shown]
	v_xor_b32_e32 v23, 1, v0
	s_delay_alu instid0(VALU_DEP_1) | instskip(SKIP_4) | instid1(VALU_DEP_2)
	v_cmp_gt_i32_e32 vcc_lo, 32, v23
	s_wait_alu 0xfffd
	v_cndmask_b32_e32 v0, v0, v23, vcc_lo
	v_cmp_eq_u32_e32 vcc_lo, 15, v40
	s_wait_dscnt 0x4
	v_dual_add_f32 v0, v2, v1 :: v_dual_lshlrev_b32 v23, 2, v0
	v_dual_add_f32 v1, v3, v10 :: v_dual_add_f32 v2, v4, v11
	s_wait_dscnt 0x3
	v_dual_add_f32 v3, v5, v12 :: v_dual_add_f32 v4, v6, v13
	s_wait_dscnt 0x1
	;; [unrolled: 2-line block ×3, first 2 shown]
	v_add_f32_e32 v7, v9, v22
	ds_bpermute_b32 v8, v23, v0
	ds_bpermute_b32 v9, v23, v1
	;; [unrolled: 1-line block ×8, first 2 shown]
	s_and_b32 exec_lo, exec_lo, vcc_lo
	s_cbranch_execz .LBB132_8
; %bb.38:
	s_load_b64 s[2:3], s[0:1], 0x58
	s_wait_dscnt 0x7
	v_add_f32_e32 v8, v0, v8
	s_wait_dscnt 0x6
	v_add_f32_e32 v0, v1, v9
	s_wait_dscnt 0x4
	v_dual_add_f32 v10, v2, v10 :: v_dual_add_f32 v1, v3, v11
	s_wait_dscnt 0x2
	v_dual_add_f32 v11, v4, v12 :: v_dual_add_f32 v2, v5, v13
	v_mul_f32_e32 v5, v18, v0
	s_wait_dscnt 0x0
	v_add_f32_e32 v3, v7, v15
	v_mul_f32_e64 v4, v0, -v19
	v_add_f32_e32 v12, v6, v14
	v_mul_f32_e64 v6, v1, -v19
	v_mul_f32_e32 v7, v18, v1
	v_mul_f32_e64 v0, v2, -v19
	v_mul_f32_e32 v1, v18, v2
	;; [unrolled: 2-line block ×3, first 2 shown]
	v_cmp_eq_f32_e32 vcc_lo, 0, v16
	v_cmp_eq_f32_e64 s0, 0, v17
	v_dual_fmac_f32 v4, v18, v8 :: v_dual_fmac_f32 v7, v19, v10
	v_fmac_f32_e32 v5, v19, v8
	v_lshlrev_b64_e32 v[8:9], 5, v[20:21]
	v_dual_fmac_f32 v6, v18, v10 :: v_dual_fmac_f32 v1, v19, v11
	v_dual_fmac_f32 v0, v18, v11 :: v_dual_fmac_f32 v3, v19, v12
	v_fmac_f32_e32 v2, v18, v12
	s_and_b32 s0, vcc_lo, s0
	s_wait_alu 0xfffe
	s_and_saveexec_b32 s1, s0
	s_wait_alu 0xfffe
	s_xor_b32 s0, exec_lo, s1
	s_cbranch_execz .LBB132_40
; %bb.39:
	s_wait_kmcnt 0x0
	v_add_co_u32 v8, vcc_lo, s2, v8
	s_wait_alu 0xfffd
	v_add_co_ci_u32_e64 v9, null, s3, v9, vcc_lo
                                        ; implicit-def: $vgpr16_vgpr17
	s_clause 0x1
	global_store_b128 v[8:9], v[4:7], off
	global_store_b128 v[8:9], v[0:3], off offset:16
                                        ; implicit-def: $vgpr4
                                        ; implicit-def: $vgpr8_vgpr9
                                        ; implicit-def: $vgpr0
.LBB132_40:
	s_wait_alu 0xfffe
	s_and_not1_saveexec_b32 s0, s0
	s_cbranch_execz .LBB132_8
; %bb.41:
	s_wait_kmcnt 0x0
	v_add_co_u32 v18, vcc_lo, s2, v8
	s_wait_alu 0xfffd
	v_add_co_ci_u32_e64 v19, null, s3, v9, vcc_lo
	s_clause 0x1
	global_load_b128 v[8:11], v[18:19], off
	global_load_b128 v[12:15], v[18:19], off offset:16
	s_wait_loadcnt 0x1
	v_dual_fmac_f32 v4, v16, v8 :: v_dual_fmac_f32 v7, v17, v10
	v_dual_fmac_f32 v5, v17, v8 :: v_dual_fmac_f32 v6, v16, v10
	s_wait_loadcnt 0x0
	v_dual_fmac_f32 v0, v16, v12 :: v_dual_fmac_f32 v3, v17, v14
	v_dual_fmac_f32 v1, v17, v12 :: v_dual_fmac_f32 v2, v16, v14
	v_fma_f32 v4, -v17, v9, v4
	v_fmac_f32_e32 v5, v16, v9
	v_fma_f32 v6, -v17, v11, v6
	v_fmac_f32_e32 v7, v16, v11
	;; [unrolled: 2-line block ×4, first 2 shown]
	s_clause 0x1
	global_store_b128 v[18:19], v[4:7], off
	global_store_b128 v[18:19], v[0:3], off offset:16
	s_nop 0
	s_sendmsg sendmsg(MSG_DEALLOC_VGPRS)
	s_endpgm
	.section	.rodata,"a",@progbits
	.p2align	6, 0x0
	.amdhsa_kernel _ZN9rocsparseL18bsrxmvn_4x4_kernelILj128ELj16E21rocsparse_complex_numIfEllfS2_S2_EEvT3_20rocsparse_direction_NS_24const_host_device_scalarIT1_EES3_PKS3_PKT2_SC_S9_PKT4_PKT5_S7_PT6_21rocsparse_index_base_b
		.amdhsa_group_segment_fixed_size 0
		.amdhsa_private_segment_fixed_size 0
		.amdhsa_kernarg_size 104
		.amdhsa_user_sgpr_count 2
		.amdhsa_user_sgpr_dispatch_ptr 0
		.amdhsa_user_sgpr_queue_ptr 0
		.amdhsa_user_sgpr_kernarg_segment_ptr 1
		.amdhsa_user_sgpr_dispatch_id 0
		.amdhsa_user_sgpr_private_segment_size 0
		.amdhsa_wavefront_size32 1
		.amdhsa_uses_dynamic_stack 0
		.amdhsa_enable_private_segment 0
		.amdhsa_system_sgpr_workgroup_id_x 1
		.amdhsa_system_sgpr_workgroup_id_y 0
		.amdhsa_system_sgpr_workgroup_id_z 0
		.amdhsa_system_sgpr_workgroup_info 0
		.amdhsa_system_vgpr_workitem_id 0
		.amdhsa_next_free_vgpr 128
		.amdhsa_next_free_sgpr 12
		.amdhsa_reserve_vcc 1
		.amdhsa_float_round_mode_32 0
		.amdhsa_float_round_mode_16_64 0
		.amdhsa_float_denorm_mode_32 3
		.amdhsa_float_denorm_mode_16_64 3
		.amdhsa_fp16_overflow 0
		.amdhsa_workgroup_processor_mode 1
		.amdhsa_memory_ordered 1
		.amdhsa_forward_progress 1
		.amdhsa_inst_pref_size 64
		.amdhsa_round_robin_scheduling 0
		.amdhsa_exception_fp_ieee_invalid_op 0
		.amdhsa_exception_fp_denorm_src 0
		.amdhsa_exception_fp_ieee_div_zero 0
		.amdhsa_exception_fp_ieee_overflow 0
		.amdhsa_exception_fp_ieee_underflow 0
		.amdhsa_exception_fp_ieee_inexact 0
		.amdhsa_exception_int_div_zero 0
	.end_amdhsa_kernel
	.section	.text._ZN9rocsparseL18bsrxmvn_4x4_kernelILj128ELj16E21rocsparse_complex_numIfEllfS2_S2_EEvT3_20rocsparse_direction_NS_24const_host_device_scalarIT1_EES3_PKS3_PKT2_SC_S9_PKT4_PKT5_S7_PT6_21rocsparse_index_base_b,"axG",@progbits,_ZN9rocsparseL18bsrxmvn_4x4_kernelILj128ELj16E21rocsparse_complex_numIfEllfS2_S2_EEvT3_20rocsparse_direction_NS_24const_host_device_scalarIT1_EES3_PKS3_PKT2_SC_S9_PKT4_PKT5_S7_PT6_21rocsparse_index_base_b,comdat
.Lfunc_end132:
	.size	_ZN9rocsparseL18bsrxmvn_4x4_kernelILj128ELj16E21rocsparse_complex_numIfEllfS2_S2_EEvT3_20rocsparse_direction_NS_24const_host_device_scalarIT1_EES3_PKS3_PKT2_SC_S9_PKT4_PKT5_S7_PT6_21rocsparse_index_base_b, .Lfunc_end132-_ZN9rocsparseL18bsrxmvn_4x4_kernelILj128ELj16E21rocsparse_complex_numIfEllfS2_S2_EEvT3_20rocsparse_direction_NS_24const_host_device_scalarIT1_EES3_PKS3_PKT2_SC_S9_PKT4_PKT5_S7_PT6_21rocsparse_index_base_b
                                        ; -- End function
	.set _ZN9rocsparseL18bsrxmvn_4x4_kernelILj128ELj16E21rocsparse_complex_numIfEllfS2_S2_EEvT3_20rocsparse_direction_NS_24const_host_device_scalarIT1_EES3_PKS3_PKT2_SC_S9_PKT4_PKT5_S7_PT6_21rocsparse_index_base_b.num_vgpr, 128
	.set _ZN9rocsparseL18bsrxmvn_4x4_kernelILj128ELj16E21rocsparse_complex_numIfEllfS2_S2_EEvT3_20rocsparse_direction_NS_24const_host_device_scalarIT1_EES3_PKS3_PKT2_SC_S9_PKT4_PKT5_S7_PT6_21rocsparse_index_base_b.num_agpr, 0
	.set _ZN9rocsparseL18bsrxmvn_4x4_kernelILj128ELj16E21rocsparse_complex_numIfEllfS2_S2_EEvT3_20rocsparse_direction_NS_24const_host_device_scalarIT1_EES3_PKS3_PKT2_SC_S9_PKT4_PKT5_S7_PT6_21rocsparse_index_base_b.numbered_sgpr, 12
	.set _ZN9rocsparseL18bsrxmvn_4x4_kernelILj128ELj16E21rocsparse_complex_numIfEllfS2_S2_EEvT3_20rocsparse_direction_NS_24const_host_device_scalarIT1_EES3_PKS3_PKT2_SC_S9_PKT4_PKT5_S7_PT6_21rocsparse_index_base_b.num_named_barrier, 0
	.set _ZN9rocsparseL18bsrxmvn_4x4_kernelILj128ELj16E21rocsparse_complex_numIfEllfS2_S2_EEvT3_20rocsparse_direction_NS_24const_host_device_scalarIT1_EES3_PKS3_PKT2_SC_S9_PKT4_PKT5_S7_PT6_21rocsparse_index_base_b.private_seg_size, 0
	.set _ZN9rocsparseL18bsrxmvn_4x4_kernelILj128ELj16E21rocsparse_complex_numIfEllfS2_S2_EEvT3_20rocsparse_direction_NS_24const_host_device_scalarIT1_EES3_PKS3_PKT2_SC_S9_PKT4_PKT5_S7_PT6_21rocsparse_index_base_b.uses_vcc, 1
	.set _ZN9rocsparseL18bsrxmvn_4x4_kernelILj128ELj16E21rocsparse_complex_numIfEllfS2_S2_EEvT3_20rocsparse_direction_NS_24const_host_device_scalarIT1_EES3_PKS3_PKT2_SC_S9_PKT4_PKT5_S7_PT6_21rocsparse_index_base_b.uses_flat_scratch, 0
	.set _ZN9rocsparseL18bsrxmvn_4x4_kernelILj128ELj16E21rocsparse_complex_numIfEllfS2_S2_EEvT3_20rocsparse_direction_NS_24const_host_device_scalarIT1_EES3_PKS3_PKT2_SC_S9_PKT4_PKT5_S7_PT6_21rocsparse_index_base_b.has_dyn_sized_stack, 0
	.set _ZN9rocsparseL18bsrxmvn_4x4_kernelILj128ELj16E21rocsparse_complex_numIfEllfS2_S2_EEvT3_20rocsparse_direction_NS_24const_host_device_scalarIT1_EES3_PKS3_PKT2_SC_S9_PKT4_PKT5_S7_PT6_21rocsparse_index_base_b.has_recursion, 0
	.set _ZN9rocsparseL18bsrxmvn_4x4_kernelILj128ELj16E21rocsparse_complex_numIfEllfS2_S2_EEvT3_20rocsparse_direction_NS_24const_host_device_scalarIT1_EES3_PKS3_PKT2_SC_S9_PKT4_PKT5_S7_PT6_21rocsparse_index_base_b.has_indirect_call, 0
	.section	.AMDGPU.csdata,"",@progbits
; Kernel info:
; codeLenInByte = 8116
; TotalNumSgprs: 14
; NumVgprs: 128
; ScratchSize: 0
; MemoryBound: 0
; FloatMode: 240
; IeeeMode: 1
; LDSByteSize: 0 bytes/workgroup (compile time only)
; SGPRBlocks: 0
; VGPRBlocks: 15
; NumSGPRsForWavesPerEU: 14
; NumVGPRsForWavesPerEU: 128
; Occupancy: 10
; WaveLimiterHint : 1
; COMPUTE_PGM_RSRC2:SCRATCH_EN: 0
; COMPUTE_PGM_RSRC2:USER_SGPR: 2
; COMPUTE_PGM_RSRC2:TRAP_HANDLER: 0
; COMPUTE_PGM_RSRC2:TGID_X_EN: 1
; COMPUTE_PGM_RSRC2:TGID_Y_EN: 0
; COMPUTE_PGM_RSRC2:TGID_Z_EN: 0
; COMPUTE_PGM_RSRC2:TIDIG_COMP_CNT: 0
	.section	.text._ZN9rocsparseL18bsrxmvn_4x4_kernelILj128ELj32E21rocsparse_complex_numIfEllfS2_S2_EEvT3_20rocsparse_direction_NS_24const_host_device_scalarIT1_EES3_PKS3_PKT2_SC_S9_PKT4_PKT5_S7_PT6_21rocsparse_index_base_b,"axG",@progbits,_ZN9rocsparseL18bsrxmvn_4x4_kernelILj128ELj32E21rocsparse_complex_numIfEllfS2_S2_EEvT3_20rocsparse_direction_NS_24const_host_device_scalarIT1_EES3_PKS3_PKT2_SC_S9_PKT4_PKT5_S7_PT6_21rocsparse_index_base_b,comdat
	.globl	_ZN9rocsparseL18bsrxmvn_4x4_kernelILj128ELj32E21rocsparse_complex_numIfEllfS2_S2_EEvT3_20rocsparse_direction_NS_24const_host_device_scalarIT1_EES3_PKS3_PKT2_SC_S9_PKT4_PKT5_S7_PT6_21rocsparse_index_base_b ; -- Begin function _ZN9rocsparseL18bsrxmvn_4x4_kernelILj128ELj32E21rocsparse_complex_numIfEllfS2_S2_EEvT3_20rocsparse_direction_NS_24const_host_device_scalarIT1_EES3_PKS3_PKT2_SC_S9_PKT4_PKT5_S7_PT6_21rocsparse_index_base_b
	.p2align	8
	.type	_ZN9rocsparseL18bsrxmvn_4x4_kernelILj128ELj32E21rocsparse_complex_numIfEllfS2_S2_EEvT3_20rocsparse_direction_NS_24const_host_device_scalarIT1_EES3_PKS3_PKT2_SC_S9_PKT4_PKT5_S7_PT6_21rocsparse_index_base_b,@function
_ZN9rocsparseL18bsrxmvn_4x4_kernelILj128ELj32E21rocsparse_complex_numIfEllfS2_S2_EEvT3_20rocsparse_direction_NS_24const_host_device_scalarIT1_EES3_PKS3_PKT2_SC_S9_PKT4_PKT5_S7_PT6_21rocsparse_index_base_b: ; @_ZN9rocsparseL18bsrxmvn_4x4_kernelILj128ELj32E21rocsparse_complex_numIfEllfS2_S2_EEvT3_20rocsparse_direction_NS_24const_host_device_scalarIT1_EES3_PKS3_PKT2_SC_S9_PKT4_PKT5_S7_PT6_21rocsparse_index_base_b
; %bb.0:
	s_clause 0x2
	s_load_b64 s[8:9], s[0:1], 0x60
	s_load_b128 s[4:7], s[0:1], 0x10
	s_load_b64 s[2:3], s[0:1], 0x50
	s_add_nc_u64 s[10:11], s[0:1], 16
	s_wait_kmcnt 0x0
	s_bitcmp1_b32 s9, 0
	s_cselect_b32 s4, s10, s4
	s_cselect_b32 s5, s11, s5
	s_delay_alu instid0(SALU_CYCLE_1)
	v_dual_mov_b32 v1, s4 :: v_dual_mov_b32 v2, s5
	s_add_nc_u64 s[4:5], s[0:1], 0x50
	s_wait_alu 0xfffe
	s_cselect_b32 s2, s4, s2
	s_cselect_b32 s3, s5, s3
	flat_load_b64 v[18:19], v[1:2]
	v_dual_mov_b32 v1, s2 :: v_dual_mov_b32 v2, s3
	flat_load_b64 v[16:17], v[1:2]
	s_wait_loadcnt_dscnt 0x101
	v_cmp_eq_f32_e32 vcc_lo, 0, v18
	v_cmp_eq_f32_e64 s2, 0, v19
	s_and_b32 s4, vcc_lo, s2
	s_mov_b32 s2, -1
	s_wait_alu 0xfffe
	s_and_saveexec_b32 s3, s4
	s_cbranch_execz .LBB133_2
; %bb.1:
	s_wait_loadcnt_dscnt 0x0
	v_cmp_neq_f32_e32 vcc_lo, 1.0, v16
	v_cmp_neq_f32_e64 s2, 0, v17
	s_or_b32 s2, vcc_lo, s2
	s_wait_alu 0xfffe
	s_or_not1_b32 s2, s2, exec_lo
.LBB133_2:
	s_wait_alu 0xfffe
	s_or_b32 exec_lo, exec_lo, s3
	s_and_saveexec_b32 s3, s2
	s_cbranch_execz .LBB133_8
; %bb.3:
	s_load_b64 s[2:3], s[0:1], 0x20
	v_lshrrev_b32_e32 v1, 5, v0
	v_mov_b32_e32 v2, 0
	s_delay_alu instid0(VALU_DEP_2)
	v_lshl_or_b32 v1, ttmp9, 2, v1
	s_wait_kmcnt 0x0
	s_cmp_lg_u64 s[2:3], 0
	s_cbranch_scc0 .LBB133_9
; %bb.4:
	s_delay_alu instid0(VALU_DEP_1)
	v_cmp_gt_i64_e32 vcc_lo, s[6:7], v[1:2]
	s_mov_b32 s5, 0
	s_mov_b32 s4, 0
                                        ; implicit-def: $vgpr20_vgpr21
                                        ; implicit-def: $vgpr22_vgpr23
	s_and_saveexec_b32 s6, vcc_lo
	s_wait_alu 0xfffe
	s_xor_b32 s6, exec_lo, s6
	s_cbranch_execz .LBB133_6
; %bb.5:
	v_lshlrev_b64_e32 v[3:4], 3, v[1:2]
	s_mov_b32 s9, 0
	s_mov_b32 s4, exec_lo
	v_dual_mov_b32 v23, s9 :: v_dual_mov_b32 v22, s8
	s_delay_alu instid0(VALU_DEP_2) | instskip(NEXT) | instid1(VALU_DEP_1)
	v_add_co_u32 v3, vcc_lo, s2, v3
	v_add_co_ci_u32_e64 v4, null, s3, v4, vcc_lo
	global_load_b64 v[3:4], v[3:4], off
	s_wait_loadcnt 0x0
	v_sub_co_u32 v20, vcc_lo, v3, s8
	s_wait_alu 0xfffd
	v_subrev_co_ci_u32_e64 v21, null, 0, v4, vcc_lo
.LBB133_6:
	s_wait_alu 0xfffe
	s_or_b32 exec_lo, exec_lo, s6
	s_delay_alu instid0(SALU_CYCLE_1)
	s_and_b32 vcc_lo, exec_lo, s5
	s_wait_alu 0xfffe
	s_cbranch_vccnz .LBB133_10
.LBB133_7:
	s_wait_alu 0xfffe
	s_and_b32 exec_lo, exec_lo, s4
	s_cbranch_execnz .LBB133_13
.LBB133_8:
	s_nop 0
	s_sendmsg sendmsg(MSG_DEALLOC_VGPRS)
	s_endpgm
.LBB133_9:
	s_mov_b32 s4, 0
                                        ; implicit-def: $vgpr20_vgpr21
                                        ; implicit-def: $vgpr22_vgpr23
	s_cbranch_execz .LBB133_7
.LBB133_10:
	s_load_b64 s[2:3], s[0:1], 0x0
	s_wait_kmcnt 0x0
	v_cmp_gt_i64_e32 vcc_lo, s[2:3], v[1:2]
	s_and_saveexec_b32 s2, vcc_lo
; %bb.11:
	s_mov_b32 s9, 0
	s_or_b32 s4, s4, exec_lo
; %bb.12:
	s_wait_alu 0xfffe
	s_or_b32 exec_lo, exec_lo, s2
	v_dual_mov_b32 v23, s9 :: v_dual_mov_b32 v22, s8
	v_dual_mov_b32 v21, v2 :: v_dual_mov_b32 v20, v1
	s_and_b32 exec_lo, exec_lo, s4
	s_cbranch_execz .LBB133_8
.LBB133_13:
	s_load_b256 s[4:11], s[0:1], 0x28
	s_delay_alu instid0(VALU_DEP_1) | instskip(SKIP_3) | instid1(VALU_DEP_2)
	v_lshlrev_b64_e32 v[1:2], 3, v[20:21]
	v_dual_mov_b32 v41, 0 :: v_dual_and_b32 v40, 31, v0
	s_load_b32 s3, s[0:1], 0x8
	s_wait_kmcnt 0x0
	v_add_co_u32 v3, vcc_lo, s4, v1
	s_wait_alu 0xfffd
	v_add_co_ci_u32_e64 v4, null, s5, v2, vcc_lo
	v_add_co_u32 v1, vcc_lo, s6, v1
	s_wait_alu 0xfffd
	v_add_co_ci_u32_e64 v2, null, s7, v2, vcc_lo
	v_add_co_u32 v5, vcc_lo, v3, 8
	global_load_b64 v[32:33], v[3:4], off
	s_wait_alu 0xfffd
	v_add_co_ci_u32_e64 v6, null, 0, v4, vcc_lo
	s_cmp_eq_u64 s[6:7], 0
	s_load_b64 s[4:5], s[0:1], 0x48
	s_cselect_b32 vcc_lo, -1, 0
	s_cmp_eq_u32 s3, 1
	s_wait_alu 0xfffe
	v_dual_cndmask_b32 v2, v2, v6 :: v_dual_cndmask_b32 v1, v1, v5
	global_load_b64 v[1:2], v[1:2], off
	s_wait_loadcnt 0x1
	v_sub_co_u32 v0, vcc_lo, v32, v22
	s_wait_alu 0xfffd
	v_sub_co_ci_u32_e64 v3, null, v33, v23, vcc_lo
	s_delay_alu instid0(VALU_DEP_2) | instskip(SKIP_1) | instid1(VALU_DEP_2)
	v_add_co_u32 v24, vcc_lo, v0, v40
	s_wait_alu 0xfffd
	v_add_co_ci_u32_e64 v25, null, 0, v3, vcc_lo
	s_wait_loadcnt 0x0
	v_sub_co_u32 v26, vcc_lo, v1, v22
	s_delay_alu instid0(VALU_DEP_2) | instskip(SKIP_2) | instid1(VALU_DEP_2)
	v_lshlrev_b64_e32 v[0:1], 6, v[24:25]
	s_wait_alu 0xfffd
	v_sub_co_ci_u32_e64 v27, null, v2, v23, vcc_lo
	v_add_co_u32 v30, vcc_lo, s10, v0
	s_delay_alu instid0(VALU_DEP_2)
	v_cmp_lt_i64_e64 s2, v[24:25], v[26:27]
	s_wait_alu 0xfffd
	v_add_co_ci_u32_e64 v31, null, s11, v1, vcc_lo
	s_cbranch_scc1 .LBB133_25
; %bb.14:
	v_dual_mov_b32 v42, 0 :: v_dual_mov_b32 v43, 0
	v_dual_mov_b32 v44, 0 :: v_dual_mov_b32 v45, 0
	;; [unrolled: 1-line block ×3, first 2 shown]
	v_mov_b32_e32 v29, 0
	s_and_saveexec_b32 s6, s2
	s_cbranch_execz .LBB133_24
; %bb.15:
	v_or_b32_e32 v0, 32, v40
	v_not_b32_e32 v3, v32
	v_sub_co_u32 v4, s3, v22, v40
	v_not_b32_e32 v2, v33
	s_delay_alu instid0(VALU_DEP_4)
	v_sub_co_u32 v0, vcc_lo, v0, v22
	s_wait_alu 0xfffd
	v_sub_co_ci_u32_e64 v1, null, 0, v23, vcc_lo
	s_wait_alu 0xf1ff
	v_subrev_co_ci_u32_e64 v5, null, 0, v23, s3
	v_add_co_u32 v0, vcc_lo, v0, v32
	s_wait_alu 0xfffd
	v_add_co_ci_u32_e64 v1, null, v1, v33, vcc_lo
	v_mov_b32_e32 v35, v31
	v_dual_mov_b32 v37, v25 :: v_dual_mov_b32 v36, v24
	s_delay_alu instid0(VALU_DEP_3)
	v_cmp_gt_i64_e32 vcc_lo, v[0:1], v[26:27]
	v_mov_b32_e32 v29, 0
	s_mov_b32 s3, exec_lo
	v_mov_b32_e32 v34, v30
	s_wait_alu 0xfffd
	v_dual_cndmask_b32 v0, v26, v0 :: v_dual_cndmask_b32 v1, v27, v1
	v_mov_b32_e32 v46, v29
	v_add_co_u32 v3, vcc_lo, v4, v3
	s_wait_alu 0xfffd
	v_add_co_ci_u32_e64 v2, null, v5, v2, vcc_lo
	v_dual_mov_b32 v45, v29 :: v_dual_mov_b32 v44, v29
	s_delay_alu instid0(VALU_DEP_3) | instskip(SKIP_3) | instid1(VALU_DEP_3)
	v_add_co_u32 v0, vcc_lo, v3, v0
	v_mov_b32_e32 v47, v29
	s_wait_alu 0xfffd
	v_add_co_ci_u32_e64 v1, null, v2, v1, vcc_lo
	v_dual_mov_b32 v43, v29 :: v_dual_and_b32 v28, 0x60, v0
	v_dual_mov_b32 v42, v29 :: v_dual_mov_b32 v41, v29
	s_delay_alu instid0(VALU_DEP_2)
	v_cmpx_ne_u64_e32 0x60, v[28:29]
	s_cbranch_execz .LBB133_19
; %bb.16:
	v_lshrrev_b32_e32 v2, 5, v0
	v_mov_b32_e32 v41, 0
	v_dual_mov_b32 v37, v25 :: v_dual_mov_b32 v36, v24
	v_dual_mov_b32 v35, v31 :: v_dual_mov_b32 v34, v30
	s_delay_alu instid0(VALU_DEP_4) | instskip(SKIP_2) | instid1(VALU_DEP_3)
	v_add_nc_u32_e32 v4, 1, v2
	v_lshlrev_b64_e32 v[2:3], 3, v[24:25]
	v_dual_mov_b32 v42, 0 :: v_dual_mov_b32 v43, 0
	v_dual_mov_b32 v45, 0 :: v_dual_and_b32 v4, 3, v4
	v_dual_mov_b32 v44, 0 :: v_dual_mov_b32 v47, 0
	s_delay_alu instid0(VALU_DEP_4) | instskip(NEXT) | instid1(VALU_DEP_3)
	v_add_co_u32 v2, vcc_lo, s8, v2
	v_sub_co_u32 v4, s7, 0, v4
	s_wait_alu 0xfffd
	v_add_co_ci_u32_e64 v3, null, s9, v3, vcc_lo
	s_wait_alu 0xf1ff
	v_sub_co_ci_u32_e64 v5, null, 0, 0, s7
	v_dual_mov_b32 v46, 0 :: v_dual_mov_b32 v29, 0
	s_mov_b32 s7, 0
.LBB133_17:                             ; =>This Inner Loop Header: Depth=1
	global_load_b64 v[14:15], v[2:3], off
	s_clause 0x3
	global_load_b128 v[6:9], v[34:35], off offset:48
	global_load_b128 v[10:13], v[34:35], off offset:32
	;; [unrolled: 1-line block ×3, first 2 shown]
	global_load_b128 v[52:55], v[34:35], off
	s_wait_loadcnt 0x4
	v_sub_co_u32 v14, vcc_lo, v14, v22
	s_wait_alu 0xfffd
	v_sub_co_ci_u32_e64 v15, null, v15, v23, vcc_lo
	s_delay_alu instid0(VALU_DEP_1) | instskip(SKIP_1) | instid1(VALU_DEP_1)
	v_lshlrev_b64_e32 v[14:15], 5, v[14:15]
	s_wait_kmcnt 0x0
	v_add_co_u32 v14, vcc_lo, s4, v14
	s_wait_alu 0xfffd
	s_delay_alu instid0(VALU_DEP_2)
	v_add_co_ci_u32_e64 v15, null, s5, v15, vcc_lo
	v_add_co_u32 v34, vcc_lo, 0x800, v34
	s_wait_alu 0xfffd
	v_add_co_ci_u32_e64 v35, null, 0, v35, vcc_lo
	s_clause 0x1
	global_load_b128 v[56:59], v[14:15], off
	global_load_b128 v[60:63], v[14:15], off offset:16
	v_add_co_u32 v36, vcc_lo, v36, 32
	s_wait_alu 0xfffd
	v_add_co_ci_u32_e64 v37, null, 0, v37, vcc_lo
	v_add_co_u32 v4, vcc_lo, v4, 1
	s_wait_alu 0xfffd
	v_add_co_ci_u32_e64 v5, null, 0, v5, vcc_lo
	;; [unrolled: 3-line block ×3, first 2 shown]
	s_delay_alu instid0(VALU_DEP_3) | instskip(SKIP_4) | instid1(VALU_DEP_1)
	v_cmp_eq_u64_e32 vcc_lo, 0, v[4:5]
	s_wait_alu 0xfffe
	s_or_b32 s7, vcc_lo, s7
	s_wait_loadcnt 0x1
	v_fmac_f32_e32 v47, v10, v56
	v_dual_fmac_f32 v42, v52, v56 :: v_dual_fmac_f32 v47, 0x80000000, v57
	s_delay_alu instid0(VALU_DEP_1) | instskip(NEXT) | instid1(VALU_DEP_1)
	v_dual_fmac_f32 v41, 0, v56 :: v_dual_fmac_f32 v42, 0x80000000, v57
	v_dual_fmac_f32 v46, 0, v56 :: v_dual_fmac_f32 v41, v52, v57
	s_delay_alu instid0(VALU_DEP_1) | instskip(SKIP_1) | instid1(VALU_DEP_2)
	v_dual_fmac_f32 v45, 0, v56 :: v_dual_fmac_f32 v46, v6, v57
	v_fmac_f32_e32 v44, v48, v56
	v_dual_fmac_f32 v42, v53, v58 :: v_dual_fmac_f32 v45, v10, v57
	s_delay_alu instid0(VALU_DEP_2) | instskip(NEXT) | instid1(VALU_DEP_4)
	v_dual_fmac_f32 v43, 0, v56 :: v_dual_fmac_f32 v44, 0x80000000, v57
	v_dual_fmac_f32 v29, v6, v56 :: v_dual_fmac_f32 v46, 0, v58
	s_delay_alu instid0(VALU_DEP_2) | instskip(NEXT) | instid1(VALU_DEP_2)
	v_dual_fmac_f32 v42, 0x80000000, v59 :: v_dual_fmac_f32 v43, v48, v57
	v_dual_fmac_f32 v44, v49, v58 :: v_dual_fmac_f32 v29, 0x80000000, v57
	s_delay_alu instid0(VALU_DEP_3) | instskip(NEXT) | instid1(VALU_DEP_2)
	v_dual_fmac_f32 v41, 0, v58 :: v_dual_fmac_f32 v46, v7, v59
	v_dual_fmac_f32 v43, 0, v58 :: v_dual_fmac_f32 v44, 0x80000000, v59
	s_wait_loadcnt 0x0
	v_dual_fmac_f32 v47, v11, v58 :: v_dual_fmac_f32 v42, v54, v60
	v_fmac_f32_e32 v45, 0, v58
	v_dual_fmac_f32 v29, v7, v58 :: v_dual_fmac_f32 v46, 0, v60
	v_dual_fmac_f32 v44, v50, v60 :: v_dual_fmac_f32 v41, v53, v59
	s_delay_alu instid0(VALU_DEP_4) | instskip(NEXT) | instid1(VALU_DEP_3)
	v_dual_fmac_f32 v42, 0x80000000, v61 :: v_dual_fmac_f32 v43, v49, v59
	v_dual_fmac_f32 v47, 0x80000000, v59 :: v_dual_fmac_f32 v46, v8, v61
	v_fmac_f32_e32 v45, v11, v59
	s_delay_alu instid0(VALU_DEP_3) | instskip(SKIP_2) | instid1(VALU_DEP_3)
	v_dual_fmac_f32 v29, 0x80000000, v59 :: v_dual_fmac_f32 v42, v55, v62
	v_dual_fmac_f32 v44, 0x80000000, v61 :: v_dual_fmac_f32 v41, 0, v60
	v_fmac_f32_e32 v43, 0, v60
	v_dual_fmac_f32 v29, v8, v60 :: v_dual_fmac_f32 v46, 0, v62
	s_delay_alu instid0(VALU_DEP_3) | instskip(SKIP_2) | instid1(VALU_DEP_4)
	v_dual_fmac_f32 v45, 0, v60 :: v_dual_fmac_f32 v44, v51, v62
	v_fmac_f32_e32 v47, v12, v60
	v_fmac_f32_e32 v41, v54, v61
	v_dual_fmac_f32 v29, 0x80000000, v61 :: v_dual_fmac_f32 v42, 0x80000000, v63
	s_delay_alu instid0(VALU_DEP_4) | instskip(NEXT) | instid1(VALU_DEP_4)
	v_dual_fmac_f32 v43, v50, v61 :: v_dual_fmac_f32 v44, 0x80000000, v63
	v_dual_fmac_f32 v47, 0x80000000, v61 :: v_dual_fmac_f32 v46, v9, v63
	v_fmac_f32_e32 v45, v12, v61
	v_fmac_f32_e32 v41, 0, v62
	s_delay_alu instid0(VALU_DEP_4) | instskip(NEXT) | instid1(VALU_DEP_4)
	v_fmac_f32_e32 v43, 0, v62
	v_fmac_f32_e32 v47, v13, v62
	v_fmac_f32_e32 v29, v9, v62
	v_fmac_f32_e32 v45, 0, v62
	v_fmac_f32_e32 v41, v55, v63
	v_fmac_f32_e32 v43, v51, v63
	v_fmac_f32_e32 v47, 0x80000000, v63
	v_fmac_f32_e32 v29, 0x80000000, v63
	v_fmac_f32_e32 v45, v13, v63
	s_wait_alu 0xfffe
	s_and_not1_b32 exec_lo, exec_lo, s7
	s_cbranch_execnz .LBB133_17
; %bb.18:
	s_or_b32 exec_lo, exec_lo, s7
.LBB133_19:
	s_wait_alu 0xfffe
	s_or_b32 exec_lo, exec_lo, s3
	s_delay_alu instid0(SALU_CYCLE_1)
	s_mov_b32 s3, exec_lo
	v_cmpx_lt_u64_e32 0x5f, v[0:1]
	s_cbranch_execz .LBB133_23
; %bb.20:
	v_lshlrev_b64_e32 v[0:1], 3, v[36:37]
	s_mov_b32 s7, 0
	s_delay_alu instid0(VALU_DEP_1) | instskip(SKIP_1) | instid1(VALU_DEP_2)
	v_add_co_u32 v0, vcc_lo, s8, v0
	s_wait_alu 0xfffd
	v_add_co_ci_u32_e64 v1, null, s9, v1, vcc_lo
	s_delay_alu instid0(VALU_DEP_2) | instskip(SKIP_1) | instid1(VALU_DEP_2)
	v_add_co_u32 v38, vcc_lo, 0x200, v0
	s_wait_alu 0xfffd
	v_add_co_ci_u32_e64 v39, null, 0, v1, vcc_lo
.LBB133_21:                             ; =>This Inner Loop Header: Depth=1
	s_clause 0x3
	global_load_b64 v[96:97], v[38:39], off offset:-512
	global_load_b64 v[98:99], v[38:39], off offset:-256
	global_load_b64 v[100:101], v[38:39], off
	global_load_b64 v[102:103], v[38:39], off offset:256
	s_clause 0xf
	global_load_b128 v[48:51], v[34:35], off offset:48
	global_load_b128 v[52:55], v[34:35], off offset:32
	;; [unrolled: 1-line block ×3, first 2 shown]
	global_load_b128 v[60:63], v[34:35], off
	global_load_b128 v[64:67], v[34:35], off offset:2096
	global_load_b128 v[68:71], v[34:35], off offset:2080
	;; [unrolled: 1-line block ×12, first 2 shown]
	s_wait_loadcnt 0x13
	v_sub_co_u32 v96, vcc_lo, v96, v22
	s_wait_alu 0xfffd
	v_sub_co_ci_u32_e64 v97, null, v97, v23, vcc_lo
	s_wait_loadcnt 0x12
	v_sub_co_u32 v98, vcc_lo, v98, v22
	s_wait_alu 0xfffd
	v_sub_co_ci_u32_e64 v99, null, v99, v23, vcc_lo
	;; [unrolled: 4-line block ×3, first 2 shown]
	s_wait_loadcnt 0x10
	v_sub_co_u32 v102, vcc_lo, v102, v22
	v_lshlrev_b64_e32 v[96:97], 5, v[96:97]
	s_wait_alu 0xfffd
	v_sub_co_ci_u32_e64 v103, null, v103, v23, vcc_lo
	v_lshlrev_b64_e32 v[98:99], 5, v[98:99]
	v_lshlrev_b64_e32 v[100:101], 5, v[100:101]
	s_delay_alu instid0(VALU_DEP_3)
	v_lshlrev_b64_e32 v[102:103], 5, v[102:103]
	s_wait_kmcnt 0x0
	v_add_co_u32 v104, vcc_lo, s4, v96
	s_wait_alu 0xfffd
	v_add_co_ci_u32_e64 v105, null, s5, v97, vcc_lo
	v_add_co_u32 v108, vcc_lo, s4, v98
	s_wait_alu 0xfffd
	v_add_co_ci_u32_e64 v109, null, s5, v99, vcc_lo
	;; [unrolled: 3-line block ×4, first 2 shown]
	s_clause 0x7
	global_load_b128 v[96:99], v[104:105], off
	global_load_b128 v[100:103], v[104:105], off offset:16
	global_load_b128 v[104:107], v[108:109], off
	global_load_b128 v[108:111], v[108:109], off offset:16
	;; [unrolled: 2-line block ×4, first 2 shown]
	v_add_co_u32 v36, vcc_lo, 0x80, v36
	s_wait_alu 0xfffd
	v_add_co_ci_u32_e64 v37, null, 0, v37, vcc_lo
	v_add_co_u32 v34, vcc_lo, 0x2000, v34
	s_wait_alu 0xfffd
	v_add_co_ci_u32_e64 v35, null, 0, v35, vcc_lo
	;; [unrolled: 3-line block ×3, first 2 shown]
	v_cmp_ge_i64_e32 vcc_lo, v[36:37], v[26:27]
	s_wait_alu 0xfffe
	s_or_b32 s7, vcc_lo, s7
	s_wait_loadcnt 0x7
	v_fmac_f32_e32 v47, v52, v96
	v_fmac_f32_e32 v42, v60, v96
	;; [unrolled: 1-line block ×3, first 2 shown]
	s_delay_alu instid0(VALU_DEP_3) | instskip(NEXT) | instid1(VALU_DEP_3)
	v_dual_fmac_f32 v44, v56, v96 :: v_dual_fmac_f32 v47, 0x80000000, v97
	v_dual_fmac_f32 v41, 0, v96 :: v_dual_fmac_f32 v42, 0x80000000, v97
	s_delay_alu instid0(VALU_DEP_3) | instskip(NEXT) | instid1(VALU_DEP_3)
	v_dual_fmac_f32 v46, 0, v96 :: v_dual_fmac_f32 v29, 0x80000000, v97
	v_dual_fmac_f32 v43, 0, v96 :: v_dual_fmac_f32 v44, 0x80000000, v97
	s_delay_alu instid0(VALU_DEP_3) | instskip(NEXT) | instid1(VALU_DEP_3)
	v_fmac_f32_e32 v41, v60, v97
	v_dual_fmac_f32 v45, 0, v96 :: v_dual_fmac_f32 v46, v48, v97
	s_delay_alu instid0(VALU_DEP_3) | instskip(NEXT) | instid1(VALU_DEP_2)
	v_dual_fmac_f32 v42, v61, v98 :: v_dual_fmac_f32 v43, v56, v97
	v_dual_fmac_f32 v44, v57, v98 :: v_dual_fmac_f32 v45, v52, v97
	s_delay_alu instid0(VALU_DEP_3) | instskip(NEXT) | instid1(VALU_DEP_3)
	v_fmac_f32_e32 v46, 0, v98
	v_dual_fmac_f32 v42, 0x80000000, v99 :: v_dual_fmac_f32 v41, 0, v98
	s_delay_alu instid0(VALU_DEP_3) | instskip(NEXT) | instid1(VALU_DEP_3)
	v_dual_fmac_f32 v44, 0x80000000, v99 :: v_dual_fmac_f32 v43, 0, v98
	v_fmac_f32_e32 v46, v49, v99
	s_wait_loadcnt 0x6
	s_delay_alu instid0(VALU_DEP_3) | instskip(NEXT) | instid1(VALU_DEP_3)
	v_dual_fmac_f32 v47, v53, v98 :: v_dual_fmac_f32 v42, v62, v100
	v_dual_fmac_f32 v45, 0, v98 :: v_dual_fmac_f32 v44, v58, v100
	s_delay_alu instid0(VALU_DEP_3) | instskip(NEXT) | instid1(VALU_DEP_3)
	v_dual_fmac_f32 v29, v49, v98 :: v_dual_fmac_f32 v46, 0, v100
	v_dual_fmac_f32 v41, v61, v99 :: v_dual_fmac_f32 v42, 0x80000000, v101
	s_delay_alu instid0(VALU_DEP_3) | instskip(NEXT) | instid1(VALU_DEP_3)
	v_dual_fmac_f32 v43, v57, v99 :: v_dual_fmac_f32 v44, 0x80000000, v101
	v_dual_fmac_f32 v47, 0x80000000, v99 :: v_dual_fmac_f32 v46, v50, v101
	s_delay_alu instid0(VALU_DEP_3) | instskip(NEXT) | instid1(VALU_DEP_3)
	v_dual_fmac_f32 v45, v53, v99 :: v_dual_fmac_f32 v42, v63, v102
	v_dual_fmac_f32 v29, 0x80000000, v99 :: v_dual_fmac_f32 v44, v59, v102
	s_delay_alu instid0(VALU_DEP_3) | instskip(NEXT) | instid1(VALU_DEP_3)
	v_dual_fmac_f32 v41, 0, v100 :: v_dual_fmac_f32 v46, 0, v102
	v_dual_fmac_f32 v43, 0, v100 :: v_dual_fmac_f32 v42, 0x80000000, v103
	s_delay_alu instid0(VALU_DEP_3) | instskip(NEXT) | instid1(VALU_DEP_3)
	v_dual_fmac_f32 v47, v54, v100 :: v_dual_fmac_f32 v44, 0x80000000, v103
	v_dual_fmac_f32 v45, 0, v100 :: v_dual_fmac_f32 v46, v51, v103
	s_wait_loadcnt 0x5
	s_delay_alu instid0(VALU_DEP_3) | instskip(SKIP_3) | instid1(VALU_DEP_4)
	v_dual_fmac_f32 v41, v62, v101 :: v_dual_fmac_f32 v42, v76, v104
	v_fmac_f32_e32 v29, v50, v100
	v_dual_fmac_f32 v43, v58, v101 :: v_dual_fmac_f32 v44, v72, v104
	v_dual_fmac_f32 v47, 0x80000000, v101 :: v_dual_fmac_f32 v46, 0, v104
	v_fmac_f32_e32 v42, 0x80000000, v105
	v_fmac_f32_e32 v45, v54, v101
	s_delay_alu instid0(VALU_DEP_4) | instskip(NEXT) | instid1(VALU_DEP_4)
	v_dual_fmac_f32 v41, 0, v102 :: v_dual_fmac_f32 v44, 0x80000000, v105
	v_dual_fmac_f32 v43, 0, v102 :: v_dual_fmac_f32 v46, v64, v105
	s_delay_alu instid0(VALU_DEP_4) | instskip(NEXT) | instid1(VALU_DEP_3)
	v_dual_fmac_f32 v42, v77, v106 :: v_dual_fmac_f32 v29, 0x80000000, v101
	v_fmac_f32_e32 v44, v73, v106
	v_fmac_f32_e32 v47, v55, v102
	s_delay_alu instid0(VALU_DEP_4) | instskip(NEXT) | instid1(VALU_DEP_4)
	v_dual_fmac_f32 v41, v63, v103 :: v_dual_fmac_f32 v46, 0, v106
	v_dual_fmac_f32 v42, 0x80000000, v107 :: v_dual_fmac_f32 v45, 0, v102
	s_delay_alu instid0(VALU_DEP_4) | instskip(NEXT) | instid1(VALU_DEP_3)
	v_dual_fmac_f32 v44, 0x80000000, v107 :: v_dual_fmac_f32 v29, v51, v102
	v_fmac_f32_e32 v46, v65, v107
	s_wait_loadcnt 0x4
	s_delay_alu instid0(VALU_DEP_3) | instskip(NEXT) | instid1(VALU_DEP_3)
	v_dual_fmac_f32 v43, v59, v103 :: v_dual_fmac_f32 v42, v78, v108
	v_dual_fmac_f32 v47, 0x80000000, v103 :: v_dual_fmac_f32 v44, v74, v108
	s_delay_alu instid0(VALU_DEP_3) | instskip(NEXT) | instid1(VALU_DEP_3)
	v_dual_fmac_f32 v45, v55, v103 :: v_dual_fmac_f32 v46, 0, v108
	v_dual_fmac_f32 v29, 0x80000000, v103 :: v_dual_fmac_f32 v42, 0x80000000, v109
	;; [unrolled: 3-line block ×6, first 2 shown]
	s_wait_loadcnt 0x3
	s_delay_alu instid0(VALU_DEP_3) | instskip(SKIP_2) | instid1(VALU_DEP_3)
	v_dual_fmac_f32 v29, 0x80000000, v105 :: v_dual_fmac_f32 v42, v92, v112
	v_fmac_f32_e32 v45, v68, v105
	v_dual_fmac_f32 v41, 0, v106 :: v_dual_fmac_f32 v44, v88, v112
	v_dual_fmac_f32 v43, 0, v106 :: v_dual_fmac_f32 v42, 0x80000000, v113
	;; [unrolled: 1-line block ×3, first 2 shown]
	s_delay_alu instid0(VALU_DEP_3) | instskip(NEXT) | instid1(VALU_DEP_2)
	v_dual_fmac_f32 v45, 0, v106 :: v_dual_fmac_f32 v44, 0x80000000, v113
	v_dual_fmac_f32 v42, v93, v114 :: v_dual_fmac_f32 v47, 0x80000000, v107
	s_delay_alu instid0(VALU_DEP_3) | instskip(SKIP_1) | instid1(VALU_DEP_4)
	v_dual_fmac_f32 v29, v65, v106 :: v_dual_fmac_f32 v46, v80, v113
	v_fmac_f32_e32 v41, v77, v107
	v_fmac_f32_e32 v44, v89, v114
	s_delay_alu instid0(VALU_DEP_4) | instskip(SKIP_2) | instid1(VALU_DEP_4)
	v_fmac_f32_e32 v42, 0x80000000, v115
	v_fmac_f32_e32 v43, v73, v107
	v_dual_fmac_f32 v29, 0x80000000, v107 :: v_dual_fmac_f32 v46, 0, v114
	v_dual_fmac_f32 v41, 0, v108 :: v_dual_fmac_f32 v44, 0x80000000, v115
	s_wait_loadcnt 0x2
	v_fmac_f32_e32 v42, v94, v116
	s_delay_alu instid0(VALU_DEP_3) | instskip(NEXT) | instid1(VALU_DEP_3)
	v_dual_fmac_f32 v43, 0, v108 :: v_dual_fmac_f32 v46, v81, v115
	v_dual_fmac_f32 v45, v69, v107 :: v_dual_fmac_f32 v44, v90, v116
	v_fmac_f32_e32 v41, v78, v109
	s_delay_alu instid0(VALU_DEP_4) | instskip(NEXT) | instid1(VALU_DEP_4)
	v_dual_fmac_f32 v47, v70, v108 :: v_dual_fmac_f32 v42, 0x80000000, v117
	v_fmac_f32_e32 v46, 0, v116
	s_delay_alu instid0(VALU_DEP_4) | instskip(NEXT) | instid1(VALU_DEP_4)
	;; [unrolled: 3-line block ×3, first 2 shown]
	v_dual_fmac_f32 v29, v66, v108 :: v_dual_fmac_f32 v42, v95, v118
	v_fmac_f32_e32 v46, v82, v117
	s_delay_alu instid0(VALU_DEP_4) | instskip(SKIP_1) | instid1(VALU_DEP_4)
	v_dual_fmac_f32 v43, v74, v109 :: v_dual_fmac_f32 v44, v91, v118
	v_fmac_f32_e32 v47, 0x80000000, v109
	v_dual_fmac_f32 v45, v70, v109 :: v_dual_fmac_f32 v42, 0x80000000, v119
	s_delay_alu instid0(VALU_DEP_4) | instskip(NEXT) | instid1(VALU_DEP_4)
	v_dual_fmac_f32 v46, 0, v118 :: v_dual_fmac_f32 v29, 0x80000000, v109
	v_dual_fmac_f32 v44, 0x80000000, v119 :: v_dual_fmac_f32 v43, 0, v110
	s_wait_loadcnt 0x1
	s_delay_alu instid0(VALU_DEP_3) | instskip(NEXT) | instid1(VALU_DEP_3)
	v_dual_fmac_f32 v47, v71, v110 :: v_dual_fmac_f32 v42, v12, v120
	v_dual_fmac_f32 v46, v83, v119 :: v_dual_fmac_f32 v45, 0, v110
	s_delay_alu instid0(VALU_DEP_3) | instskip(NEXT) | instid1(VALU_DEP_3)
	v_dual_fmac_f32 v44, v8, v120 :: v_dual_fmac_f32 v29, v67, v110
	v_dual_fmac_f32 v41, v79, v111 :: v_dual_fmac_f32 v42, 0x80000000, v121
	s_delay_alu instid0(VALU_DEP_3) | instskip(NEXT) | instid1(VALU_DEP_3)
	v_dual_fmac_f32 v46, 0, v120 :: v_dual_fmac_f32 v43, v75, v111
	v_dual_fmac_f32 v44, 0x80000000, v121 :: v_dual_fmac_f32 v47, 0x80000000, v111
	s_delay_alu instid0(VALU_DEP_3) | instskip(NEXT) | instid1(VALU_DEP_3)
	v_dual_fmac_f32 v45, v71, v111 :: v_dual_fmac_f32 v42, v13, v122
	v_dual_fmac_f32 v46, v0, v121 :: v_dual_fmac_f32 v29, 0x80000000, v111
	s_delay_alu instid0(VALU_DEP_3) | instskip(NEXT) | instid1(VALU_DEP_3)
	v_dual_fmac_f32 v44, v9, v122 :: v_dual_fmac_f32 v41, 0, v112
	v_dual_fmac_f32 v43, 0, v112 :: v_dual_fmac_f32 v42, 0x80000000, v123
	s_delay_alu instid0(VALU_DEP_3) | instskip(NEXT) | instid1(VALU_DEP_3)
	v_dual_fmac_f32 v46, 0, v122 :: v_dual_fmac_f32 v47, v84, v112
	v_dual_fmac_f32 v44, 0x80000000, v123 :: v_dual_fmac_f32 v45, 0, v112
	s_wait_loadcnt 0x0
	s_delay_alu instid0(VALU_DEP_3) | instskip(NEXT) | instid1(VALU_DEP_3)
	v_dual_fmac_f32 v41, v92, v113 :: v_dual_fmac_f32 v42, v14, v124
	v_dual_fmac_f32 v46, v1, v123 :: v_dual_fmac_f32 v29, v80, v112
	s_delay_alu instid0(VALU_DEP_3) | instskip(NEXT) | instid1(VALU_DEP_2)
	v_dual_fmac_f32 v43, v88, v113 :: v_dual_fmac_f32 v44, v10, v124
	v_dual_fmac_f32 v47, 0x80000000, v113 :: v_dual_fmac_f32 v46, 0, v124
	s_delay_alu instid0(VALU_DEP_4) | instskip(NEXT) | instid1(VALU_DEP_3)
	v_fmac_f32_e32 v41, 0, v114
	v_dual_fmac_f32 v43, 0, v114 :: v_dual_fmac_f32 v42, 0x80000000, v125
	v_fmac_f32_e32 v45, v84, v113
	v_fmac_f32_e32 v44, 0x80000000, v125
	;; [unrolled: 1-line block ×3, first 2 shown]
	v_dual_fmac_f32 v46, v2, v125 :: v_dual_fmac_f32 v41, v93, v115
	v_fmac_f32_e32 v42, v15, v126
	v_fmac_f32_e32 v47, v85, v114
	;; [unrolled: 1-line block ×73, first 2 shown]
	s_wait_alu 0xfffe
	s_and_not1_b32 exec_lo, exec_lo, s7
	s_cbranch_execnz .LBB133_21
; %bb.22:
	s_or_b32 exec_lo, exec_lo, s7
.LBB133_23:
	s_wait_alu 0xfffe
	s_or_b32 exec_lo, exec_lo, s3
.LBB133_24:
	s_wait_alu 0xfffe
	s_or_b32 exec_lo, exec_lo, s6
	s_cbranch_execz .LBB133_26
	s_branch .LBB133_37
.LBB133_25:
                                        ; implicit-def: $vgpr41
                                        ; implicit-def: $vgpr42
                                        ; implicit-def: $vgpr43
                                        ; implicit-def: $vgpr44
                                        ; implicit-def: $vgpr45
                                        ; implicit-def: $vgpr47
                                        ; implicit-def: $vgpr46
                                        ; implicit-def: $vgpr29
.LBB133_26:
	v_dual_mov_b32 v41, 0 :: v_dual_mov_b32 v42, 0
	v_dual_mov_b32 v43, 0 :: v_dual_mov_b32 v44, 0
	;; [unrolled: 1-line block ×3, first 2 shown]
	v_mov_b32_e32 v47, 0
	v_mov_b32_e32 v29, 0
	s_and_saveexec_b32 s3, s2
	s_cbranch_execz .LBB133_36
; %bb.27:
	v_or_b32_e32 v0, 32, v40
	v_not_b32_e32 v3, v32
	v_not_b32_e32 v2, v33
	s_delay_alu instid0(VALU_DEP_3) | instskip(SKIP_2) | instid1(VALU_DEP_2)
	v_sub_co_u32 v0, vcc_lo, v0, v22
	s_wait_alu 0xfffd
	v_sub_co_ci_u32_e64 v1, null, 0, v23, vcc_lo
	v_add_co_u32 v0, vcc_lo, v0, v32
	s_wait_alu 0xfffd
	s_delay_alu instid0(VALU_DEP_2) | instskip(SKIP_3) | instid1(VALU_DEP_3)
	v_add_co_ci_u32_e64 v1, null, v1, v33, vcc_lo
	v_sub_co_u32 v4, vcc_lo, v22, v40
	s_wait_alu 0xfffd
	v_subrev_co_ci_u32_e64 v5, null, 0, v23, vcc_lo
	v_cmp_gt_i64_e64 s2, v[0:1], v[26:27]
	s_delay_alu instid0(VALU_DEP_3) | instskip(SKIP_1) | instid1(VALU_DEP_3)
	v_add_co_u32 v3, vcc_lo, v4, v3
	s_wait_alu 0xfffd
	v_add_co_ci_u32_e64 v2, null, v5, v2, vcc_lo
	s_wait_alu 0xf1ff
	s_delay_alu instid0(VALU_DEP_3) | instskip(SKIP_2) | instid1(VALU_DEP_2)
	v_cndmask_b32_e64 v0, v26, v0, s2
	v_cndmask_b32_e64 v1, v27, v1, s2
	s_mov_b32 s2, exec_lo
	v_add_co_u32 v0, vcc_lo, v3, v0
	v_mov_b32_e32 v29, 0
	s_wait_alu 0xfffd
	v_add_co_ci_u32_e64 v1, null, v2, v1, vcc_lo
	s_delay_alu instid0(VALU_DEP_3) | instskip(NEXT) | instid1(VALU_DEP_3)
	v_and_b32_e32 v28, 0x60, v0
	v_dual_mov_b32 v46, v29 :: v_dual_mov_b32 v47, v29
	v_dual_mov_b32 v45, v29 :: v_dual_mov_b32 v44, v29
	;; [unrolled: 1-line block ×3, first 2 shown]
	v_mov_b32_e32 v41, v29
	v_cmpx_ne_u64_e32 0x60, v[28:29]
	s_cbranch_execz .LBB133_31
; %bb.28:
	v_lshrrev_b32_e32 v2, 5, v0
	v_dual_mov_b32 v41, 0 :: v_dual_mov_b32 v42, 0
	v_dual_mov_b32 v43, 0 :: v_dual_mov_b32 v44, 0
	s_delay_alu instid0(VALU_DEP_3) | instskip(SKIP_2) | instid1(VALU_DEP_3)
	v_dual_mov_b32 v45, 0 :: v_dual_add_nc_u32 v4, 1, v2
	v_lshlrev_b64_e32 v[2:3], 3, v[24:25]
	v_dual_mov_b32 v46, 0 :: v_dual_mov_b32 v29, 0
	v_dual_mov_b32 v47, 0 :: v_dual_and_b32 v4, 3, v4
	s_delay_alu instid0(VALU_DEP_3) | instskip(SKIP_1) | instid1(VALU_DEP_4)
	v_add_co_u32 v2, vcc_lo, s8, v2
	s_wait_alu 0xfffd
	v_add_co_ci_u32_e64 v3, null, s9, v3, vcc_lo
	s_delay_alu instid0(VALU_DEP_3)
	v_sub_co_u32 v4, s6, 0, v4
	s_wait_alu 0xf1ff
	v_sub_co_ci_u32_e64 v5, null, 0, 0, s6
	s_mov_b32 s6, 0
.LBB133_29:                             ; =>This Inner Loop Header: Depth=1
	global_load_b64 v[14:15], v[2:3], off
	s_clause 0x1
	global_load_b128 v[6:9], v[30:31], off offset:16
	global_load_b128 v[10:13], v[30:31], off
	s_wait_loadcnt 0x2
	v_sub_co_u32 v14, vcc_lo, v14, v22
	s_wait_alu 0xfffd
	v_sub_co_ci_u32_e64 v15, null, v15, v23, vcc_lo
	s_delay_alu instid0(VALU_DEP_1) | instskip(SKIP_1) | instid1(VALU_DEP_1)
	v_lshlrev_b64_e32 v[14:15], 5, v[14:15]
	s_wait_kmcnt 0x0
	v_add_co_u32 v14, vcc_lo, s4, v14
	s_wait_alu 0xfffd
	s_delay_alu instid0(VALU_DEP_2)
	v_add_co_ci_u32_e64 v15, null, s5, v15, vcc_lo
	s_clause 0x1
	global_load_b128 v[32:35], v[14:15], off
	global_load_b128 v[36:39], v[14:15], off offset:16
	s_clause 0x1
	global_load_b128 v[48:51], v[30:31], off offset:32
	global_load_b128 v[52:55], v[30:31], off offset:48
	v_add_co_u32 v30, vcc_lo, 0x800, v30
	s_wait_alu 0xfffd
	v_add_co_ci_u32_e64 v31, null, 0, v31, vcc_lo
	v_add_co_u32 v24, vcc_lo, v24, 32
	s_wait_alu 0xfffd
	v_add_co_ci_u32_e64 v25, null, 0, v25, vcc_lo
	;; [unrolled: 3-line block ×4, first 2 shown]
	s_delay_alu instid0(VALU_DEP_3)
	v_cmp_eq_u64_e32 vcc_lo, 0, v[4:5]
	s_wait_alu 0xfffe
	s_or_b32 s6, vcc_lo, s6
	s_wait_loadcnt 0x3
	v_fmac_f32_e32 v43, 0, v32
	v_fmac_f32_e32 v42, v10, v32
	;; [unrolled: 1-line block ×4, first 2 shown]
	s_delay_alu instid0(VALU_DEP_4) | instskip(NEXT) | instid1(VALU_DEP_4)
	v_fmac_f32_e32 v43, v11, v33
	v_dual_fmac_f32 v41, 0, v32 :: v_dual_fmac_f32 v42, 0x80000000, v33
	v_fmac_f32_e32 v44, v11, v32
	v_dual_fmac_f32 v45, 0, v32 :: v_dual_fmac_f32 v46, v13, v33
	s_delay_alu instid0(VALU_DEP_3) | instskip(NEXT) | instid1(VALU_DEP_4)
	v_fmac_f32_e32 v41, v10, v33
	v_fmac_f32_e32 v42, v6, v34
	s_delay_alu instid0(VALU_DEP_4) | instskip(NEXT) | instid1(VALU_DEP_4)
	v_dual_fmac_f32 v44, 0x80000000, v33 :: v_dual_fmac_f32 v29, v13, v32
	v_dual_fmac_f32 v45, v12, v33 :: v_dual_fmac_f32 v46, 0, v34
	s_delay_alu instid0(VALU_DEP_2) | instskip(NEXT) | instid1(VALU_DEP_3)
	v_dual_fmac_f32 v47, 0x80000000, v33 :: v_dual_fmac_f32 v44, v7, v34
	v_dual_fmac_f32 v29, 0x80000000, v33 :: v_dual_fmac_f32 v42, 0x80000000, v35
	v_fmac_f32_e32 v41, 0, v34
	s_delay_alu instid0(VALU_DEP_4) | instskip(NEXT) | instid1(VALU_DEP_4)
	v_dual_fmac_f32 v43, 0, v34 :: v_dual_fmac_f32 v46, v9, v35
	v_dual_fmac_f32 v44, 0x80000000, v35 :: v_dual_fmac_f32 v47, v8, v34
	s_wait_loadcnt 0x1
	v_dual_fmac_f32 v45, 0, v34 :: v_dual_fmac_f32 v42, v48, v36
	s_delay_alu instid0(VALU_DEP_3) | instskip(NEXT) | instid1(VALU_DEP_3)
	v_dual_fmac_f32 v29, v9, v34 :: v_dual_fmac_f32 v46, 0, v36
	v_dual_fmac_f32 v44, v49, v36 :: v_dual_fmac_f32 v41, v6, v35
	s_delay_alu instid0(VALU_DEP_3) | instskip(NEXT) | instid1(VALU_DEP_3)
	v_dual_fmac_f32 v42, 0x80000000, v37 :: v_dual_fmac_f32 v43, v7, v35
	v_dual_fmac_f32 v47, 0x80000000, v35 :: v_dual_fmac_f32 v46, v51, v37
	s_wait_loadcnt 0x0
	s_delay_alu instid0(VALU_DEP_2) | instskip(SKIP_1) | instid1(VALU_DEP_3)
	v_dual_fmac_f32 v29, 0x80000000, v35 :: v_dual_fmac_f32 v42, v52, v38
	v_dual_fmac_f32 v44, 0x80000000, v37 :: v_dual_fmac_f32 v45, v8, v35
	;; [unrolled: 1-line block ×3, first 2 shown]
	s_delay_alu instid0(VALU_DEP_3) | instskip(NEXT) | instid1(VALU_DEP_3)
	v_dual_fmac_f32 v43, 0, v36 :: v_dual_fmac_f32 v42, 0x80000000, v39
	v_dual_fmac_f32 v29, v51, v36 :: v_dual_fmac_f32 v44, v53, v38
	v_fmac_f32_e32 v47, v50, v36
	s_delay_alu instid0(VALU_DEP_4) | instskip(SKIP_3) | instid1(VALU_DEP_4)
	v_dual_fmac_f32 v45, 0, v36 :: v_dual_fmac_f32 v46, v55, v39
	v_fmac_f32_e32 v41, v48, v37
	v_fmac_f32_e32 v43, v49, v37
	;; [unrolled: 1-line block ×3, first 2 shown]
	v_dual_fmac_f32 v45, v50, v37 :: v_dual_fmac_f32 v44, 0x80000000, v39
	v_fmac_f32_e32 v47, 0x80000000, v37
	v_fmac_f32_e32 v41, 0, v38
	;; [unrolled: 1-line block ×3, first 2 shown]
	s_delay_alu instid0(VALU_DEP_4)
	v_fmac_f32_e32 v45, 0, v38
	v_fmac_f32_e32 v29, v55, v38
	;; [unrolled: 1-line block ×8, first 2 shown]
	s_wait_alu 0xfffe
	s_and_not1_b32 exec_lo, exec_lo, s6
	s_cbranch_execnz .LBB133_29
; %bb.30:
	s_or_b32 exec_lo, exec_lo, s6
.LBB133_31:
	s_wait_alu 0xfffe
	s_or_b32 exec_lo, exec_lo, s2
	s_delay_alu instid0(SALU_CYCLE_1)
	s_mov_b32 s2, exec_lo
	v_cmpx_lt_u64_e32 0x5f, v[0:1]
	s_cbranch_execz .LBB133_35
; %bb.32:
	v_lshlrev_b64_e32 v[0:1], 3, v[24:25]
	s_mov_b32 s6, 0
	s_delay_alu instid0(VALU_DEP_1) | instskip(SKIP_1) | instid1(VALU_DEP_2)
	v_add_co_u32 v0, vcc_lo, s8, v0
	s_wait_alu 0xfffd
	v_add_co_ci_u32_e64 v1, null, s9, v1, vcc_lo
	s_delay_alu instid0(VALU_DEP_2) | instskip(SKIP_1) | instid1(VALU_DEP_2)
	v_add_co_u32 v0, vcc_lo, 0x200, v0
	s_wait_alu 0xfffd
	v_add_co_ci_u32_e64 v1, null, 0, v1, vcc_lo
.LBB133_33:                             ; =>This Inner Loop Header: Depth=1
	s_clause 0x3
	global_load_b64 v[14:15], v[0:1], off offset:-512
	global_load_b64 v[84:85], v[0:1], off offset:-256
	global_load_b64 v[86:87], v[0:1], off
	global_load_b64 v[88:89], v[0:1], off offset:256
	s_clause 0xd
	global_load_b128 v[2:5], v[30:31], off offset:48
	global_load_b128 v[6:9], v[30:31], off offset:32
	;; [unrolled: 1-line block ×3, first 2 shown]
	global_load_b128 v[32:35], v[30:31], off
	global_load_b128 v[36:39], v[30:31], off offset:2096
	global_load_b128 v[48:51], v[30:31], off offset:2080
	global_load_b128 v[52:55], v[30:31], off offset:2064
	global_load_b128 v[56:59], v[30:31], off offset:2048
	global_load_b128 v[60:63], v[30:31], off offset:4144
	global_load_b128 v[64:67], v[30:31], off offset:4128
	global_load_b128 v[68:71], v[30:31], off offset:4112
	global_load_b128 v[72:75], v[30:31], off offset:4096
	global_load_b128 v[76:79], v[30:31], off offset:6160
	global_load_b128 v[80:83], v[30:31], off offset:6144
	s_wait_loadcnt 0x11
	v_sub_co_u32 v14, vcc_lo, v14, v22
	s_wait_alu 0xfffd
	v_sub_co_ci_u32_e64 v15, null, v15, v23, vcc_lo
	s_wait_loadcnt 0x10
	v_sub_co_u32 v84, vcc_lo, v84, v22
	s_wait_alu 0xfffd
	v_sub_co_ci_u32_e64 v85, null, v85, v23, vcc_lo
	;; [unrolled: 4-line block ×3, first 2 shown]
	s_wait_loadcnt 0xe
	v_sub_co_u32 v88, vcc_lo, v88, v22
	v_lshlrev_b64_e32 v[14:15], 5, v[14:15]
	s_wait_alu 0xfffd
	v_sub_co_ci_u32_e64 v89, null, v89, v23, vcc_lo
	v_lshlrev_b64_e32 v[84:85], 5, v[84:85]
	v_lshlrev_b64_e32 v[86:87], 5, v[86:87]
	s_delay_alu instid0(VALU_DEP_3)
	v_lshlrev_b64_e32 v[88:89], 5, v[88:89]
	s_wait_kmcnt 0x0
	v_add_co_u32 v14, vcc_lo, s4, v14
	s_wait_alu 0xfffd
	v_add_co_ci_u32_e64 v15, null, s5, v15, vcc_lo
	v_add_co_u32 v96, vcc_lo, s4, v84
	s_wait_alu 0xfffd
	v_add_co_ci_u32_e64 v97, null, s5, v85, vcc_lo
	;; [unrolled: 3-line block ×4, first 2 shown]
	s_clause 0x6
	global_load_b128 v[84:87], v[14:15], off
	global_load_b128 v[88:91], v[14:15], off offset:16
	global_load_b128 v[92:95], v[96:97], off
	global_load_b128 v[96:99], v[96:97], off offset:16
	;; [unrolled: 2-line block ×4, first 2 shown]
	global_load_b128 v[116:119], v[116:117], off offset:16
	global_load_b128 v[120:123], v[30:31], off offset:6192
	v_add_co_u32 v30, vcc_lo, 0x2000, v30
	s_wait_alu 0xfffd
	v_add_co_ci_u32_e64 v31, null, 0, v31, vcc_lo
	v_add_co_u32 v24, vcc_lo, 0x80, v24
	s_wait_alu 0xfffd
	v_add_co_ci_u32_e64 v25, null, 0, v25, vcc_lo
	;; [unrolled: 3-line block ×3, first 2 shown]
	s_delay_alu instid0(VALU_DEP_3) | instskip(SKIP_4) | instid1(VALU_DEP_1)
	v_cmp_ge_i64_e32 vcc_lo, v[24:25], v[26:27]
	s_wait_alu 0xfffe
	s_or_b32 s6, vcc_lo, s6
	s_wait_loadcnt 0x9
	v_fmac_f32_e32 v46, 0, v84
	v_dual_fmac_f32 v43, 0, v84 :: v_dual_fmac_f32 v46, v35, v85
	s_delay_alu instid0(VALU_DEP_1) | instskip(SKIP_1) | instid1(VALU_DEP_3)
	v_dual_fmac_f32 v42, v32, v84 :: v_dual_fmac_f32 v43, v33, v85
	v_fmac_f32_e32 v41, 0, v84
	v_dual_fmac_f32 v29, v35, v84 :: v_dual_fmac_f32 v46, 0, v86
	s_delay_alu instid0(VALU_DEP_3) | instskip(NEXT) | instid1(VALU_DEP_3)
	v_fmac_f32_e32 v42, 0x80000000, v85
	v_dual_fmac_f32 v44, v33, v84 :: v_dual_fmac_f32 v41, v32, v85
	v_fmac_f32_e32 v47, v34, v84
	s_delay_alu instid0(VALU_DEP_3) | instskip(NEXT) | instid1(VALU_DEP_3)
	v_dual_fmac_f32 v45, 0, v84 :: v_dual_fmac_f32 v42, v10, v86
	v_fmac_f32_e32 v44, 0x80000000, v85
	v_fmac_f32_e32 v29, 0x80000000, v85
	s_delay_alu instid0(VALU_DEP_4) | instskip(NEXT) | instid1(VALU_DEP_4)
	v_fmac_f32_e32 v47, 0x80000000, v85
	v_dual_fmac_f32 v45, v34, v85 :: v_dual_fmac_f32 v42, 0x80000000, v87
	s_delay_alu instid0(VALU_DEP_4)
	v_fmac_f32_e32 v44, v11, v86
	v_fmac_f32_e32 v43, 0, v86
	v_dual_fmac_f32 v41, 0, v86 :: v_dual_fmac_f32 v46, v13, v87
	s_wait_loadcnt 0x8
	v_dual_fmac_f32 v47, v12, v86 :: v_dual_fmac_f32 v42, v6, v88
	v_dual_fmac_f32 v44, 0x80000000, v87 :: v_dual_fmac_f32 v45, 0, v86
	s_delay_alu instid0(VALU_DEP_3) | instskip(NEXT) | instid1(VALU_DEP_3)
	v_dual_fmac_f32 v29, v13, v86 :: v_dual_fmac_f32 v46, 0, v88
	v_dual_fmac_f32 v41, v10, v87 :: v_dual_fmac_f32 v42, 0x80000000, v89
	s_delay_alu instid0(VALU_DEP_3) | instskip(NEXT) | instid1(VALU_DEP_3)
	;; [unrolled: 3-line block ×5, first 2 shown]
	v_dual_fmac_f32 v44, v3, v90 :: v_dual_fmac_f32 v45, 0, v88
	v_fmac_f32_e32 v41, v6, v89
	s_delay_alu instid0(VALU_DEP_4) | instskip(NEXT) | instid1(VALU_DEP_3)
	v_dual_fmac_f32 v47, v8, v88 :: v_dual_fmac_f32 v46, v5, v91
	v_dual_fmac_f32 v44, 0x80000000, v91 :: v_dual_fmac_f32 v43, v7, v89
	s_wait_loadcnt 0x7
	v_fmac_f32_e32 v42, v56, v92
	v_fmac_f32_e32 v29, v9, v88
	v_dual_fmac_f32 v45, v8, v89 :: v_dual_fmac_f32 v46, 0, v92
	v_dual_fmac_f32 v44, v57, v92 :: v_dual_fmac_f32 v41, 0, v90
	s_delay_alu instid0(VALU_DEP_4) | instskip(SKIP_1) | instid1(VALU_DEP_4)
	v_fmac_f32_e32 v42, 0x80000000, v93
	v_fmac_f32_e32 v47, 0x80000000, v89
	v_dual_fmac_f32 v43, 0, v90 :: v_dual_fmac_f32 v46, v59, v93
	s_delay_alu instid0(VALU_DEP_4) | instskip(NEXT) | instid1(VALU_DEP_4)
	v_fmac_f32_e32 v44, 0x80000000, v93
	v_dual_fmac_f32 v29, 0x80000000, v89 :: v_dual_fmac_f32 v42, v52, v94
	s_delay_alu instid0(VALU_DEP_4) | instskip(NEXT) | instid1(VALU_DEP_4)
	;; [unrolled: 3-line block ×3, first 2 shown]
	v_fmac_f32_e32 v44, v53, v94
	v_dual_fmac_f32 v45, 0, v90 :: v_dual_fmac_f32 v42, 0x80000000, v95
	s_delay_alu instid0(VALU_DEP_3) | instskip(NEXT) | instid1(VALU_DEP_3)
	v_dual_fmac_f32 v29, v5, v90 :: v_dual_fmac_f32 v46, v55, v95
	v_fmac_f32_e32 v44, 0x80000000, v95
	s_wait_loadcnt 0x6
	s_delay_alu instid0(VALU_DEP_3) | instskip(SKIP_3) | instid1(VALU_DEP_4)
	v_dual_fmac_f32 v43, v3, v91 :: v_dual_fmac_f32 v42, v48, v96
	v_fmac_f32_e32 v45, v4, v91
	v_dual_fmac_f32 v47, 0x80000000, v91 :: v_dual_fmac_f32 v46, 0, v96
	v_dual_fmac_f32 v44, v49, v96 :: v_dual_fmac_f32 v29, 0x80000000, v91
	;; [unrolled: 1-line block ×3, first 2 shown]
	s_delay_alu instid0(VALU_DEP_3) | instskip(NEXT) | instid1(VALU_DEP_3)
	v_dual_fmac_f32 v43, 0, v92 :: v_dual_fmac_f32 v46, v51, v97
	v_dual_fmac_f32 v44, 0x80000000, v97 :: v_dual_fmac_f32 v47, v58, v92
	s_delay_alu instid0(VALU_DEP_3) | instskip(NEXT) | instid1(VALU_DEP_3)
	v_dual_fmac_f32 v42, v36, v98 :: v_dual_fmac_f32 v45, 0, v92
	v_dual_fmac_f32 v29, v59, v92 :: v_dual_fmac_f32 v46, 0, v98
	;; [unrolled: 3-line block ×4, first 2 shown]
	s_wait_loadcnt 0x5
	s_delay_alu instid0(VALU_DEP_3) | instskip(NEXT) | instid1(VALU_DEP_3)
	v_dual_fmac_f32 v42, v72, v100 :: v_dual_fmac_f32 v29, 0x80000000, v93
	v_dual_fmac_f32 v41, 0, v94 :: v_dual_fmac_f32 v46, 0, v100
	s_delay_alu instid0(VALU_DEP_3) | instskip(NEXT) | instid1(VALU_DEP_3)
	v_dual_fmac_f32 v44, v73, v100 :: v_dual_fmac_f32 v43, 0, v94
	v_dual_fmac_f32 v42, 0x80000000, v101 :: v_dual_fmac_f32 v47, v54, v94
	;; [unrolled: 3-line block ×3, first 2 shown]
	s_delay_alu instid0(VALU_DEP_3) | instskip(SKIP_1) | instid1(VALU_DEP_3)
	v_dual_fmac_f32 v43, v53, v95 :: v_dual_fmac_f32 v42, v68, v102
	v_fmac_f32_e32 v29, v55, v94
	v_dual_fmac_f32 v44, v69, v102 :: v_dual_fmac_f32 v41, 0, v96
	v_dual_fmac_f32 v47, 0x80000000, v95 :: v_dual_fmac_f32 v46, 0, v102
	s_delay_alu instid0(VALU_DEP_4) | instskip(NEXT) | instid1(VALU_DEP_3)
	v_fmac_f32_e32 v42, 0x80000000, v103
	v_fmac_f32_e32 v44, 0x80000000, v103
	;; [unrolled: 1-line block ×4, first 2 shown]
	v_dual_fmac_f32 v43, 0, v96 :: v_dual_fmac_f32 v46, v71, v103
	s_wait_loadcnt 0x4
	v_fmac_f32_e32 v42, v64, v104
	v_fmac_f32_e32 v44, v65, v104
	;; [unrolled: 1-line block ×4, first 2 shown]
	v_dual_fmac_f32 v41, v48, v97 :: v_dual_fmac_f32 v46, 0, v104
	v_fmac_f32_e32 v42, 0x80000000, v105
	v_dual_fmac_f32 v44, 0x80000000, v105 :: v_dual_fmac_f32 v29, v51, v96
	v_fmac_f32_e32 v47, 0x80000000, v97
	s_delay_alu instid0(VALU_DEP_4) | instskip(NEXT) | instid1(VALU_DEP_4)
	v_dual_fmac_f32 v41, 0, v98 :: v_dual_fmac_f32 v46, v67, v105
	v_fmac_f32_e32 v42, v60, v106
	s_delay_alu instid0(VALU_DEP_4) | instskip(SKIP_2) | instid1(VALU_DEP_4)
	v_fmac_f32_e32 v44, v61, v106
	v_fmac_f32_e32 v43, v49, v97
	;; [unrolled: 1-line block ×3, first 2 shown]
	v_dual_fmac_f32 v29, 0x80000000, v97 :: v_dual_fmac_f32 v42, 0x80000000, v107
	s_delay_alu instid0(VALU_DEP_4) | instskip(NEXT) | instid1(VALU_DEP_3)
	v_dual_fmac_f32 v44, 0x80000000, v107 :: v_dual_fmac_f32 v47, v38, v98
	v_fmac_f32_e32 v45, 0, v98
	v_fmac_f32_e32 v46, 0, v106
	s_wait_loadcnt 0x3
	v_dual_fmac_f32 v43, 0, v98 :: v_dual_fmac_f32 v42, v80, v108
	v_dual_fmac_f32 v44, v81, v108 :: v_dual_fmac_f32 v41, v36, v99
	s_delay_alu instid0(VALU_DEP_3) | instskip(SKIP_1) | instid1(VALU_DEP_3)
	v_fmac_f32_e32 v46, v63, v107
	v_fmac_f32_e32 v29, v39, v98
	v_dual_fmac_f32 v43, v37, v99 :: v_dual_fmac_f32 v44, 0x80000000, v109
	v_dual_fmac_f32 v42, 0x80000000, v109 :: v_dual_fmac_f32 v45, v38, v99
	s_delay_alu instid0(VALU_DEP_4) | instskip(NEXT) | instid1(VALU_DEP_3)
	v_dual_fmac_f32 v46, 0, v108 :: v_dual_fmac_f32 v47, 0x80000000, v99
	v_dual_fmac_f32 v29, 0x80000000, v99 :: v_dual_fmac_f32 v44, v77, v110
	s_delay_alu instid0(VALU_DEP_3) | instskip(NEXT) | instid1(VALU_DEP_3)
	v_dual_fmac_f32 v42, v76, v110 :: v_dual_fmac_f32 v43, 0, v100
	v_dual_fmac_f32 v46, v83, v109 :: v_dual_fmac_f32 v41, 0, v100
	s_delay_alu instid0(VALU_DEP_3) | instskip(NEXT) | instid1(VALU_DEP_3)
	v_dual_fmac_f32 v47, v74, v100 :: v_dual_fmac_f32 v44, 0x80000000, v111
	v_dual_fmac_f32 v42, 0x80000000, v111 :: v_dual_fmac_f32 v43, v73, v101
	s_delay_alu instid0(VALU_DEP_3) | instskip(SKIP_1) | instid1(VALU_DEP_3)
	v_dual_fmac_f32 v46, 0, v110 :: v_dual_fmac_f32 v45, 0, v100
	s_wait_loadcnt 0x1
	v_dual_fmac_f32 v41, v72, v101 :: v_dual_fmac_f32 v44, v113, v116
	s_delay_alu instid0(VALU_DEP_3) | instskip(SKIP_2) | instid1(VALU_DEP_4)
	v_fmac_f32_e32 v42, v112, v116
	v_fmac_f32_e32 v29, v75, v100
	v_dual_fmac_f32 v46, v79, v111 :: v_dual_fmac_f32 v47, 0x80000000, v101
	v_dual_fmac_f32 v41, 0, v102 :: v_dual_fmac_f32 v44, 0x80000000, v117
	s_delay_alu instid0(VALU_DEP_4) | instskip(SKIP_1) | instid1(VALU_DEP_4)
	v_fmac_f32_e32 v42, 0x80000000, v117
	v_fmac_f32_e32 v45, v74, v101
	v_dual_fmac_f32 v29, 0x80000000, v101 :: v_dual_fmac_f32 v46, 0, v116
	v_fmac_f32_e32 v43, 0, v102
	s_wait_loadcnt 0x0
	v_fmac_f32_e32 v42, v120, v118
	v_fmac_f32_e32 v47, v70, v102
	;; [unrolled: 1-line block ×5, first 2 shown]
	v_dual_fmac_f32 v46, v115, v117 :: v_dual_fmac_f32 v41, v68, v103
	v_fmac_f32_e32 v43, v69, v103
	v_fmac_f32_e32 v42, 0x80000000, v119
	;; [unrolled: 1-line block ×8, first 2 shown]
	v_dual_fmac_f32 v29, v67, v104 :: v_dual_fmac_f32 v46, 0, v118
	v_fmac_f32_e32 v41, 0, v104
	v_fmac_f32_e32 v45, 0, v104
	;; [unrolled: 1-line block ×4, first 2 shown]
	v_dual_fmac_f32 v29, 0x80000000, v105 :: v_dual_fmac_f32 v46, v123, v119
	v_fmac_f32_e32 v41, v64, v105
	v_fmac_f32_e32 v45, v66, v105
	v_fmac_f32_e32 v43, 0, v106
	v_fmac_f32_e32 v47, v62, v106
	v_fmac_f32_e32 v29, v63, v106
	v_fmac_f32_e32 v41, 0, v106
	v_fmac_f32_e32 v45, 0, v106
	v_fmac_f32_e32 v43, v61, v107
	v_fmac_f32_e32 v47, 0x80000000, v107
	v_fmac_f32_e32 v29, 0x80000000, v107
	v_fmac_f32_e32 v41, v60, v107
	v_fmac_f32_e32 v45, v62, v107
	v_fmac_f32_e32 v43, 0, v108
	v_fmac_f32_e32 v47, v82, v108
	v_fmac_f32_e32 v29, v83, v108
	v_fmac_f32_e32 v41, 0, v108
	v_fmac_f32_e32 v45, 0, v108
	v_fmac_f32_e32 v43, v81, v109
	v_fmac_f32_e32 v47, 0x80000000, v109
	v_fmac_f32_e32 v29, 0x80000000, v109
	v_fmac_f32_e32 v41, v80, v109
	v_fmac_f32_e32 v45, v82, v109
	v_fmac_f32_e32 v43, 0, v110
	v_fmac_f32_e32 v47, v78, v110
	v_fmac_f32_e32 v29, v79, v110
	v_fmac_f32_e32 v41, 0, v110
	v_fmac_f32_e32 v45, 0, v110
	v_fmac_f32_e32 v43, v77, v111
	v_fmac_f32_e32 v47, 0x80000000, v111
	v_fmac_f32_e32 v29, 0x80000000, v111
	v_fmac_f32_e32 v41, v76, v111
	v_fmac_f32_e32 v45, v78, v111
	v_fmac_f32_e32 v43, 0, v116
	v_fmac_f32_e32 v47, v114, v116
	v_fmac_f32_e32 v29, v115, v116
	v_fmac_f32_e32 v41, 0, v116
	v_fmac_f32_e32 v45, 0, v116
	v_fmac_f32_e32 v43, v113, v117
	v_fmac_f32_e32 v47, 0x80000000, v117
	v_fmac_f32_e32 v29, 0x80000000, v117
	v_fmac_f32_e32 v41, v112, v117
	v_fmac_f32_e32 v45, v114, v117
	v_fmac_f32_e32 v43, 0, v118
	v_fmac_f32_e32 v47, v122, v118
	v_fmac_f32_e32 v29, v123, v118
	v_fmac_f32_e32 v41, 0, v118
	v_fmac_f32_e32 v45, 0, v118
	v_fmac_f32_e32 v43, v121, v119
	v_fmac_f32_e32 v47, 0x80000000, v119
	v_fmac_f32_e32 v29, 0x80000000, v119
	v_fmac_f32_e32 v41, v120, v119
	v_fmac_f32_e32 v45, v122, v119
	s_wait_alu 0xfffe
	s_and_not1_b32 exec_lo, exec_lo, s6
	s_cbranch_execnz .LBB133_33
; %bb.34:
	s_or_b32 exec_lo, exec_lo, s6
.LBB133_35:
	s_wait_alu 0xfffe
	s_or_b32 exec_lo, exec_lo, s2
.LBB133_36:
	s_wait_alu 0xfffe
	s_or_b32 exec_lo, exec_lo, s3
.LBB133_37:
	v_mbcnt_lo_u32_b32 v0, -1, 0
	s_delay_alu instid0(VALU_DEP_1) | instskip(SKIP_2) | instid1(VALU_DEP_3)
	v_xor_b32_e32 v1, 16, v0
	v_xor_b32_e32 v9, 8, v0
	;; [unrolled: 1-line block ×3, first 2 shown]
	v_cmp_gt_i32_e32 vcc_lo, 32, v1
	s_wait_alu 0xfffd
	v_cndmask_b32_e32 v1, v0, v1, vcc_lo
	v_cmp_gt_i32_e32 vcc_lo, 32, v9
	s_delay_alu instid0(VALU_DEP_2)
	v_lshlrev_b32_e32 v1, 2, v1
	ds_bpermute_b32 v4, v1, v44
	s_wait_dscnt 0x0
	v_add_f32_e32 v4, v44, v4
	ds_bpermute_b32 v6, v1, v47
	ds_bpermute_b32 v8, v1, v29
	;; [unrolled: 1-line block ×3, first 2 shown]
	s_wait_alu 0xfffd
	v_cndmask_b32_e32 v9, v0, v9, vcc_lo
	ds_bpermute_b32 v5, v1, v43
	ds_bpermute_b32 v3, v1, v41
	;; [unrolled: 1-line block ×4, first 2 shown]
	v_cmp_gt_i32_e32 vcc_lo, 32, v23
	s_wait_dscnt 0x6
	v_dual_add_f32 v6, v47, v6 :: v_dual_lshlrev_b32 v9, 2, v9
	s_wait_dscnt 0x5
	v_add_f32_e32 v8, v29, v8
	s_wait_dscnt 0x4
	v_add_f32_e32 v2, v42, v2
	ds_bpermute_b32 v12, v9, v4
	s_wait_dscnt 0x4
	v_add_f32_e32 v5, v43, v5
	ds_bpermute_b32 v10, v9, v2
	ds_bpermute_b32 v14, v9, v6
	;; [unrolled: 1-line block ×3, first 2 shown]
	s_wait_dscnt 0x6
	v_add_f32_e32 v3, v41, v3
	s_wait_dscnt 0x5
	v_add_f32_e32 v7, v45, v7
	s_wait_dscnt 0x3
	v_dual_add_f32 v1, v46, v1 :: v_dual_add_f32 v4, v4, v12
	ds_bpermute_b32 v13, v9, v5
	s_wait_dscnt 0x3
	s_wait_alu 0xfffd
	v_dual_add_f32 v2, v2, v10 :: v_dual_cndmask_b32 v23, v0, v23
	s_wait_dscnt 0x2
	v_add_f32_e32 v6, v6, v14
	ds_bpermute_b32 v11, v9, v3
	ds_bpermute_b32 v15, v9, v7
	s_wait_dscnt 0x3
	v_dual_add_f32 v8, v8, v22 :: v_dual_lshlrev_b32 v23, 2, v23
	ds_bpermute_b32 v9, v9, v1
	s_wait_dscnt 0x3
	v_add_f32_e32 v5, v5, v13
	ds_bpermute_b32 v13, v23, v6
	s_wait_dscnt 0x0
	v_dual_add_f32 v6, v6, v13 :: v_dual_add_f32 v7, v7, v15
	ds_bpermute_b32 v15, v23, v8
	v_add_f32_e32 v1, v1, v9
	ds_bpermute_b32 v9, v23, v2
	ds_bpermute_b32 v14, v23, v7
	s_wait_dscnt 0x2
	v_add_f32_e32 v8, v8, v15
	ds_bpermute_b32 v22, v23, v1
	s_wait_dscnt 0x2
	v_dual_add_f32 v2, v2, v9 :: v_dual_add_f32 v3, v3, v11
	ds_bpermute_b32 v11, v23, v4
	ds_bpermute_b32 v10, v23, v3
	s_wait_dscnt 0x1
	v_dual_add_f32 v9, v1, v22 :: v_dual_add_f32 v4, v4, v11
	ds_bpermute_b32 v12, v23, v5
	v_xor_b32_e32 v23, 2, v0
	s_wait_dscnt 0x1
	v_add_f32_e32 v3, v3, v10
	s_delay_alu instid0(VALU_DEP_2) | instskip(SKIP_2) | instid1(VALU_DEP_1)
	v_cmp_gt_i32_e32 vcc_lo, 32, v23
	s_wait_alu 0xfffd
	v_cndmask_b32_e32 v23, v0, v23, vcc_lo
	v_lshlrev_b32_e32 v23, 2, v23
	ds_bpermute_b32 v11, v23, v4
	s_wait_dscnt 0x1
	v_add_f32_e32 v5, v5, v12
	ds_bpermute_b32 v15, v23, v8
	v_add_f32_e32 v7, v7, v14
	ds_bpermute_b32 v1, v23, v2
	ds_bpermute_b32 v10, v23, v3
	ds_bpermute_b32 v12, v23, v5
	ds_bpermute_b32 v13, v23, v6
	ds_bpermute_b32 v14, v23, v7
	ds_bpermute_b32 v22, v23, v9
	v_xor_b32_e32 v23, 1, v0
	s_delay_alu instid0(VALU_DEP_1) | instskip(SKIP_4) | instid1(VALU_DEP_2)
	v_cmp_gt_i32_e32 vcc_lo, 32, v23
	s_wait_alu 0xfffd
	v_cndmask_b32_e32 v0, v0, v23, vcc_lo
	v_cmp_eq_u32_e32 vcc_lo, 31, v40
	s_wait_dscnt 0x5
	v_dual_add_f32 v0, v2, v1 :: v_dual_lshlrev_b32 v23, 2, v0
	s_wait_dscnt 0x4
	v_dual_add_f32 v1, v3, v10 :: v_dual_add_f32 v2, v4, v11
	s_wait_dscnt 0x2
	v_dual_add_f32 v3, v5, v12 :: v_dual_add_f32 v4, v6, v13
	;; [unrolled: 2-line block ×3, first 2 shown]
	s_wait_dscnt 0x0
	v_add_f32_e32 v7, v9, v22
	ds_bpermute_b32 v8, v23, v0
	ds_bpermute_b32 v9, v23, v1
	;; [unrolled: 1-line block ×8, first 2 shown]
	s_and_b32 exec_lo, exec_lo, vcc_lo
	s_cbranch_execz .LBB133_8
; %bb.38:
	s_load_b64 s[2:3], s[0:1], 0x58
	s_wait_dscnt 0x7
	v_add_f32_e32 v8, v0, v8
	s_wait_dscnt 0x6
	v_add_f32_e32 v0, v1, v9
	s_wait_dscnt 0x4
	v_dual_add_f32 v10, v2, v10 :: v_dual_add_f32 v1, v3, v11
	s_wait_dscnt 0x2
	v_dual_add_f32 v11, v4, v12 :: v_dual_add_f32 v2, v5, v13
	v_mul_f32_e32 v5, v18, v0
	s_wait_dscnt 0x0
	v_add_f32_e32 v3, v7, v15
	v_mul_f32_e64 v4, v0, -v19
	v_add_f32_e32 v12, v6, v14
	v_mul_f32_e64 v6, v1, -v19
	v_mul_f32_e32 v7, v18, v1
	v_mul_f32_e64 v0, v2, -v19
	v_mul_f32_e32 v1, v18, v2
	;; [unrolled: 2-line block ×3, first 2 shown]
	v_cmp_eq_f32_e32 vcc_lo, 0, v16
	v_cmp_eq_f32_e64 s0, 0, v17
	v_dual_fmac_f32 v4, v18, v8 :: v_dual_fmac_f32 v7, v19, v10
	v_fmac_f32_e32 v5, v19, v8
	v_lshlrev_b64_e32 v[8:9], 5, v[20:21]
	v_dual_fmac_f32 v6, v18, v10 :: v_dual_fmac_f32 v1, v19, v11
	v_dual_fmac_f32 v0, v18, v11 :: v_dual_fmac_f32 v3, v19, v12
	v_fmac_f32_e32 v2, v18, v12
	s_and_b32 s0, vcc_lo, s0
	s_wait_alu 0xfffe
	s_and_saveexec_b32 s1, s0
	s_wait_alu 0xfffe
	s_xor_b32 s0, exec_lo, s1
	s_cbranch_execz .LBB133_40
; %bb.39:
	s_wait_kmcnt 0x0
	v_add_co_u32 v8, vcc_lo, s2, v8
	s_wait_alu 0xfffd
	v_add_co_ci_u32_e64 v9, null, s3, v9, vcc_lo
                                        ; implicit-def: $vgpr16_vgpr17
	s_clause 0x1
	global_store_b128 v[8:9], v[4:7], off
	global_store_b128 v[8:9], v[0:3], off offset:16
                                        ; implicit-def: $vgpr4
                                        ; implicit-def: $vgpr8_vgpr9
                                        ; implicit-def: $vgpr0
.LBB133_40:
	s_wait_alu 0xfffe
	s_and_not1_saveexec_b32 s0, s0
	s_cbranch_execz .LBB133_8
; %bb.41:
	s_wait_kmcnt 0x0
	v_add_co_u32 v18, vcc_lo, s2, v8
	s_wait_alu 0xfffd
	v_add_co_ci_u32_e64 v19, null, s3, v9, vcc_lo
	s_clause 0x1
	global_load_b128 v[8:11], v[18:19], off
	global_load_b128 v[12:15], v[18:19], off offset:16
	s_wait_loadcnt 0x1
	v_dual_fmac_f32 v4, v16, v8 :: v_dual_fmac_f32 v7, v17, v10
	v_dual_fmac_f32 v5, v17, v8 :: v_dual_fmac_f32 v6, v16, v10
	s_wait_loadcnt 0x0
	v_dual_fmac_f32 v0, v16, v12 :: v_dual_fmac_f32 v3, v17, v14
	v_dual_fmac_f32 v1, v17, v12 :: v_dual_fmac_f32 v2, v16, v14
	v_fma_f32 v4, -v17, v9, v4
	v_fmac_f32_e32 v5, v16, v9
	v_fma_f32 v6, -v17, v11, v6
	v_fmac_f32_e32 v7, v16, v11
	v_fma_f32 v0, -v17, v13, v0
	v_fmac_f32_e32 v1, v16, v13
	v_fma_f32 v2, -v17, v15, v2
	v_fmac_f32_e32 v3, v16, v15
	s_clause 0x1
	global_store_b128 v[18:19], v[4:7], off
	global_store_b128 v[18:19], v[0:3], off offset:16
	s_nop 0
	s_sendmsg sendmsg(MSG_DEALLOC_VGPRS)
	s_endpgm
	.section	.rodata,"a",@progbits
	.p2align	6, 0x0
	.amdhsa_kernel _ZN9rocsparseL18bsrxmvn_4x4_kernelILj128ELj32E21rocsparse_complex_numIfEllfS2_S2_EEvT3_20rocsparse_direction_NS_24const_host_device_scalarIT1_EES3_PKS3_PKT2_SC_S9_PKT4_PKT5_S7_PT6_21rocsparse_index_base_b
		.amdhsa_group_segment_fixed_size 0
		.amdhsa_private_segment_fixed_size 0
		.amdhsa_kernarg_size 104
		.amdhsa_user_sgpr_count 2
		.amdhsa_user_sgpr_dispatch_ptr 0
		.amdhsa_user_sgpr_queue_ptr 0
		.amdhsa_user_sgpr_kernarg_segment_ptr 1
		.amdhsa_user_sgpr_dispatch_id 0
		.amdhsa_user_sgpr_private_segment_size 0
		.amdhsa_wavefront_size32 1
		.amdhsa_uses_dynamic_stack 0
		.amdhsa_enable_private_segment 0
		.amdhsa_system_sgpr_workgroup_id_x 1
		.amdhsa_system_sgpr_workgroup_id_y 0
		.amdhsa_system_sgpr_workgroup_id_z 0
		.amdhsa_system_sgpr_workgroup_info 0
		.amdhsa_system_vgpr_workitem_id 0
		.amdhsa_next_free_vgpr 128
		.amdhsa_next_free_sgpr 12
		.amdhsa_reserve_vcc 1
		.amdhsa_float_round_mode_32 0
		.amdhsa_float_round_mode_16_64 0
		.amdhsa_float_denorm_mode_32 3
		.amdhsa_float_denorm_mode_16_64 3
		.amdhsa_fp16_overflow 0
		.amdhsa_workgroup_processor_mode 1
		.amdhsa_memory_ordered 1
		.amdhsa_forward_progress 1
		.amdhsa_inst_pref_size 65
		.amdhsa_round_robin_scheduling 0
		.amdhsa_exception_fp_ieee_invalid_op 0
		.amdhsa_exception_fp_denorm_src 0
		.amdhsa_exception_fp_ieee_div_zero 0
		.amdhsa_exception_fp_ieee_overflow 0
		.amdhsa_exception_fp_ieee_underflow 0
		.amdhsa_exception_fp_ieee_inexact 0
		.amdhsa_exception_int_div_zero 0
	.end_amdhsa_kernel
	.section	.text._ZN9rocsparseL18bsrxmvn_4x4_kernelILj128ELj32E21rocsparse_complex_numIfEllfS2_S2_EEvT3_20rocsparse_direction_NS_24const_host_device_scalarIT1_EES3_PKS3_PKT2_SC_S9_PKT4_PKT5_S7_PT6_21rocsparse_index_base_b,"axG",@progbits,_ZN9rocsparseL18bsrxmvn_4x4_kernelILj128ELj32E21rocsparse_complex_numIfEllfS2_S2_EEvT3_20rocsparse_direction_NS_24const_host_device_scalarIT1_EES3_PKS3_PKT2_SC_S9_PKT4_PKT5_S7_PT6_21rocsparse_index_base_b,comdat
.Lfunc_end133:
	.size	_ZN9rocsparseL18bsrxmvn_4x4_kernelILj128ELj32E21rocsparse_complex_numIfEllfS2_S2_EEvT3_20rocsparse_direction_NS_24const_host_device_scalarIT1_EES3_PKS3_PKT2_SC_S9_PKT4_PKT5_S7_PT6_21rocsparse_index_base_b, .Lfunc_end133-_ZN9rocsparseL18bsrxmvn_4x4_kernelILj128ELj32E21rocsparse_complex_numIfEllfS2_S2_EEvT3_20rocsparse_direction_NS_24const_host_device_scalarIT1_EES3_PKS3_PKT2_SC_S9_PKT4_PKT5_S7_PT6_21rocsparse_index_base_b
                                        ; -- End function
	.set _ZN9rocsparseL18bsrxmvn_4x4_kernelILj128ELj32E21rocsparse_complex_numIfEllfS2_S2_EEvT3_20rocsparse_direction_NS_24const_host_device_scalarIT1_EES3_PKS3_PKT2_SC_S9_PKT4_PKT5_S7_PT6_21rocsparse_index_base_b.num_vgpr, 128
	.set _ZN9rocsparseL18bsrxmvn_4x4_kernelILj128ELj32E21rocsparse_complex_numIfEllfS2_S2_EEvT3_20rocsparse_direction_NS_24const_host_device_scalarIT1_EES3_PKS3_PKT2_SC_S9_PKT4_PKT5_S7_PT6_21rocsparse_index_base_b.num_agpr, 0
	.set _ZN9rocsparseL18bsrxmvn_4x4_kernelILj128ELj32E21rocsparse_complex_numIfEllfS2_S2_EEvT3_20rocsparse_direction_NS_24const_host_device_scalarIT1_EES3_PKS3_PKT2_SC_S9_PKT4_PKT5_S7_PT6_21rocsparse_index_base_b.numbered_sgpr, 12
	.set _ZN9rocsparseL18bsrxmvn_4x4_kernelILj128ELj32E21rocsparse_complex_numIfEllfS2_S2_EEvT3_20rocsparse_direction_NS_24const_host_device_scalarIT1_EES3_PKS3_PKT2_SC_S9_PKT4_PKT5_S7_PT6_21rocsparse_index_base_b.num_named_barrier, 0
	.set _ZN9rocsparseL18bsrxmvn_4x4_kernelILj128ELj32E21rocsparse_complex_numIfEllfS2_S2_EEvT3_20rocsparse_direction_NS_24const_host_device_scalarIT1_EES3_PKS3_PKT2_SC_S9_PKT4_PKT5_S7_PT6_21rocsparse_index_base_b.private_seg_size, 0
	.set _ZN9rocsparseL18bsrxmvn_4x4_kernelILj128ELj32E21rocsparse_complex_numIfEllfS2_S2_EEvT3_20rocsparse_direction_NS_24const_host_device_scalarIT1_EES3_PKS3_PKT2_SC_S9_PKT4_PKT5_S7_PT6_21rocsparse_index_base_b.uses_vcc, 1
	.set _ZN9rocsparseL18bsrxmvn_4x4_kernelILj128ELj32E21rocsparse_complex_numIfEllfS2_S2_EEvT3_20rocsparse_direction_NS_24const_host_device_scalarIT1_EES3_PKS3_PKT2_SC_S9_PKT4_PKT5_S7_PT6_21rocsparse_index_base_b.uses_flat_scratch, 0
	.set _ZN9rocsparseL18bsrxmvn_4x4_kernelILj128ELj32E21rocsparse_complex_numIfEllfS2_S2_EEvT3_20rocsparse_direction_NS_24const_host_device_scalarIT1_EES3_PKS3_PKT2_SC_S9_PKT4_PKT5_S7_PT6_21rocsparse_index_base_b.has_dyn_sized_stack, 0
	.set _ZN9rocsparseL18bsrxmvn_4x4_kernelILj128ELj32E21rocsparse_complex_numIfEllfS2_S2_EEvT3_20rocsparse_direction_NS_24const_host_device_scalarIT1_EES3_PKS3_PKT2_SC_S9_PKT4_PKT5_S7_PT6_21rocsparse_index_base_b.has_recursion, 0
	.set _ZN9rocsparseL18bsrxmvn_4x4_kernelILj128ELj32E21rocsparse_complex_numIfEllfS2_S2_EEvT3_20rocsparse_direction_NS_24const_host_device_scalarIT1_EES3_PKS3_PKT2_SC_S9_PKT4_PKT5_S7_PT6_21rocsparse_index_base_b.has_indirect_call, 0
	.section	.AMDGPU.csdata,"",@progbits
; Kernel info:
; codeLenInByte = 8276
; TotalNumSgprs: 14
; NumVgprs: 128
; ScratchSize: 0
; MemoryBound: 0
; FloatMode: 240
; IeeeMode: 1
; LDSByteSize: 0 bytes/workgroup (compile time only)
; SGPRBlocks: 0
; VGPRBlocks: 15
; NumSGPRsForWavesPerEU: 14
; NumVGPRsForWavesPerEU: 128
; Occupancy: 10
; WaveLimiterHint : 1
; COMPUTE_PGM_RSRC2:SCRATCH_EN: 0
; COMPUTE_PGM_RSRC2:USER_SGPR: 2
; COMPUTE_PGM_RSRC2:TRAP_HANDLER: 0
; COMPUTE_PGM_RSRC2:TGID_X_EN: 1
; COMPUTE_PGM_RSRC2:TGID_Y_EN: 0
; COMPUTE_PGM_RSRC2:TGID_Z_EN: 0
; COMPUTE_PGM_RSRC2:TIDIG_COMP_CNT: 0
	.section	.text._ZN9rocsparseL18bsrxmvn_4x4_kernelILj128ELj64E21rocsparse_complex_numIfEllfS2_S2_EEvT3_20rocsparse_direction_NS_24const_host_device_scalarIT1_EES3_PKS3_PKT2_SC_S9_PKT4_PKT5_S7_PT6_21rocsparse_index_base_b,"axG",@progbits,_ZN9rocsparseL18bsrxmvn_4x4_kernelILj128ELj64E21rocsparse_complex_numIfEllfS2_S2_EEvT3_20rocsparse_direction_NS_24const_host_device_scalarIT1_EES3_PKS3_PKT2_SC_S9_PKT4_PKT5_S7_PT6_21rocsparse_index_base_b,comdat
	.globl	_ZN9rocsparseL18bsrxmvn_4x4_kernelILj128ELj64E21rocsparse_complex_numIfEllfS2_S2_EEvT3_20rocsparse_direction_NS_24const_host_device_scalarIT1_EES3_PKS3_PKT2_SC_S9_PKT4_PKT5_S7_PT6_21rocsparse_index_base_b ; -- Begin function _ZN9rocsparseL18bsrxmvn_4x4_kernelILj128ELj64E21rocsparse_complex_numIfEllfS2_S2_EEvT3_20rocsparse_direction_NS_24const_host_device_scalarIT1_EES3_PKS3_PKT2_SC_S9_PKT4_PKT5_S7_PT6_21rocsparse_index_base_b
	.p2align	8
	.type	_ZN9rocsparseL18bsrxmvn_4x4_kernelILj128ELj64E21rocsparse_complex_numIfEllfS2_S2_EEvT3_20rocsparse_direction_NS_24const_host_device_scalarIT1_EES3_PKS3_PKT2_SC_S9_PKT4_PKT5_S7_PT6_21rocsparse_index_base_b,@function
_ZN9rocsparseL18bsrxmvn_4x4_kernelILj128ELj64E21rocsparse_complex_numIfEllfS2_S2_EEvT3_20rocsparse_direction_NS_24const_host_device_scalarIT1_EES3_PKS3_PKT2_SC_S9_PKT4_PKT5_S7_PT6_21rocsparse_index_base_b: ; @_ZN9rocsparseL18bsrxmvn_4x4_kernelILj128ELj64E21rocsparse_complex_numIfEllfS2_S2_EEvT3_20rocsparse_direction_NS_24const_host_device_scalarIT1_EES3_PKS3_PKT2_SC_S9_PKT4_PKT5_S7_PT6_21rocsparse_index_base_b
; %bb.0:
	s_clause 0x2
	s_load_b64 s[8:9], s[0:1], 0x60
	s_load_b128 s[4:7], s[0:1], 0x10
	s_load_b64 s[2:3], s[0:1], 0x50
	s_add_nc_u64 s[10:11], s[0:1], 16
	s_wait_kmcnt 0x0
	s_bitcmp1_b32 s9, 0
	s_cselect_b32 s4, s10, s4
	s_cselect_b32 s5, s11, s5
	s_delay_alu instid0(SALU_CYCLE_1)
	v_dual_mov_b32 v1, s4 :: v_dual_mov_b32 v2, s5
	s_add_nc_u64 s[4:5], s[0:1], 0x50
	s_wait_alu 0xfffe
	s_cselect_b32 s2, s4, s2
	s_cselect_b32 s3, s5, s3
	flat_load_b64 v[18:19], v[1:2]
	v_dual_mov_b32 v1, s2 :: v_dual_mov_b32 v2, s3
	flat_load_b64 v[16:17], v[1:2]
	s_wait_loadcnt_dscnt 0x101
	v_cmp_eq_f32_e32 vcc_lo, 0, v18
	v_cmp_eq_f32_e64 s2, 0, v19
	s_and_b32 s4, vcc_lo, s2
	s_mov_b32 s2, -1
	s_wait_alu 0xfffe
	s_and_saveexec_b32 s3, s4
	s_cbranch_execz .LBB134_2
; %bb.1:
	s_wait_loadcnt_dscnt 0x0
	v_cmp_neq_f32_e32 vcc_lo, 1.0, v16
	v_cmp_neq_f32_e64 s2, 0, v17
	s_or_b32 s2, vcc_lo, s2
	s_wait_alu 0xfffe
	s_or_not1_b32 s2, s2, exec_lo
.LBB134_2:
	s_wait_alu 0xfffe
	s_or_b32 exec_lo, exec_lo, s3
	s_and_saveexec_b32 s3, s2
	s_cbranch_execz .LBB134_8
; %bb.3:
	s_load_b64 s[2:3], s[0:1], 0x20
	v_lshrrev_b32_e32 v1, 6, v0
	v_mov_b32_e32 v2, 0
	s_delay_alu instid0(VALU_DEP_2)
	v_lshl_or_b32 v1, ttmp9, 1, v1
	s_wait_kmcnt 0x0
	s_cmp_lg_u64 s[2:3], 0
	s_cbranch_scc0 .LBB134_9
; %bb.4:
	s_delay_alu instid0(VALU_DEP_1)
	v_cmp_gt_i64_e32 vcc_lo, s[6:7], v[1:2]
	s_mov_b32 s5, 0
	s_mov_b32 s4, 0
                                        ; implicit-def: $vgpr20_vgpr21
                                        ; implicit-def: $vgpr22_vgpr23
	s_and_saveexec_b32 s6, vcc_lo
	s_wait_alu 0xfffe
	s_xor_b32 s6, exec_lo, s6
	s_cbranch_execz .LBB134_6
; %bb.5:
	v_lshlrev_b64_e32 v[3:4], 3, v[1:2]
	s_mov_b32 s9, 0
	s_mov_b32 s4, exec_lo
	v_dual_mov_b32 v23, s9 :: v_dual_mov_b32 v22, s8
	s_delay_alu instid0(VALU_DEP_2) | instskip(NEXT) | instid1(VALU_DEP_1)
	v_add_co_u32 v3, vcc_lo, s2, v3
	v_add_co_ci_u32_e64 v4, null, s3, v4, vcc_lo
	global_load_b64 v[3:4], v[3:4], off
	s_wait_loadcnt 0x0
	v_sub_co_u32 v20, vcc_lo, v3, s8
	s_wait_alu 0xfffd
	v_subrev_co_ci_u32_e64 v21, null, 0, v4, vcc_lo
.LBB134_6:
	s_wait_alu 0xfffe
	s_or_b32 exec_lo, exec_lo, s6
	s_delay_alu instid0(SALU_CYCLE_1)
	s_and_b32 vcc_lo, exec_lo, s5
	s_wait_alu 0xfffe
	s_cbranch_vccnz .LBB134_10
.LBB134_7:
	s_wait_alu 0xfffe
	s_and_b32 exec_lo, exec_lo, s4
	s_cbranch_execnz .LBB134_13
.LBB134_8:
	s_nop 0
	s_sendmsg sendmsg(MSG_DEALLOC_VGPRS)
	s_endpgm
.LBB134_9:
	s_mov_b32 s4, 0
                                        ; implicit-def: $vgpr20_vgpr21
                                        ; implicit-def: $vgpr22_vgpr23
	s_cbranch_execz .LBB134_7
.LBB134_10:
	s_load_b64 s[2:3], s[0:1], 0x0
	s_wait_kmcnt 0x0
	v_cmp_gt_i64_e32 vcc_lo, s[2:3], v[1:2]
	s_and_saveexec_b32 s2, vcc_lo
; %bb.11:
	s_mov_b32 s9, 0
	s_or_b32 s4, s4, exec_lo
; %bb.12:
	s_wait_alu 0xfffe
	s_or_b32 exec_lo, exec_lo, s2
	v_dual_mov_b32 v23, s9 :: v_dual_mov_b32 v22, s8
	v_dual_mov_b32 v21, v2 :: v_dual_mov_b32 v20, v1
	s_and_b32 exec_lo, exec_lo, s4
	s_cbranch_execz .LBB134_8
.LBB134_13:
	s_load_b256 s[4:11], s[0:1], 0x28
	s_delay_alu instid0(VALU_DEP_1) | instskip(SKIP_3) | instid1(VALU_DEP_2)
	v_lshlrev_b64_e32 v[1:2], 3, v[20:21]
	v_dual_mov_b32 v41, 0 :: v_dual_and_b32 v40, 63, v0
	s_load_b32 s3, s[0:1], 0x8
	s_wait_kmcnt 0x0
	v_add_co_u32 v3, vcc_lo, s4, v1
	s_wait_alu 0xfffd
	v_add_co_ci_u32_e64 v4, null, s5, v2, vcc_lo
	v_add_co_u32 v1, vcc_lo, s6, v1
	s_wait_alu 0xfffd
	v_add_co_ci_u32_e64 v2, null, s7, v2, vcc_lo
	v_add_co_u32 v5, vcc_lo, v3, 8
	global_load_b64 v[32:33], v[3:4], off
	s_wait_alu 0xfffd
	v_add_co_ci_u32_e64 v6, null, 0, v4, vcc_lo
	s_cmp_eq_u64 s[6:7], 0
	s_load_b64 s[4:5], s[0:1], 0x48
	s_cselect_b32 vcc_lo, -1, 0
	s_cmp_eq_u32 s3, 1
	s_wait_alu 0xfffe
	v_dual_cndmask_b32 v2, v2, v6 :: v_dual_cndmask_b32 v1, v1, v5
	global_load_b64 v[1:2], v[1:2], off
	s_wait_loadcnt 0x1
	v_sub_co_u32 v0, vcc_lo, v32, v22
	s_wait_alu 0xfffd
	v_sub_co_ci_u32_e64 v3, null, v33, v23, vcc_lo
	s_delay_alu instid0(VALU_DEP_2) | instskip(SKIP_1) | instid1(VALU_DEP_2)
	v_add_co_u32 v26, vcc_lo, v0, v40
	s_wait_alu 0xfffd
	v_add_co_ci_u32_e64 v27, null, 0, v3, vcc_lo
	s_wait_loadcnt 0x0
	v_sub_co_u32 v28, vcc_lo, v1, v22
	s_delay_alu instid0(VALU_DEP_2) | instskip(SKIP_2) | instid1(VALU_DEP_2)
	v_lshlrev_b64_e32 v[0:1], 6, v[26:27]
	s_wait_alu 0xfffd
	v_sub_co_ci_u32_e64 v29, null, v2, v23, vcc_lo
	v_add_co_u32 v30, vcc_lo, s10, v0
	s_delay_alu instid0(VALU_DEP_2)
	v_cmp_lt_i64_e64 s2, v[26:27], v[28:29]
	s_wait_alu 0xfffd
	v_add_co_ci_u32_e64 v31, null, s11, v1, vcc_lo
	s_cbranch_scc1 .LBB134_25
; %bb.14:
	v_dual_mov_b32 v42, 0 :: v_dual_mov_b32 v43, 0
	v_dual_mov_b32 v44, 0 :: v_dual_mov_b32 v45, 0
	;; [unrolled: 1-line block ×3, first 2 shown]
	v_mov_b32_e32 v25, 0
	s_and_saveexec_b32 s6, s2
	s_cbranch_execz .LBB134_24
; %bb.15:
	v_or_b32_e32 v0, 64, v40
	v_not_b32_e32 v3, v32
	v_sub_co_u32 v4, s3, v22, v40
	v_not_b32_e32 v2, v33
	s_delay_alu instid0(VALU_DEP_4)
	v_sub_co_u32 v0, vcc_lo, v0, v22
	s_wait_alu 0xfffd
	v_sub_co_ci_u32_e64 v1, null, 0, v23, vcc_lo
	s_wait_alu 0xf1ff
	v_subrev_co_ci_u32_e64 v5, null, 0, v23, s3
	v_add_co_u32 v0, vcc_lo, v0, v32
	s_wait_alu 0xfffd
	v_add_co_ci_u32_e64 v1, null, v1, v33, vcc_lo
	v_mov_b32_e32 v35, v31
	v_dual_mov_b32 v37, v27 :: v_dual_mov_b32 v36, v26
	s_delay_alu instid0(VALU_DEP_3)
	v_cmp_gt_i64_e32 vcc_lo, v[0:1], v[28:29]
	v_mov_b32_e32 v25, 0
	s_mov_b32 s3, exec_lo
	s_wait_alu 0xfffd
	v_dual_mov_b32 v34, v30 :: v_dual_cndmask_b32 v1, v29, v1
	v_cndmask_b32_e32 v0, v28, v0, vcc_lo
	v_add_co_u32 v3, vcc_lo, v4, v3
	s_wait_alu 0xfffd
	v_add_co_ci_u32_e64 v2, null, v5, v2, vcc_lo
	v_dual_mov_b32 v46, v25 :: v_dual_mov_b32 v47, v25
	s_delay_alu instid0(VALU_DEP_3) | instskip(SKIP_2) | instid1(VALU_DEP_3)
	v_add_co_u32 v0, vcc_lo, v3, v0
	v_dual_mov_b32 v45, v25 :: v_dual_mov_b32 v44, v25
	v_dual_mov_b32 v43, v25 :: v_dual_mov_b32 v42, v25
	v_and_b32_e32 v24, 0xc0, v0
	s_wait_alu 0xfffd
	v_add_co_ci_u32_e64 v1, null, v2, v1, vcc_lo
	v_mov_b32_e32 v41, v25
	s_delay_alu instid0(VALU_DEP_3)
	v_cmpx_ne_u64_e32 0xc0, v[24:25]
	s_cbranch_execz .LBB134_19
; %bb.16:
	v_lshrrev_b32_e32 v2, 6, v0
	v_mov_b32_e32 v41, 0
	v_dual_mov_b32 v37, v27 :: v_dual_mov_b32 v36, v26
	v_dual_mov_b32 v35, v31 :: v_dual_mov_b32 v34, v30
	s_delay_alu instid0(VALU_DEP_4) | instskip(SKIP_2) | instid1(VALU_DEP_3)
	v_add_nc_u32_e32 v4, 1, v2
	v_lshlrev_b64_e32 v[2:3], 3, v[26:27]
	v_dual_mov_b32 v42, 0 :: v_dual_mov_b32 v43, 0
	v_dual_mov_b32 v45, 0 :: v_dual_and_b32 v4, 3, v4
	v_dual_mov_b32 v44, 0 :: v_dual_mov_b32 v47, 0
	s_delay_alu instid0(VALU_DEP_4) | instskip(NEXT) | instid1(VALU_DEP_3)
	v_add_co_u32 v2, vcc_lo, s8, v2
	v_sub_co_u32 v4, s7, 0, v4
	s_wait_alu 0xfffd
	v_add_co_ci_u32_e64 v3, null, s9, v3, vcc_lo
	s_wait_alu 0xf1ff
	v_sub_co_ci_u32_e64 v5, null, 0, 0, s7
	v_dual_mov_b32 v46, 0 :: v_dual_mov_b32 v25, 0
	s_mov_b32 s7, 0
.LBB134_17:                             ; =>This Inner Loop Header: Depth=1
	global_load_b64 v[14:15], v[2:3], off
	s_clause 0x3
	global_load_b128 v[6:9], v[34:35], off offset:48
	global_load_b128 v[10:13], v[34:35], off offset:32
	global_load_b128 v[48:51], v[34:35], off offset:16
	global_load_b128 v[52:55], v[34:35], off
	s_wait_loadcnt 0x4
	v_sub_co_u32 v14, vcc_lo, v14, v22
	s_wait_alu 0xfffd
	v_sub_co_ci_u32_e64 v15, null, v15, v23, vcc_lo
	s_delay_alu instid0(VALU_DEP_1) | instskip(SKIP_1) | instid1(VALU_DEP_1)
	v_lshlrev_b64_e32 v[14:15], 5, v[14:15]
	s_wait_kmcnt 0x0
	v_add_co_u32 v14, vcc_lo, s4, v14
	s_wait_alu 0xfffd
	s_delay_alu instid0(VALU_DEP_2)
	v_add_co_ci_u32_e64 v15, null, s5, v15, vcc_lo
	v_add_co_u32 v34, vcc_lo, 0x1000, v34
	s_wait_alu 0xfffd
	v_add_co_ci_u32_e64 v35, null, 0, v35, vcc_lo
	s_clause 0x1
	global_load_b128 v[56:59], v[14:15], off
	global_load_b128 v[60:63], v[14:15], off offset:16
	v_add_co_u32 v36, vcc_lo, v36, 64
	s_wait_alu 0xfffd
	v_add_co_ci_u32_e64 v37, null, 0, v37, vcc_lo
	v_add_co_u32 v4, vcc_lo, v4, 1
	s_wait_alu 0xfffd
	v_add_co_ci_u32_e64 v5, null, 0, v5, vcc_lo
	;; [unrolled: 3-line block ×3, first 2 shown]
	s_delay_alu instid0(VALU_DEP_3) | instskip(SKIP_4) | instid1(VALU_DEP_1)
	v_cmp_eq_u64_e32 vcc_lo, 0, v[4:5]
	s_wait_alu 0xfffe
	s_or_b32 s7, vcc_lo, s7
	s_wait_loadcnt 0x1
	v_fmac_f32_e32 v47, v10, v56
	v_dual_fmac_f32 v42, v52, v56 :: v_dual_fmac_f32 v47, 0x80000000, v57
	s_delay_alu instid0(VALU_DEP_1) | instskip(NEXT) | instid1(VALU_DEP_1)
	v_dual_fmac_f32 v41, 0, v56 :: v_dual_fmac_f32 v42, 0x80000000, v57
	v_dual_fmac_f32 v46, 0, v56 :: v_dual_fmac_f32 v41, v52, v57
	s_delay_alu instid0(VALU_DEP_1) | instskip(SKIP_1) | instid1(VALU_DEP_2)
	v_dual_fmac_f32 v45, 0, v56 :: v_dual_fmac_f32 v46, v6, v57
	v_fmac_f32_e32 v44, v48, v56
	v_dual_fmac_f32 v42, v53, v58 :: v_dual_fmac_f32 v45, v10, v57
	s_delay_alu instid0(VALU_DEP_2) | instskip(NEXT) | instid1(VALU_DEP_4)
	v_dual_fmac_f32 v43, 0, v56 :: v_dual_fmac_f32 v44, 0x80000000, v57
	v_dual_fmac_f32 v25, v6, v56 :: v_dual_fmac_f32 v46, 0, v58
	s_delay_alu instid0(VALU_DEP_2) | instskip(NEXT) | instid1(VALU_DEP_2)
	v_dual_fmac_f32 v42, 0x80000000, v59 :: v_dual_fmac_f32 v43, v48, v57
	v_dual_fmac_f32 v44, v49, v58 :: v_dual_fmac_f32 v25, 0x80000000, v57
	s_delay_alu instid0(VALU_DEP_3) | instskip(NEXT) | instid1(VALU_DEP_2)
	v_dual_fmac_f32 v41, 0, v58 :: v_dual_fmac_f32 v46, v7, v59
	v_dual_fmac_f32 v43, 0, v58 :: v_dual_fmac_f32 v44, 0x80000000, v59
	s_wait_loadcnt 0x0
	v_dual_fmac_f32 v47, v11, v58 :: v_dual_fmac_f32 v42, v54, v60
	v_fmac_f32_e32 v45, 0, v58
	v_dual_fmac_f32 v25, v7, v58 :: v_dual_fmac_f32 v46, 0, v60
	v_dual_fmac_f32 v44, v50, v60 :: v_dual_fmac_f32 v41, v53, v59
	s_delay_alu instid0(VALU_DEP_4) | instskip(NEXT) | instid1(VALU_DEP_3)
	v_dual_fmac_f32 v42, 0x80000000, v61 :: v_dual_fmac_f32 v43, v49, v59
	v_dual_fmac_f32 v47, 0x80000000, v59 :: v_dual_fmac_f32 v46, v8, v61
	v_fmac_f32_e32 v45, v11, v59
	s_delay_alu instid0(VALU_DEP_3) | instskip(SKIP_2) | instid1(VALU_DEP_3)
	v_dual_fmac_f32 v25, 0x80000000, v59 :: v_dual_fmac_f32 v42, v55, v62
	v_dual_fmac_f32 v44, 0x80000000, v61 :: v_dual_fmac_f32 v41, 0, v60
	v_fmac_f32_e32 v43, 0, v60
	v_dual_fmac_f32 v25, v8, v60 :: v_dual_fmac_f32 v46, 0, v62
	s_delay_alu instid0(VALU_DEP_3) | instskip(SKIP_2) | instid1(VALU_DEP_4)
	v_dual_fmac_f32 v45, 0, v60 :: v_dual_fmac_f32 v44, v51, v62
	v_fmac_f32_e32 v47, v12, v60
	v_fmac_f32_e32 v41, v54, v61
	v_dual_fmac_f32 v25, 0x80000000, v61 :: v_dual_fmac_f32 v42, 0x80000000, v63
	s_delay_alu instid0(VALU_DEP_4) | instskip(NEXT) | instid1(VALU_DEP_4)
	v_dual_fmac_f32 v43, v50, v61 :: v_dual_fmac_f32 v44, 0x80000000, v63
	v_dual_fmac_f32 v47, 0x80000000, v61 :: v_dual_fmac_f32 v46, v9, v63
	v_fmac_f32_e32 v45, v12, v61
	v_fmac_f32_e32 v41, 0, v62
	s_delay_alu instid0(VALU_DEP_4) | instskip(NEXT) | instid1(VALU_DEP_4)
	v_fmac_f32_e32 v43, 0, v62
	v_fmac_f32_e32 v47, v13, v62
	;; [unrolled: 1-line block ×9, first 2 shown]
	s_wait_alu 0xfffe
	s_and_not1_b32 exec_lo, exec_lo, s7
	s_cbranch_execnz .LBB134_17
; %bb.18:
	s_or_b32 exec_lo, exec_lo, s7
.LBB134_19:
	s_wait_alu 0xfffe
	s_or_b32 exec_lo, exec_lo, s3
	s_delay_alu instid0(SALU_CYCLE_1)
	s_mov_b32 s3, exec_lo
	v_cmpx_lt_u64_e32 0xbf, v[0:1]
	s_cbranch_execz .LBB134_23
; %bb.20:
	v_lshlrev_b64_e32 v[0:1], 3, v[36:37]
	s_mov_b32 s7, 0
	s_delay_alu instid0(VALU_DEP_1) | instskip(SKIP_1) | instid1(VALU_DEP_2)
	v_add_co_u32 v0, vcc_lo, s8, v0
	s_wait_alu 0xfffd
	v_add_co_ci_u32_e64 v1, null, s9, v1, vcc_lo
	s_delay_alu instid0(VALU_DEP_2) | instskip(SKIP_1) | instid1(VALU_DEP_2)
	v_add_co_u32 v38, vcc_lo, 0x400, v0
	s_wait_alu 0xfffd
	v_add_co_ci_u32_e64 v39, null, 0, v1, vcc_lo
.LBB134_21:                             ; =>This Inner Loop Header: Depth=1
	s_clause 0x3
	global_load_b64 v[96:97], v[38:39], off offset:-1024
	global_load_b64 v[98:99], v[38:39], off offset:-512
	global_load_b64 v[100:101], v[38:39], off
	global_load_b64 v[102:103], v[38:39], off offset:512
	s_clause 0xf
	global_load_b128 v[48:51], v[34:35], off offset:48
	global_load_b128 v[52:55], v[34:35], off offset:32
	;; [unrolled: 1-line block ×3, first 2 shown]
	global_load_b128 v[60:63], v[34:35], off
	global_load_b128 v[64:67], v[34:35], off offset:4144
	global_load_b128 v[68:71], v[34:35], off offset:4128
	;; [unrolled: 1-line block ×12, first 2 shown]
	s_wait_loadcnt 0x13
	v_sub_co_u32 v96, vcc_lo, v96, v22
	s_wait_alu 0xfffd
	v_sub_co_ci_u32_e64 v97, null, v97, v23, vcc_lo
	s_wait_loadcnt 0x12
	v_sub_co_u32 v98, vcc_lo, v98, v22
	s_wait_alu 0xfffd
	v_sub_co_ci_u32_e64 v99, null, v99, v23, vcc_lo
	;; [unrolled: 4-line block ×3, first 2 shown]
	s_wait_loadcnt 0x10
	v_sub_co_u32 v102, vcc_lo, v102, v22
	v_lshlrev_b64_e32 v[96:97], 5, v[96:97]
	s_wait_alu 0xfffd
	v_sub_co_ci_u32_e64 v103, null, v103, v23, vcc_lo
	v_lshlrev_b64_e32 v[98:99], 5, v[98:99]
	v_lshlrev_b64_e32 v[100:101], 5, v[100:101]
	s_delay_alu instid0(VALU_DEP_3)
	v_lshlrev_b64_e32 v[102:103], 5, v[102:103]
	s_wait_kmcnt 0x0
	v_add_co_u32 v104, vcc_lo, s4, v96
	s_wait_alu 0xfffd
	v_add_co_ci_u32_e64 v105, null, s5, v97, vcc_lo
	v_add_co_u32 v108, vcc_lo, s4, v98
	s_wait_alu 0xfffd
	v_add_co_ci_u32_e64 v109, null, s5, v99, vcc_lo
	;; [unrolled: 3-line block ×4, first 2 shown]
	s_clause 0x7
	global_load_b128 v[96:99], v[104:105], off
	global_load_b128 v[100:103], v[104:105], off offset:16
	global_load_b128 v[104:107], v[108:109], off
	global_load_b128 v[108:111], v[108:109], off offset:16
	;; [unrolled: 2-line block ×4, first 2 shown]
	v_add_co_u32 v36, vcc_lo, 0x100, v36
	s_wait_alu 0xfffd
	v_add_co_ci_u32_e64 v37, null, 0, v37, vcc_lo
	v_add_co_u32 v34, vcc_lo, 0x4000, v34
	s_wait_alu 0xfffd
	v_add_co_ci_u32_e64 v35, null, 0, v35, vcc_lo
	;; [unrolled: 3-line block ×3, first 2 shown]
	v_cmp_ge_i64_e32 vcc_lo, v[36:37], v[28:29]
	s_wait_alu 0xfffe
	s_or_b32 s7, vcc_lo, s7
	s_wait_loadcnt 0x7
	v_fmac_f32_e32 v47, v52, v96
	v_fmac_f32_e32 v42, v60, v96
	;; [unrolled: 1-line block ×3, first 2 shown]
	s_delay_alu instid0(VALU_DEP_3) | instskip(NEXT) | instid1(VALU_DEP_3)
	v_dual_fmac_f32 v44, v56, v96 :: v_dual_fmac_f32 v47, 0x80000000, v97
	v_dual_fmac_f32 v41, 0, v96 :: v_dual_fmac_f32 v42, 0x80000000, v97
	s_delay_alu instid0(VALU_DEP_3) | instskip(NEXT) | instid1(VALU_DEP_3)
	v_dual_fmac_f32 v46, 0, v96 :: v_dual_fmac_f32 v25, 0x80000000, v97
	v_dual_fmac_f32 v43, 0, v96 :: v_dual_fmac_f32 v44, 0x80000000, v97
	s_delay_alu instid0(VALU_DEP_3) | instskip(NEXT) | instid1(VALU_DEP_3)
	v_fmac_f32_e32 v41, v60, v97
	v_dual_fmac_f32 v45, 0, v96 :: v_dual_fmac_f32 v46, v48, v97
	s_delay_alu instid0(VALU_DEP_3) | instskip(NEXT) | instid1(VALU_DEP_2)
	v_dual_fmac_f32 v42, v61, v98 :: v_dual_fmac_f32 v43, v56, v97
	v_dual_fmac_f32 v44, v57, v98 :: v_dual_fmac_f32 v45, v52, v97
	s_delay_alu instid0(VALU_DEP_3) | instskip(NEXT) | instid1(VALU_DEP_3)
	v_fmac_f32_e32 v46, 0, v98
	v_dual_fmac_f32 v42, 0x80000000, v99 :: v_dual_fmac_f32 v41, 0, v98
	s_delay_alu instid0(VALU_DEP_3) | instskip(NEXT) | instid1(VALU_DEP_3)
	v_dual_fmac_f32 v44, 0x80000000, v99 :: v_dual_fmac_f32 v43, 0, v98
	v_fmac_f32_e32 v46, v49, v99
	s_wait_loadcnt 0x6
	s_delay_alu instid0(VALU_DEP_3) | instskip(NEXT) | instid1(VALU_DEP_3)
	v_dual_fmac_f32 v47, v53, v98 :: v_dual_fmac_f32 v42, v62, v100
	v_dual_fmac_f32 v45, 0, v98 :: v_dual_fmac_f32 v44, v58, v100
	s_delay_alu instid0(VALU_DEP_3) | instskip(NEXT) | instid1(VALU_DEP_3)
	v_dual_fmac_f32 v25, v49, v98 :: v_dual_fmac_f32 v46, 0, v100
	v_dual_fmac_f32 v41, v61, v99 :: v_dual_fmac_f32 v42, 0x80000000, v101
	;; [unrolled: 3-line block ×6, first 2 shown]
	s_wait_loadcnt 0x5
	s_delay_alu instid0(VALU_DEP_3) | instskip(SKIP_3) | instid1(VALU_DEP_4)
	v_dual_fmac_f32 v41, v62, v101 :: v_dual_fmac_f32 v42, v76, v104
	v_fmac_f32_e32 v25, v50, v100
	v_dual_fmac_f32 v43, v58, v101 :: v_dual_fmac_f32 v44, v72, v104
	v_dual_fmac_f32 v47, 0x80000000, v101 :: v_dual_fmac_f32 v46, 0, v104
	v_fmac_f32_e32 v42, 0x80000000, v105
	v_fmac_f32_e32 v45, v54, v101
	s_delay_alu instid0(VALU_DEP_4) | instskip(NEXT) | instid1(VALU_DEP_4)
	v_dual_fmac_f32 v41, 0, v102 :: v_dual_fmac_f32 v44, 0x80000000, v105
	v_dual_fmac_f32 v43, 0, v102 :: v_dual_fmac_f32 v46, v64, v105
	s_delay_alu instid0(VALU_DEP_4) | instskip(NEXT) | instid1(VALU_DEP_3)
	v_dual_fmac_f32 v42, v77, v106 :: v_dual_fmac_f32 v25, 0x80000000, v101
	v_fmac_f32_e32 v44, v73, v106
	v_fmac_f32_e32 v47, v55, v102
	s_delay_alu instid0(VALU_DEP_4) | instskip(NEXT) | instid1(VALU_DEP_4)
	v_dual_fmac_f32 v41, v63, v103 :: v_dual_fmac_f32 v46, 0, v106
	v_dual_fmac_f32 v42, 0x80000000, v107 :: v_dual_fmac_f32 v45, 0, v102
	s_delay_alu instid0(VALU_DEP_4) | instskip(NEXT) | instid1(VALU_DEP_3)
	v_dual_fmac_f32 v44, 0x80000000, v107 :: v_dual_fmac_f32 v25, v51, v102
	v_fmac_f32_e32 v46, v65, v107
	s_wait_loadcnt 0x4
	s_delay_alu instid0(VALU_DEP_3) | instskip(NEXT) | instid1(VALU_DEP_3)
	v_dual_fmac_f32 v43, v59, v103 :: v_dual_fmac_f32 v42, v78, v108
	v_dual_fmac_f32 v47, 0x80000000, v103 :: v_dual_fmac_f32 v44, v74, v108
	s_delay_alu instid0(VALU_DEP_3) | instskip(NEXT) | instid1(VALU_DEP_3)
	v_dual_fmac_f32 v45, v55, v103 :: v_dual_fmac_f32 v46, 0, v108
	v_dual_fmac_f32 v25, 0x80000000, v103 :: v_dual_fmac_f32 v42, 0x80000000, v109
	;; [unrolled: 3-line block ×6, first 2 shown]
	s_wait_loadcnt 0x3
	s_delay_alu instid0(VALU_DEP_3) | instskip(SKIP_2) | instid1(VALU_DEP_3)
	v_dual_fmac_f32 v25, 0x80000000, v105 :: v_dual_fmac_f32 v42, v92, v112
	v_fmac_f32_e32 v45, v68, v105
	v_dual_fmac_f32 v41, 0, v106 :: v_dual_fmac_f32 v44, v88, v112
	v_dual_fmac_f32 v43, 0, v106 :: v_dual_fmac_f32 v42, 0x80000000, v113
	v_dual_fmac_f32 v47, v69, v106 :: v_dual_fmac_f32 v46, 0, v112
	s_delay_alu instid0(VALU_DEP_3) | instskip(NEXT) | instid1(VALU_DEP_2)
	v_dual_fmac_f32 v45, 0, v106 :: v_dual_fmac_f32 v44, 0x80000000, v113
	v_dual_fmac_f32 v42, v93, v114 :: v_dual_fmac_f32 v47, 0x80000000, v107
	s_delay_alu instid0(VALU_DEP_3) | instskip(SKIP_1) | instid1(VALU_DEP_4)
	v_dual_fmac_f32 v25, v65, v106 :: v_dual_fmac_f32 v46, v80, v113
	v_fmac_f32_e32 v41, v77, v107
	v_fmac_f32_e32 v44, v89, v114
	s_delay_alu instid0(VALU_DEP_4) | instskip(SKIP_2) | instid1(VALU_DEP_4)
	v_fmac_f32_e32 v42, 0x80000000, v115
	v_fmac_f32_e32 v43, v73, v107
	v_dual_fmac_f32 v25, 0x80000000, v107 :: v_dual_fmac_f32 v46, 0, v114
	v_dual_fmac_f32 v41, 0, v108 :: v_dual_fmac_f32 v44, 0x80000000, v115
	s_wait_loadcnt 0x2
	v_fmac_f32_e32 v42, v94, v116
	s_delay_alu instid0(VALU_DEP_3) | instskip(NEXT) | instid1(VALU_DEP_3)
	v_dual_fmac_f32 v43, 0, v108 :: v_dual_fmac_f32 v46, v81, v115
	v_dual_fmac_f32 v45, v69, v107 :: v_dual_fmac_f32 v44, v90, v116
	v_fmac_f32_e32 v41, v78, v109
	s_delay_alu instid0(VALU_DEP_4) | instskip(NEXT) | instid1(VALU_DEP_4)
	v_dual_fmac_f32 v47, v70, v108 :: v_dual_fmac_f32 v42, 0x80000000, v117
	v_fmac_f32_e32 v46, 0, v116
	s_delay_alu instid0(VALU_DEP_4) | instskip(NEXT) | instid1(VALU_DEP_4)
	;; [unrolled: 3-line block ×3, first 2 shown]
	v_dual_fmac_f32 v25, v66, v108 :: v_dual_fmac_f32 v42, v95, v118
	v_fmac_f32_e32 v46, v82, v117
	s_delay_alu instid0(VALU_DEP_4) | instskip(SKIP_1) | instid1(VALU_DEP_4)
	v_dual_fmac_f32 v43, v74, v109 :: v_dual_fmac_f32 v44, v91, v118
	v_fmac_f32_e32 v47, 0x80000000, v109
	v_dual_fmac_f32 v45, v70, v109 :: v_dual_fmac_f32 v42, 0x80000000, v119
	s_delay_alu instid0(VALU_DEP_4) | instskip(NEXT) | instid1(VALU_DEP_4)
	v_dual_fmac_f32 v46, 0, v118 :: v_dual_fmac_f32 v25, 0x80000000, v109
	v_dual_fmac_f32 v44, 0x80000000, v119 :: v_dual_fmac_f32 v43, 0, v110
	s_wait_loadcnt 0x1
	s_delay_alu instid0(VALU_DEP_3) | instskip(NEXT) | instid1(VALU_DEP_3)
	v_dual_fmac_f32 v47, v71, v110 :: v_dual_fmac_f32 v42, v12, v120
	v_dual_fmac_f32 v46, v83, v119 :: v_dual_fmac_f32 v45, 0, v110
	s_delay_alu instid0(VALU_DEP_3) | instskip(NEXT) | instid1(VALU_DEP_3)
	v_dual_fmac_f32 v44, v8, v120 :: v_dual_fmac_f32 v25, v67, v110
	v_dual_fmac_f32 v41, v79, v111 :: v_dual_fmac_f32 v42, 0x80000000, v121
	;; [unrolled: 3-line block ×6, first 2 shown]
	s_wait_loadcnt 0x0
	s_delay_alu instid0(VALU_DEP_3) | instskip(NEXT) | instid1(VALU_DEP_3)
	v_dual_fmac_f32 v41, v92, v113 :: v_dual_fmac_f32 v42, v14, v124
	v_dual_fmac_f32 v46, v1, v123 :: v_dual_fmac_f32 v25, v80, v112
	s_delay_alu instid0(VALU_DEP_3) | instskip(NEXT) | instid1(VALU_DEP_2)
	v_dual_fmac_f32 v43, v88, v113 :: v_dual_fmac_f32 v44, v10, v124
	v_dual_fmac_f32 v47, 0x80000000, v113 :: v_dual_fmac_f32 v46, 0, v124
	s_delay_alu instid0(VALU_DEP_4) | instskip(NEXT) | instid1(VALU_DEP_3)
	v_fmac_f32_e32 v41, 0, v114
	v_dual_fmac_f32 v43, 0, v114 :: v_dual_fmac_f32 v42, 0x80000000, v125
	v_fmac_f32_e32 v45, v84, v113
	v_fmac_f32_e32 v44, 0x80000000, v125
	;; [unrolled: 1-line block ×3, first 2 shown]
	v_dual_fmac_f32 v46, v2, v125 :: v_dual_fmac_f32 v41, v93, v115
	v_fmac_f32_e32 v42, v15, v126
	v_fmac_f32_e32 v47, v85, v114
	;; [unrolled: 1-line block ×73, first 2 shown]
	s_wait_alu 0xfffe
	s_and_not1_b32 exec_lo, exec_lo, s7
	s_cbranch_execnz .LBB134_21
; %bb.22:
	s_or_b32 exec_lo, exec_lo, s7
.LBB134_23:
	s_wait_alu 0xfffe
	s_or_b32 exec_lo, exec_lo, s3
.LBB134_24:
	s_wait_alu 0xfffe
	s_or_b32 exec_lo, exec_lo, s6
	s_cbranch_execz .LBB134_26
	s_branch .LBB134_37
.LBB134_25:
                                        ; implicit-def: $vgpr41
                                        ; implicit-def: $vgpr42
                                        ; implicit-def: $vgpr43
                                        ; implicit-def: $vgpr44
                                        ; implicit-def: $vgpr45
                                        ; implicit-def: $vgpr47
                                        ; implicit-def: $vgpr46
                                        ; implicit-def: $vgpr25
.LBB134_26:
	v_dual_mov_b32 v41, 0 :: v_dual_mov_b32 v42, 0
	v_dual_mov_b32 v43, 0 :: v_dual_mov_b32 v44, 0
	;; [unrolled: 1-line block ×3, first 2 shown]
	v_mov_b32_e32 v47, 0
	v_mov_b32_e32 v25, 0
	s_and_saveexec_b32 s3, s2
	s_cbranch_execz .LBB134_36
; %bb.27:
	v_or_b32_e32 v0, 64, v40
	v_not_b32_e32 v3, v32
	v_not_b32_e32 v2, v33
	s_delay_alu instid0(VALU_DEP_3) | instskip(SKIP_2) | instid1(VALU_DEP_2)
	v_sub_co_u32 v0, vcc_lo, v0, v22
	s_wait_alu 0xfffd
	v_sub_co_ci_u32_e64 v1, null, 0, v23, vcc_lo
	v_add_co_u32 v0, vcc_lo, v0, v32
	s_wait_alu 0xfffd
	s_delay_alu instid0(VALU_DEP_2) | instskip(SKIP_3) | instid1(VALU_DEP_3)
	v_add_co_ci_u32_e64 v1, null, v1, v33, vcc_lo
	v_sub_co_u32 v4, vcc_lo, v22, v40
	s_wait_alu 0xfffd
	v_subrev_co_ci_u32_e64 v5, null, 0, v23, vcc_lo
	v_cmp_gt_i64_e64 s2, v[0:1], v[28:29]
	s_delay_alu instid0(VALU_DEP_3) | instskip(SKIP_1) | instid1(VALU_DEP_3)
	v_add_co_u32 v3, vcc_lo, v4, v3
	s_wait_alu 0xfffd
	v_add_co_ci_u32_e64 v2, null, v5, v2, vcc_lo
	s_wait_alu 0xf1ff
	s_delay_alu instid0(VALU_DEP_3) | instskip(SKIP_2) | instid1(VALU_DEP_2)
	v_cndmask_b32_e64 v0, v28, v0, s2
	v_cndmask_b32_e64 v1, v29, v1, s2
	s_mov_b32 s2, exec_lo
	v_add_co_u32 v0, vcc_lo, v3, v0
	v_mov_b32_e32 v25, 0
	s_wait_alu 0xfffd
	v_add_co_ci_u32_e64 v1, null, v2, v1, vcc_lo
	s_delay_alu instid0(VALU_DEP_3) | instskip(NEXT) | instid1(VALU_DEP_3)
	v_and_b32_e32 v24, 0xc0, v0
	v_dual_mov_b32 v46, v25 :: v_dual_mov_b32 v47, v25
	v_dual_mov_b32 v45, v25 :: v_dual_mov_b32 v44, v25
	;; [unrolled: 1-line block ×3, first 2 shown]
	v_mov_b32_e32 v41, v25
	v_cmpx_ne_u64_e32 0xc0, v[24:25]
	s_cbranch_execz .LBB134_31
; %bb.28:
	v_lshrrev_b32_e32 v2, 6, v0
	v_dual_mov_b32 v41, 0 :: v_dual_mov_b32 v42, 0
	v_dual_mov_b32 v43, 0 :: v_dual_mov_b32 v44, 0
	s_delay_alu instid0(VALU_DEP_3) | instskip(SKIP_2) | instid1(VALU_DEP_3)
	v_dual_mov_b32 v45, 0 :: v_dual_add_nc_u32 v4, 1, v2
	v_lshlrev_b64_e32 v[2:3], 3, v[26:27]
	v_dual_mov_b32 v46, 0 :: v_dual_mov_b32 v25, 0
	v_dual_mov_b32 v47, 0 :: v_dual_and_b32 v4, 3, v4
	s_delay_alu instid0(VALU_DEP_3) | instskip(SKIP_1) | instid1(VALU_DEP_4)
	v_add_co_u32 v2, vcc_lo, s8, v2
	s_wait_alu 0xfffd
	v_add_co_ci_u32_e64 v3, null, s9, v3, vcc_lo
	s_delay_alu instid0(VALU_DEP_3)
	v_sub_co_u32 v4, s6, 0, v4
	s_wait_alu 0xf1ff
	v_sub_co_ci_u32_e64 v5, null, 0, 0, s6
	s_mov_b32 s6, 0
.LBB134_29:                             ; =>This Inner Loop Header: Depth=1
	global_load_b64 v[14:15], v[2:3], off
	s_clause 0x1
	global_load_b128 v[6:9], v[30:31], off offset:16
	global_load_b128 v[10:13], v[30:31], off
	s_wait_loadcnt 0x2
	v_sub_co_u32 v14, vcc_lo, v14, v22
	s_wait_alu 0xfffd
	v_sub_co_ci_u32_e64 v15, null, v15, v23, vcc_lo
	s_delay_alu instid0(VALU_DEP_1) | instskip(SKIP_1) | instid1(VALU_DEP_1)
	v_lshlrev_b64_e32 v[14:15], 5, v[14:15]
	s_wait_kmcnt 0x0
	v_add_co_u32 v14, vcc_lo, s4, v14
	s_wait_alu 0xfffd
	s_delay_alu instid0(VALU_DEP_2)
	v_add_co_ci_u32_e64 v15, null, s5, v15, vcc_lo
	s_clause 0x1
	global_load_b128 v[32:35], v[14:15], off
	global_load_b128 v[36:39], v[14:15], off offset:16
	s_clause 0x1
	global_load_b128 v[48:51], v[30:31], off offset:32
	global_load_b128 v[52:55], v[30:31], off offset:48
	v_add_co_u32 v30, vcc_lo, 0x1000, v30
	s_wait_alu 0xfffd
	v_add_co_ci_u32_e64 v31, null, 0, v31, vcc_lo
	v_add_co_u32 v26, vcc_lo, v26, 64
	s_wait_alu 0xfffd
	v_add_co_ci_u32_e64 v27, null, 0, v27, vcc_lo
	;; [unrolled: 3-line block ×4, first 2 shown]
	s_delay_alu instid0(VALU_DEP_3)
	v_cmp_eq_u64_e32 vcc_lo, 0, v[4:5]
	s_wait_alu 0xfffe
	s_or_b32 s6, vcc_lo, s6
	s_wait_loadcnt 0x3
	v_fmac_f32_e32 v43, 0, v32
	v_fmac_f32_e32 v42, v10, v32
	;; [unrolled: 1-line block ×4, first 2 shown]
	s_delay_alu instid0(VALU_DEP_4) | instskip(NEXT) | instid1(VALU_DEP_4)
	v_fmac_f32_e32 v43, v11, v33
	v_dual_fmac_f32 v41, 0, v32 :: v_dual_fmac_f32 v42, 0x80000000, v33
	v_fmac_f32_e32 v44, v11, v32
	v_dual_fmac_f32 v45, 0, v32 :: v_dual_fmac_f32 v46, v13, v33
	s_delay_alu instid0(VALU_DEP_3) | instskip(NEXT) | instid1(VALU_DEP_4)
	v_fmac_f32_e32 v41, v10, v33
	v_fmac_f32_e32 v42, v6, v34
	s_delay_alu instid0(VALU_DEP_4) | instskip(NEXT) | instid1(VALU_DEP_4)
	v_dual_fmac_f32 v44, 0x80000000, v33 :: v_dual_fmac_f32 v25, v13, v32
	v_dual_fmac_f32 v45, v12, v33 :: v_dual_fmac_f32 v46, 0, v34
	s_delay_alu instid0(VALU_DEP_2) | instskip(NEXT) | instid1(VALU_DEP_3)
	v_dual_fmac_f32 v47, 0x80000000, v33 :: v_dual_fmac_f32 v44, v7, v34
	v_dual_fmac_f32 v25, 0x80000000, v33 :: v_dual_fmac_f32 v42, 0x80000000, v35
	v_fmac_f32_e32 v41, 0, v34
	s_delay_alu instid0(VALU_DEP_4) | instskip(NEXT) | instid1(VALU_DEP_4)
	v_dual_fmac_f32 v43, 0, v34 :: v_dual_fmac_f32 v46, v9, v35
	v_dual_fmac_f32 v44, 0x80000000, v35 :: v_dual_fmac_f32 v47, v8, v34
	s_wait_loadcnt 0x1
	v_dual_fmac_f32 v45, 0, v34 :: v_dual_fmac_f32 v42, v48, v36
	s_delay_alu instid0(VALU_DEP_3) | instskip(NEXT) | instid1(VALU_DEP_3)
	v_dual_fmac_f32 v25, v9, v34 :: v_dual_fmac_f32 v46, 0, v36
	v_dual_fmac_f32 v44, v49, v36 :: v_dual_fmac_f32 v41, v6, v35
	s_delay_alu instid0(VALU_DEP_3) | instskip(NEXT) | instid1(VALU_DEP_3)
	v_dual_fmac_f32 v42, 0x80000000, v37 :: v_dual_fmac_f32 v43, v7, v35
	v_dual_fmac_f32 v47, 0x80000000, v35 :: v_dual_fmac_f32 v46, v51, v37
	s_wait_loadcnt 0x0
	s_delay_alu instid0(VALU_DEP_2) | instskip(SKIP_1) | instid1(VALU_DEP_3)
	v_dual_fmac_f32 v25, 0x80000000, v35 :: v_dual_fmac_f32 v42, v52, v38
	v_dual_fmac_f32 v44, 0x80000000, v37 :: v_dual_fmac_f32 v45, v8, v35
	;; [unrolled: 1-line block ×3, first 2 shown]
	s_delay_alu instid0(VALU_DEP_3) | instskip(NEXT) | instid1(VALU_DEP_3)
	v_dual_fmac_f32 v43, 0, v36 :: v_dual_fmac_f32 v42, 0x80000000, v39
	v_dual_fmac_f32 v25, v51, v36 :: v_dual_fmac_f32 v44, v53, v38
	v_fmac_f32_e32 v47, v50, v36
	s_delay_alu instid0(VALU_DEP_4) | instskip(SKIP_3) | instid1(VALU_DEP_4)
	v_dual_fmac_f32 v45, 0, v36 :: v_dual_fmac_f32 v46, v55, v39
	v_fmac_f32_e32 v41, v48, v37
	v_fmac_f32_e32 v43, v49, v37
	v_fmac_f32_e32 v25, 0x80000000, v37
	v_dual_fmac_f32 v45, v50, v37 :: v_dual_fmac_f32 v44, 0x80000000, v39
	v_fmac_f32_e32 v47, 0x80000000, v37
	v_fmac_f32_e32 v41, 0, v38
	;; [unrolled: 1-line block ×3, first 2 shown]
	s_delay_alu instid0(VALU_DEP_4)
	v_fmac_f32_e32 v45, 0, v38
	v_fmac_f32_e32 v25, v55, v38
	;; [unrolled: 1-line block ×8, first 2 shown]
	s_wait_alu 0xfffe
	s_and_not1_b32 exec_lo, exec_lo, s6
	s_cbranch_execnz .LBB134_29
; %bb.30:
	s_or_b32 exec_lo, exec_lo, s6
.LBB134_31:
	s_wait_alu 0xfffe
	s_or_b32 exec_lo, exec_lo, s2
	s_delay_alu instid0(SALU_CYCLE_1)
	s_mov_b32 s2, exec_lo
	v_cmpx_lt_u64_e32 0xbf, v[0:1]
	s_cbranch_execz .LBB134_35
; %bb.32:
	v_lshlrev_b64_e32 v[0:1], 3, v[26:27]
	s_mov_b32 s6, 0
	s_delay_alu instid0(VALU_DEP_1) | instskip(SKIP_1) | instid1(VALU_DEP_2)
	v_add_co_u32 v0, vcc_lo, s8, v0
	s_wait_alu 0xfffd
	v_add_co_ci_u32_e64 v1, null, s9, v1, vcc_lo
	s_delay_alu instid0(VALU_DEP_2) | instskip(SKIP_1) | instid1(VALU_DEP_2)
	v_add_co_u32 v0, vcc_lo, 0x400, v0
	s_wait_alu 0xfffd
	v_add_co_ci_u32_e64 v1, null, 0, v1, vcc_lo
.LBB134_33:                             ; =>This Inner Loop Header: Depth=1
	s_clause 0x3
	global_load_b64 v[14:15], v[0:1], off offset:-1024
	global_load_b64 v[84:85], v[0:1], off offset:-512
	global_load_b64 v[86:87], v[0:1], off
	global_load_b64 v[88:89], v[0:1], off offset:512
	s_clause 0xd
	global_load_b128 v[2:5], v[30:31], off offset:48
	global_load_b128 v[6:9], v[30:31], off offset:32
	;; [unrolled: 1-line block ×3, first 2 shown]
	global_load_b128 v[32:35], v[30:31], off
	global_load_b128 v[36:39], v[30:31], off offset:4144
	global_load_b128 v[48:51], v[30:31], off offset:4128
	;; [unrolled: 1-line block ×10, first 2 shown]
	s_wait_loadcnt 0x11
	v_sub_co_u32 v14, vcc_lo, v14, v22
	s_wait_alu 0xfffd
	v_sub_co_ci_u32_e64 v15, null, v15, v23, vcc_lo
	s_wait_loadcnt 0x10
	v_sub_co_u32 v84, vcc_lo, v84, v22
	s_wait_alu 0xfffd
	v_sub_co_ci_u32_e64 v85, null, v85, v23, vcc_lo
	;; [unrolled: 4-line block ×3, first 2 shown]
	s_wait_loadcnt 0xe
	v_sub_co_u32 v88, vcc_lo, v88, v22
	v_lshlrev_b64_e32 v[14:15], 5, v[14:15]
	s_wait_alu 0xfffd
	v_sub_co_ci_u32_e64 v89, null, v89, v23, vcc_lo
	v_lshlrev_b64_e32 v[84:85], 5, v[84:85]
	v_lshlrev_b64_e32 v[86:87], 5, v[86:87]
	s_delay_alu instid0(VALU_DEP_3)
	v_lshlrev_b64_e32 v[88:89], 5, v[88:89]
	s_wait_kmcnt 0x0
	v_add_co_u32 v14, vcc_lo, s4, v14
	s_wait_alu 0xfffd
	v_add_co_ci_u32_e64 v15, null, s5, v15, vcc_lo
	v_add_co_u32 v96, vcc_lo, s4, v84
	s_wait_alu 0xfffd
	v_add_co_ci_u32_e64 v97, null, s5, v85, vcc_lo
	;; [unrolled: 3-line block ×4, first 2 shown]
	s_clause 0x6
	global_load_b128 v[84:87], v[14:15], off
	global_load_b128 v[88:91], v[14:15], off offset:16
	global_load_b128 v[92:95], v[96:97], off
	global_load_b128 v[96:99], v[96:97], off offset:16
	;; [unrolled: 2-line block ×4, first 2 shown]
	global_load_b128 v[116:119], v[116:117], off offset:16
	global_load_b128 v[120:123], v[30:31], off offset:12336
	v_add_co_u32 v30, vcc_lo, 0x4000, v30
	s_wait_alu 0xfffd
	v_add_co_ci_u32_e64 v31, null, 0, v31, vcc_lo
	v_add_co_u32 v26, vcc_lo, 0x100, v26
	s_wait_alu 0xfffd
	v_add_co_ci_u32_e64 v27, null, 0, v27, vcc_lo
	;; [unrolled: 3-line block ×3, first 2 shown]
	s_delay_alu instid0(VALU_DEP_3) | instskip(SKIP_4) | instid1(VALU_DEP_1)
	v_cmp_ge_i64_e32 vcc_lo, v[26:27], v[28:29]
	s_wait_alu 0xfffe
	s_or_b32 s6, vcc_lo, s6
	s_wait_loadcnt 0x9
	v_fmac_f32_e32 v46, 0, v84
	v_dual_fmac_f32 v43, 0, v84 :: v_dual_fmac_f32 v46, v35, v85
	s_delay_alu instid0(VALU_DEP_1) | instskip(SKIP_1) | instid1(VALU_DEP_3)
	v_dual_fmac_f32 v42, v32, v84 :: v_dual_fmac_f32 v43, v33, v85
	v_fmac_f32_e32 v41, 0, v84
	v_dual_fmac_f32 v25, v35, v84 :: v_dual_fmac_f32 v46, 0, v86
	s_delay_alu instid0(VALU_DEP_3) | instskip(NEXT) | instid1(VALU_DEP_3)
	v_fmac_f32_e32 v42, 0x80000000, v85
	v_dual_fmac_f32 v44, v33, v84 :: v_dual_fmac_f32 v41, v32, v85
	v_fmac_f32_e32 v47, v34, v84
	s_delay_alu instid0(VALU_DEP_3) | instskip(NEXT) | instid1(VALU_DEP_3)
	v_dual_fmac_f32 v45, 0, v84 :: v_dual_fmac_f32 v42, v10, v86
	v_fmac_f32_e32 v44, 0x80000000, v85
	v_fmac_f32_e32 v25, 0x80000000, v85
	s_delay_alu instid0(VALU_DEP_4) | instskip(NEXT) | instid1(VALU_DEP_4)
	v_fmac_f32_e32 v47, 0x80000000, v85
	v_dual_fmac_f32 v45, v34, v85 :: v_dual_fmac_f32 v42, 0x80000000, v87
	s_delay_alu instid0(VALU_DEP_4)
	v_fmac_f32_e32 v44, v11, v86
	v_fmac_f32_e32 v43, 0, v86
	v_dual_fmac_f32 v41, 0, v86 :: v_dual_fmac_f32 v46, v13, v87
	s_wait_loadcnt 0x8
	v_dual_fmac_f32 v47, v12, v86 :: v_dual_fmac_f32 v42, v6, v88
	v_dual_fmac_f32 v44, 0x80000000, v87 :: v_dual_fmac_f32 v45, 0, v86
	s_delay_alu instid0(VALU_DEP_3) | instskip(NEXT) | instid1(VALU_DEP_3)
	v_dual_fmac_f32 v25, v13, v86 :: v_dual_fmac_f32 v46, 0, v88
	v_dual_fmac_f32 v41, v10, v87 :: v_dual_fmac_f32 v42, 0x80000000, v89
	s_delay_alu instid0(VALU_DEP_3) | instskip(NEXT) | instid1(VALU_DEP_3)
	;; [unrolled: 3-line block ×5, first 2 shown]
	v_dual_fmac_f32 v44, v3, v90 :: v_dual_fmac_f32 v45, 0, v88
	v_fmac_f32_e32 v41, v6, v89
	s_delay_alu instid0(VALU_DEP_4) | instskip(NEXT) | instid1(VALU_DEP_3)
	v_dual_fmac_f32 v47, v8, v88 :: v_dual_fmac_f32 v46, v5, v91
	v_dual_fmac_f32 v44, 0x80000000, v91 :: v_dual_fmac_f32 v43, v7, v89
	s_wait_loadcnt 0x7
	v_fmac_f32_e32 v42, v56, v92
	v_fmac_f32_e32 v25, v9, v88
	v_dual_fmac_f32 v45, v8, v89 :: v_dual_fmac_f32 v46, 0, v92
	v_dual_fmac_f32 v44, v57, v92 :: v_dual_fmac_f32 v41, 0, v90
	s_delay_alu instid0(VALU_DEP_4) | instskip(SKIP_1) | instid1(VALU_DEP_4)
	v_fmac_f32_e32 v42, 0x80000000, v93
	v_fmac_f32_e32 v47, 0x80000000, v89
	v_dual_fmac_f32 v43, 0, v90 :: v_dual_fmac_f32 v46, v59, v93
	s_delay_alu instid0(VALU_DEP_4) | instskip(NEXT) | instid1(VALU_DEP_4)
	v_fmac_f32_e32 v44, 0x80000000, v93
	v_dual_fmac_f32 v25, 0x80000000, v89 :: v_dual_fmac_f32 v42, v52, v94
	s_delay_alu instid0(VALU_DEP_4) | instskip(NEXT) | instid1(VALU_DEP_4)
	;; [unrolled: 3-line block ×3, first 2 shown]
	v_fmac_f32_e32 v44, v53, v94
	v_dual_fmac_f32 v45, 0, v90 :: v_dual_fmac_f32 v42, 0x80000000, v95
	s_delay_alu instid0(VALU_DEP_3) | instskip(NEXT) | instid1(VALU_DEP_3)
	v_dual_fmac_f32 v25, v5, v90 :: v_dual_fmac_f32 v46, v55, v95
	v_fmac_f32_e32 v44, 0x80000000, v95
	s_wait_loadcnt 0x6
	s_delay_alu instid0(VALU_DEP_3) | instskip(SKIP_3) | instid1(VALU_DEP_4)
	v_dual_fmac_f32 v43, v3, v91 :: v_dual_fmac_f32 v42, v48, v96
	v_fmac_f32_e32 v45, v4, v91
	v_dual_fmac_f32 v47, 0x80000000, v91 :: v_dual_fmac_f32 v46, 0, v96
	v_dual_fmac_f32 v44, v49, v96 :: v_dual_fmac_f32 v25, 0x80000000, v91
	;; [unrolled: 1-line block ×3, first 2 shown]
	s_delay_alu instid0(VALU_DEP_3) | instskip(NEXT) | instid1(VALU_DEP_3)
	v_dual_fmac_f32 v43, 0, v92 :: v_dual_fmac_f32 v46, v51, v97
	v_dual_fmac_f32 v44, 0x80000000, v97 :: v_dual_fmac_f32 v47, v58, v92
	s_delay_alu instid0(VALU_DEP_3) | instskip(NEXT) | instid1(VALU_DEP_3)
	v_dual_fmac_f32 v42, v36, v98 :: v_dual_fmac_f32 v45, 0, v92
	v_dual_fmac_f32 v25, v59, v92 :: v_dual_fmac_f32 v46, 0, v98
	;; [unrolled: 3-line block ×4, first 2 shown]
	s_wait_loadcnt 0x5
	s_delay_alu instid0(VALU_DEP_3) | instskip(NEXT) | instid1(VALU_DEP_3)
	v_dual_fmac_f32 v42, v72, v100 :: v_dual_fmac_f32 v25, 0x80000000, v93
	v_dual_fmac_f32 v41, 0, v94 :: v_dual_fmac_f32 v46, 0, v100
	s_delay_alu instid0(VALU_DEP_3) | instskip(NEXT) | instid1(VALU_DEP_3)
	v_dual_fmac_f32 v44, v73, v100 :: v_dual_fmac_f32 v43, 0, v94
	v_dual_fmac_f32 v42, 0x80000000, v101 :: v_dual_fmac_f32 v47, v54, v94
	;; [unrolled: 3-line block ×3, first 2 shown]
	s_delay_alu instid0(VALU_DEP_3) | instskip(SKIP_1) | instid1(VALU_DEP_3)
	v_dual_fmac_f32 v43, v53, v95 :: v_dual_fmac_f32 v42, v68, v102
	v_fmac_f32_e32 v25, v55, v94
	v_dual_fmac_f32 v44, v69, v102 :: v_dual_fmac_f32 v41, 0, v96
	v_dual_fmac_f32 v47, 0x80000000, v95 :: v_dual_fmac_f32 v46, 0, v102
	s_delay_alu instid0(VALU_DEP_4) | instskip(NEXT) | instid1(VALU_DEP_3)
	v_fmac_f32_e32 v42, 0x80000000, v103
	v_fmac_f32_e32 v44, 0x80000000, v103
	;; [unrolled: 1-line block ×4, first 2 shown]
	v_dual_fmac_f32 v43, 0, v96 :: v_dual_fmac_f32 v46, v71, v103
	s_wait_loadcnt 0x4
	v_fmac_f32_e32 v42, v64, v104
	v_fmac_f32_e32 v44, v65, v104
	;; [unrolled: 1-line block ×4, first 2 shown]
	v_dual_fmac_f32 v41, v48, v97 :: v_dual_fmac_f32 v46, 0, v104
	v_fmac_f32_e32 v42, 0x80000000, v105
	v_dual_fmac_f32 v44, 0x80000000, v105 :: v_dual_fmac_f32 v25, v51, v96
	v_fmac_f32_e32 v47, 0x80000000, v97
	s_delay_alu instid0(VALU_DEP_4) | instskip(NEXT) | instid1(VALU_DEP_4)
	v_dual_fmac_f32 v41, 0, v98 :: v_dual_fmac_f32 v46, v67, v105
	v_fmac_f32_e32 v42, v60, v106
	s_delay_alu instid0(VALU_DEP_4) | instskip(SKIP_2) | instid1(VALU_DEP_4)
	v_fmac_f32_e32 v44, v61, v106
	v_fmac_f32_e32 v43, v49, v97
	;; [unrolled: 1-line block ×3, first 2 shown]
	v_dual_fmac_f32 v25, 0x80000000, v97 :: v_dual_fmac_f32 v42, 0x80000000, v107
	s_delay_alu instid0(VALU_DEP_4) | instskip(NEXT) | instid1(VALU_DEP_3)
	v_dual_fmac_f32 v44, 0x80000000, v107 :: v_dual_fmac_f32 v47, v38, v98
	v_fmac_f32_e32 v45, 0, v98
	v_fmac_f32_e32 v46, 0, v106
	s_wait_loadcnt 0x3
	v_dual_fmac_f32 v43, 0, v98 :: v_dual_fmac_f32 v42, v80, v108
	v_dual_fmac_f32 v44, v81, v108 :: v_dual_fmac_f32 v41, v36, v99
	s_delay_alu instid0(VALU_DEP_3) | instskip(SKIP_1) | instid1(VALU_DEP_3)
	v_fmac_f32_e32 v46, v63, v107
	v_fmac_f32_e32 v25, v39, v98
	v_dual_fmac_f32 v43, v37, v99 :: v_dual_fmac_f32 v44, 0x80000000, v109
	v_dual_fmac_f32 v42, 0x80000000, v109 :: v_dual_fmac_f32 v45, v38, v99
	s_delay_alu instid0(VALU_DEP_4) | instskip(NEXT) | instid1(VALU_DEP_3)
	v_dual_fmac_f32 v46, 0, v108 :: v_dual_fmac_f32 v47, 0x80000000, v99
	v_dual_fmac_f32 v25, 0x80000000, v99 :: v_dual_fmac_f32 v44, v77, v110
	s_delay_alu instid0(VALU_DEP_3) | instskip(NEXT) | instid1(VALU_DEP_3)
	v_dual_fmac_f32 v42, v76, v110 :: v_dual_fmac_f32 v43, 0, v100
	v_dual_fmac_f32 v46, v83, v109 :: v_dual_fmac_f32 v41, 0, v100
	s_delay_alu instid0(VALU_DEP_3) | instskip(NEXT) | instid1(VALU_DEP_3)
	v_dual_fmac_f32 v47, v74, v100 :: v_dual_fmac_f32 v44, 0x80000000, v111
	v_dual_fmac_f32 v42, 0x80000000, v111 :: v_dual_fmac_f32 v43, v73, v101
	s_delay_alu instid0(VALU_DEP_3) | instskip(SKIP_1) | instid1(VALU_DEP_3)
	v_dual_fmac_f32 v46, 0, v110 :: v_dual_fmac_f32 v45, 0, v100
	s_wait_loadcnt 0x1
	v_dual_fmac_f32 v41, v72, v101 :: v_dual_fmac_f32 v44, v113, v116
	s_delay_alu instid0(VALU_DEP_3) | instskip(SKIP_2) | instid1(VALU_DEP_4)
	v_fmac_f32_e32 v42, v112, v116
	v_fmac_f32_e32 v25, v75, v100
	v_dual_fmac_f32 v46, v79, v111 :: v_dual_fmac_f32 v47, 0x80000000, v101
	v_dual_fmac_f32 v41, 0, v102 :: v_dual_fmac_f32 v44, 0x80000000, v117
	s_delay_alu instid0(VALU_DEP_4) | instskip(SKIP_1) | instid1(VALU_DEP_4)
	v_fmac_f32_e32 v42, 0x80000000, v117
	v_fmac_f32_e32 v45, v74, v101
	v_dual_fmac_f32 v25, 0x80000000, v101 :: v_dual_fmac_f32 v46, 0, v116
	v_fmac_f32_e32 v43, 0, v102
	s_wait_loadcnt 0x0
	v_fmac_f32_e32 v42, v120, v118
	v_fmac_f32_e32 v47, v70, v102
	;; [unrolled: 1-line block ×5, first 2 shown]
	v_dual_fmac_f32 v46, v115, v117 :: v_dual_fmac_f32 v41, v68, v103
	v_fmac_f32_e32 v43, v69, v103
	v_fmac_f32_e32 v42, 0x80000000, v119
	v_fmac_f32_e32 v47, 0x80000000, v103
	v_fmac_f32_e32 v25, 0x80000000, v103
	v_fmac_f32_e32 v44, 0x80000000, v119
	v_fmac_f32_e32 v45, v70, v103
	v_fmac_f32_e32 v43, 0, v104
	v_fmac_f32_e32 v47, v66, v104
	v_dual_fmac_f32 v25, v67, v104 :: v_dual_fmac_f32 v46, 0, v118
	v_fmac_f32_e32 v41, 0, v104
	v_fmac_f32_e32 v45, 0, v104
	;; [unrolled: 1-line block ×4, first 2 shown]
	v_dual_fmac_f32 v25, 0x80000000, v105 :: v_dual_fmac_f32 v46, v123, v119
	v_fmac_f32_e32 v41, v64, v105
	v_fmac_f32_e32 v45, v66, v105
	;; [unrolled: 1-line block ×52, first 2 shown]
	s_wait_alu 0xfffe
	s_and_not1_b32 exec_lo, exec_lo, s6
	s_cbranch_execnz .LBB134_33
; %bb.34:
	s_or_b32 exec_lo, exec_lo, s6
.LBB134_35:
	s_wait_alu 0xfffe
	s_or_b32 exec_lo, exec_lo, s2
.LBB134_36:
	s_wait_alu 0xfffe
	s_or_b32 exec_lo, exec_lo, s3
.LBB134_37:
	v_mbcnt_lo_u32_b32 v0, -1, 0
	s_delay_alu instid0(VALU_DEP_1) | instskip(SKIP_2) | instid1(VALU_DEP_3)
	v_or_b32_e32 v1, 32, v0
	v_xor_b32_e32 v9, 16, v0
	v_xor_b32_e32 v23, 8, v0
	v_cmp_gt_i32_e32 vcc_lo, 32, v1
	s_wait_alu 0xfffd
	v_cndmask_b32_e32 v1, v0, v1, vcc_lo
	v_cmp_gt_i32_e32 vcc_lo, 32, v9
	s_delay_alu instid0(VALU_DEP_2)
	v_lshlrev_b32_e32 v1, 2, v1
	ds_bpermute_b32 v4, v1, v44
	s_wait_dscnt 0x0
	v_add_f32_e32 v4, v44, v4
	ds_bpermute_b32 v6, v1, v47
	ds_bpermute_b32 v8, v1, v25
	;; [unrolled: 1-line block ×3, first 2 shown]
	s_wait_alu 0xfffd
	v_cndmask_b32_e32 v9, v0, v9, vcc_lo
	ds_bpermute_b32 v5, v1, v43
	ds_bpermute_b32 v3, v1, v41
	;; [unrolled: 1-line block ×4, first 2 shown]
	v_cmp_gt_i32_e32 vcc_lo, 32, v23
	s_wait_dscnt 0x6
	v_dual_add_f32 v6, v47, v6 :: v_dual_lshlrev_b32 v9, 2, v9
	s_wait_dscnt 0x5
	v_add_f32_e32 v8, v25, v8
	s_wait_dscnt 0x4
	v_add_f32_e32 v2, v42, v2
	ds_bpermute_b32 v12, v9, v4
	s_wait_dscnt 0x4
	v_add_f32_e32 v5, v43, v5
	ds_bpermute_b32 v10, v9, v2
	ds_bpermute_b32 v14, v9, v6
	;; [unrolled: 1-line block ×3, first 2 shown]
	s_wait_dscnt 0x6
	v_add_f32_e32 v3, v41, v3
	s_wait_dscnt 0x5
	v_add_f32_e32 v7, v45, v7
	s_wait_dscnt 0x3
	v_dual_add_f32 v1, v46, v1 :: v_dual_add_f32 v4, v4, v12
	ds_bpermute_b32 v13, v9, v5
	s_wait_dscnt 0x3
	s_wait_alu 0xfffd
	v_dual_add_f32 v2, v2, v10 :: v_dual_cndmask_b32 v23, v0, v23
	s_wait_dscnt 0x2
	v_add_f32_e32 v6, v6, v14
	ds_bpermute_b32 v11, v9, v3
	ds_bpermute_b32 v15, v9, v7
	s_wait_dscnt 0x3
	v_dual_add_f32 v8, v8, v22 :: v_dual_lshlrev_b32 v23, 2, v23
	ds_bpermute_b32 v9, v9, v1
	s_wait_dscnt 0x3
	v_add_f32_e32 v5, v5, v13
	ds_bpermute_b32 v13, v23, v6
	s_wait_dscnt 0x0
	v_dual_add_f32 v6, v6, v13 :: v_dual_add_f32 v7, v7, v15
	ds_bpermute_b32 v15, v23, v8
	v_add_f32_e32 v1, v1, v9
	ds_bpermute_b32 v9, v23, v2
	ds_bpermute_b32 v14, v23, v7
	s_wait_dscnt 0x2
	v_add_f32_e32 v8, v8, v15
	ds_bpermute_b32 v22, v23, v1
	s_wait_dscnt 0x2
	v_dual_add_f32 v2, v2, v9 :: v_dual_add_f32 v3, v3, v11
	ds_bpermute_b32 v11, v23, v4
	ds_bpermute_b32 v10, v23, v3
	s_wait_dscnt 0x1
	v_add_f32_e32 v4, v4, v11
	ds_bpermute_b32 v12, v23, v5
	v_xor_b32_e32 v23, 4, v0
	s_delay_alu instid0(VALU_DEP_1) | instskip(SKIP_2) | instid1(VALU_DEP_1)
	v_cmp_gt_i32_e32 vcc_lo, 32, v23
	s_wait_alu 0xfffd
	v_cndmask_b32_e32 v23, v0, v23, vcc_lo
	v_lshlrev_b32_e32 v23, 2, v23
	ds_bpermute_b32 v9, v23, v2
	ds_bpermute_b32 v11, v23, v4
	;; [unrolled: 1-line block ×4, first 2 shown]
	s_wait_dscnt 0x3
	v_dual_add_f32 v5, v5, v12 :: v_dual_add_f32 v2, v2, v9
	s_wait_dscnt 0x2
	v_dual_add_f32 v3, v3, v10 :: v_dual_add_f32 v4, v4, v11
	;; [unrolled: 2-line block ×3, first 2 shown]
	v_add_f32_e32 v7, v7, v14
	ds_bpermute_b32 v10, v23, v3
	s_wait_dscnt 0x1
	v_add_f32_e32 v8, v8, v15
	ds_bpermute_b32 v12, v23, v5
	ds_bpermute_b32 v22, v23, v1
	;; [unrolled: 1-line block ×3, first 2 shown]
	v_xor_b32_e32 v23, 2, v0
	s_delay_alu instid0(VALU_DEP_1) | instskip(SKIP_2) | instid1(VALU_DEP_1)
	v_cmp_gt_i32_e32 vcc_lo, 32, v23
	s_wait_alu 0xfffd
	v_cndmask_b32_e32 v23, v0, v23, vcc_lo
	v_lshlrev_b32_e32 v23, 2, v23
	s_wait_dscnt 0x2
	v_add_f32_e32 v5, v5, v12
	s_wait_dscnt 0x1
	v_add_f32_e32 v9, v1, v22
	;; [unrolled: 2-line block ×3, first 2 shown]
	ds_bpermute_b32 v15, v23, v8
	v_add_f32_e32 v3, v3, v10
	ds_bpermute_b32 v1, v23, v2
	ds_bpermute_b32 v11, v23, v4
	;; [unrolled: 1-line block ×7, first 2 shown]
	v_xor_b32_e32 v23, 1, v0
	s_delay_alu instid0(VALU_DEP_1) | instskip(SKIP_4) | instid1(VALU_DEP_2)
	v_cmp_gt_i32_e32 vcc_lo, 32, v23
	s_wait_alu 0xfffd
	v_cndmask_b32_e32 v0, v0, v23, vcc_lo
	v_cmp_eq_u32_e32 vcc_lo, 63, v40
	s_wait_dscnt 0x6
	v_dual_add_f32 v0, v2, v1 :: v_dual_lshlrev_b32 v23, 2, v0
	s_wait_dscnt 0x5
	v_add_f32_e32 v2, v4, v11
	s_wait_dscnt 0x3
	v_add_f32_e32 v4, v6, v13
	s_wait_dscnt 0x2
	v_dual_add_f32 v6, v8, v15 :: v_dual_add_f32 v1, v3, v10
	v_add_f32_e32 v3, v5, v12
	s_wait_dscnt 0x1
	v_add_f32_e32 v5, v7, v14
	s_wait_dscnt 0x0
	v_add_f32_e32 v7, v9, v22
	ds_bpermute_b32 v8, v23, v0
	ds_bpermute_b32 v9, v23, v1
	;; [unrolled: 1-line block ×8, first 2 shown]
	s_and_b32 exec_lo, exec_lo, vcc_lo
	s_cbranch_execz .LBB134_8
; %bb.38:
	s_load_b64 s[2:3], s[0:1], 0x58
	s_wait_dscnt 0x7
	v_add_f32_e32 v8, v0, v8
	s_wait_dscnt 0x6
	v_add_f32_e32 v0, v1, v9
	s_wait_dscnt 0x4
	v_dual_add_f32 v10, v2, v10 :: v_dual_add_f32 v1, v3, v11
	s_wait_dscnt 0x2
	v_dual_add_f32 v11, v4, v12 :: v_dual_add_f32 v2, v5, v13
	v_mul_f32_e32 v5, v18, v0
	s_wait_dscnt 0x0
	v_add_f32_e32 v3, v7, v15
	v_mul_f32_e64 v4, v0, -v19
	v_add_f32_e32 v12, v6, v14
	v_mul_f32_e64 v6, v1, -v19
	v_mul_f32_e32 v7, v18, v1
	v_mul_f32_e64 v0, v2, -v19
	v_mul_f32_e32 v1, v18, v2
	v_mul_f32_e64 v2, v3, -v19
	v_mul_f32_e32 v3, v18, v3
	v_cmp_eq_f32_e32 vcc_lo, 0, v16
	v_cmp_eq_f32_e64 s0, 0, v17
	v_dual_fmac_f32 v4, v18, v8 :: v_dual_fmac_f32 v7, v19, v10
	v_fmac_f32_e32 v5, v19, v8
	v_lshlrev_b64_e32 v[8:9], 5, v[20:21]
	v_dual_fmac_f32 v6, v18, v10 :: v_dual_fmac_f32 v1, v19, v11
	v_dual_fmac_f32 v0, v18, v11 :: v_dual_fmac_f32 v3, v19, v12
	v_fmac_f32_e32 v2, v18, v12
	s_and_b32 s0, vcc_lo, s0
	s_wait_alu 0xfffe
	s_and_saveexec_b32 s1, s0
	s_wait_alu 0xfffe
	s_xor_b32 s0, exec_lo, s1
	s_cbranch_execz .LBB134_40
; %bb.39:
	s_wait_kmcnt 0x0
	v_add_co_u32 v8, vcc_lo, s2, v8
	s_wait_alu 0xfffd
	v_add_co_ci_u32_e64 v9, null, s3, v9, vcc_lo
                                        ; implicit-def: $vgpr16_vgpr17
	s_clause 0x1
	global_store_b128 v[8:9], v[4:7], off
	global_store_b128 v[8:9], v[0:3], off offset:16
                                        ; implicit-def: $vgpr4
                                        ; implicit-def: $vgpr8_vgpr9
                                        ; implicit-def: $vgpr0
.LBB134_40:
	s_wait_alu 0xfffe
	s_and_not1_saveexec_b32 s0, s0
	s_cbranch_execz .LBB134_8
; %bb.41:
	s_wait_kmcnt 0x0
	v_add_co_u32 v18, vcc_lo, s2, v8
	s_wait_alu 0xfffd
	v_add_co_ci_u32_e64 v19, null, s3, v9, vcc_lo
	s_clause 0x1
	global_load_b128 v[8:11], v[18:19], off
	global_load_b128 v[12:15], v[18:19], off offset:16
	s_wait_loadcnt 0x1
	v_dual_fmac_f32 v4, v16, v8 :: v_dual_fmac_f32 v7, v17, v10
	v_dual_fmac_f32 v5, v17, v8 :: v_dual_fmac_f32 v6, v16, v10
	s_wait_loadcnt 0x0
	v_dual_fmac_f32 v0, v16, v12 :: v_dual_fmac_f32 v3, v17, v14
	v_dual_fmac_f32 v1, v17, v12 :: v_dual_fmac_f32 v2, v16, v14
	v_fma_f32 v4, -v17, v9, v4
	v_fmac_f32_e32 v5, v16, v9
	v_fma_f32 v6, -v17, v11, v6
	v_fmac_f32_e32 v7, v16, v11
	;; [unrolled: 2-line block ×4, first 2 shown]
	s_clause 0x1
	global_store_b128 v[18:19], v[4:7], off
	global_store_b128 v[18:19], v[0:3], off offset:16
	s_nop 0
	s_sendmsg sendmsg(MSG_DEALLOC_VGPRS)
	s_endpgm
	.section	.rodata,"a",@progbits
	.p2align	6, 0x0
	.amdhsa_kernel _ZN9rocsparseL18bsrxmvn_4x4_kernelILj128ELj64E21rocsparse_complex_numIfEllfS2_S2_EEvT3_20rocsparse_direction_NS_24const_host_device_scalarIT1_EES3_PKS3_PKT2_SC_S9_PKT4_PKT5_S7_PT6_21rocsparse_index_base_b
		.amdhsa_group_segment_fixed_size 0
		.amdhsa_private_segment_fixed_size 0
		.amdhsa_kernarg_size 104
		.amdhsa_user_sgpr_count 2
		.amdhsa_user_sgpr_dispatch_ptr 0
		.amdhsa_user_sgpr_queue_ptr 0
		.amdhsa_user_sgpr_kernarg_segment_ptr 1
		.amdhsa_user_sgpr_dispatch_id 0
		.amdhsa_user_sgpr_private_segment_size 0
		.amdhsa_wavefront_size32 1
		.amdhsa_uses_dynamic_stack 0
		.amdhsa_enable_private_segment 0
		.amdhsa_system_sgpr_workgroup_id_x 1
		.amdhsa_system_sgpr_workgroup_id_y 0
		.amdhsa_system_sgpr_workgroup_id_z 0
		.amdhsa_system_sgpr_workgroup_info 0
		.amdhsa_system_vgpr_workitem_id 0
		.amdhsa_next_free_vgpr 128
		.amdhsa_next_free_sgpr 12
		.amdhsa_reserve_vcc 1
		.amdhsa_float_round_mode_32 0
		.amdhsa_float_round_mode_16_64 0
		.amdhsa_float_denorm_mode_32 3
		.amdhsa_float_denorm_mode_16_64 3
		.amdhsa_fp16_overflow 0
		.amdhsa_workgroup_processor_mode 1
		.amdhsa_memory_ordered 1
		.amdhsa_forward_progress 1
		.amdhsa_inst_pref_size 66
		.amdhsa_round_robin_scheduling 0
		.amdhsa_exception_fp_ieee_invalid_op 0
		.amdhsa_exception_fp_denorm_src 0
		.amdhsa_exception_fp_ieee_div_zero 0
		.amdhsa_exception_fp_ieee_overflow 0
		.amdhsa_exception_fp_ieee_underflow 0
		.amdhsa_exception_fp_ieee_inexact 0
		.amdhsa_exception_int_div_zero 0
	.end_amdhsa_kernel
	.section	.text._ZN9rocsparseL18bsrxmvn_4x4_kernelILj128ELj64E21rocsparse_complex_numIfEllfS2_S2_EEvT3_20rocsparse_direction_NS_24const_host_device_scalarIT1_EES3_PKS3_PKT2_SC_S9_PKT4_PKT5_S7_PT6_21rocsparse_index_base_b,"axG",@progbits,_ZN9rocsparseL18bsrxmvn_4x4_kernelILj128ELj64E21rocsparse_complex_numIfEllfS2_S2_EEvT3_20rocsparse_direction_NS_24const_host_device_scalarIT1_EES3_PKS3_PKT2_SC_S9_PKT4_PKT5_S7_PT6_21rocsparse_index_base_b,comdat
.Lfunc_end134:
	.size	_ZN9rocsparseL18bsrxmvn_4x4_kernelILj128ELj64E21rocsparse_complex_numIfEllfS2_S2_EEvT3_20rocsparse_direction_NS_24const_host_device_scalarIT1_EES3_PKS3_PKT2_SC_S9_PKT4_PKT5_S7_PT6_21rocsparse_index_base_b, .Lfunc_end134-_ZN9rocsparseL18bsrxmvn_4x4_kernelILj128ELj64E21rocsparse_complex_numIfEllfS2_S2_EEvT3_20rocsparse_direction_NS_24const_host_device_scalarIT1_EES3_PKS3_PKT2_SC_S9_PKT4_PKT5_S7_PT6_21rocsparse_index_base_b
                                        ; -- End function
	.set _ZN9rocsparseL18bsrxmvn_4x4_kernelILj128ELj64E21rocsparse_complex_numIfEllfS2_S2_EEvT3_20rocsparse_direction_NS_24const_host_device_scalarIT1_EES3_PKS3_PKT2_SC_S9_PKT4_PKT5_S7_PT6_21rocsparse_index_base_b.num_vgpr, 128
	.set _ZN9rocsparseL18bsrxmvn_4x4_kernelILj128ELj64E21rocsparse_complex_numIfEllfS2_S2_EEvT3_20rocsparse_direction_NS_24const_host_device_scalarIT1_EES3_PKS3_PKT2_SC_S9_PKT4_PKT5_S7_PT6_21rocsparse_index_base_b.num_agpr, 0
	.set _ZN9rocsparseL18bsrxmvn_4x4_kernelILj128ELj64E21rocsparse_complex_numIfEllfS2_S2_EEvT3_20rocsparse_direction_NS_24const_host_device_scalarIT1_EES3_PKS3_PKT2_SC_S9_PKT4_PKT5_S7_PT6_21rocsparse_index_base_b.numbered_sgpr, 12
	.set _ZN9rocsparseL18bsrxmvn_4x4_kernelILj128ELj64E21rocsparse_complex_numIfEllfS2_S2_EEvT3_20rocsparse_direction_NS_24const_host_device_scalarIT1_EES3_PKS3_PKT2_SC_S9_PKT4_PKT5_S7_PT6_21rocsparse_index_base_b.num_named_barrier, 0
	.set _ZN9rocsparseL18bsrxmvn_4x4_kernelILj128ELj64E21rocsparse_complex_numIfEllfS2_S2_EEvT3_20rocsparse_direction_NS_24const_host_device_scalarIT1_EES3_PKS3_PKT2_SC_S9_PKT4_PKT5_S7_PT6_21rocsparse_index_base_b.private_seg_size, 0
	.set _ZN9rocsparseL18bsrxmvn_4x4_kernelILj128ELj64E21rocsparse_complex_numIfEllfS2_S2_EEvT3_20rocsparse_direction_NS_24const_host_device_scalarIT1_EES3_PKS3_PKT2_SC_S9_PKT4_PKT5_S7_PT6_21rocsparse_index_base_b.uses_vcc, 1
	.set _ZN9rocsparseL18bsrxmvn_4x4_kernelILj128ELj64E21rocsparse_complex_numIfEllfS2_S2_EEvT3_20rocsparse_direction_NS_24const_host_device_scalarIT1_EES3_PKS3_PKT2_SC_S9_PKT4_PKT5_S7_PT6_21rocsparse_index_base_b.uses_flat_scratch, 0
	.set _ZN9rocsparseL18bsrxmvn_4x4_kernelILj128ELj64E21rocsparse_complex_numIfEllfS2_S2_EEvT3_20rocsparse_direction_NS_24const_host_device_scalarIT1_EES3_PKS3_PKT2_SC_S9_PKT4_PKT5_S7_PT6_21rocsparse_index_base_b.has_dyn_sized_stack, 0
	.set _ZN9rocsparseL18bsrxmvn_4x4_kernelILj128ELj64E21rocsparse_complex_numIfEllfS2_S2_EEvT3_20rocsparse_direction_NS_24const_host_device_scalarIT1_EES3_PKS3_PKT2_SC_S9_PKT4_PKT5_S7_PT6_21rocsparse_index_base_b.has_recursion, 0
	.set _ZN9rocsparseL18bsrxmvn_4x4_kernelILj128ELj64E21rocsparse_complex_numIfEllfS2_S2_EEvT3_20rocsparse_direction_NS_24const_host_device_scalarIT1_EES3_PKS3_PKT2_SC_S9_PKT4_PKT5_S7_PT6_21rocsparse_index_base_b.has_indirect_call, 0
	.section	.AMDGPU.csdata,"",@progbits
; Kernel info:
; codeLenInByte = 8420
; TotalNumSgprs: 14
; NumVgprs: 128
; ScratchSize: 0
; MemoryBound: 0
; FloatMode: 240
; IeeeMode: 1
; LDSByteSize: 0 bytes/workgroup (compile time only)
; SGPRBlocks: 0
; VGPRBlocks: 15
; NumSGPRsForWavesPerEU: 14
; NumVGPRsForWavesPerEU: 128
; Occupancy: 10
; WaveLimiterHint : 1
; COMPUTE_PGM_RSRC2:SCRATCH_EN: 0
; COMPUTE_PGM_RSRC2:USER_SGPR: 2
; COMPUTE_PGM_RSRC2:TRAP_HANDLER: 0
; COMPUTE_PGM_RSRC2:TGID_X_EN: 1
; COMPUTE_PGM_RSRC2:TGID_Y_EN: 0
; COMPUTE_PGM_RSRC2:TGID_Z_EN: 0
; COMPUTE_PGM_RSRC2:TIDIG_COMP_CNT: 0
	.section	.text._ZN9rocsparseL18bsrxmvn_4x4_kernelILj128ELj4E21rocsparse_complex_numIdEiidS2_S2_EEvT3_20rocsparse_direction_NS_24const_host_device_scalarIT1_EES3_PKS3_PKT2_SC_S9_PKT4_PKT5_S7_PT6_21rocsparse_index_base_b,"axG",@progbits,_ZN9rocsparseL18bsrxmvn_4x4_kernelILj128ELj4E21rocsparse_complex_numIdEiidS2_S2_EEvT3_20rocsparse_direction_NS_24const_host_device_scalarIT1_EES3_PKS3_PKT2_SC_S9_PKT4_PKT5_S7_PT6_21rocsparse_index_base_b,comdat
	.globl	_ZN9rocsparseL18bsrxmvn_4x4_kernelILj128ELj4E21rocsparse_complex_numIdEiidS2_S2_EEvT3_20rocsparse_direction_NS_24const_host_device_scalarIT1_EES3_PKS3_PKT2_SC_S9_PKT4_PKT5_S7_PT6_21rocsparse_index_base_b ; -- Begin function _ZN9rocsparseL18bsrxmvn_4x4_kernelILj128ELj4E21rocsparse_complex_numIdEiidS2_S2_EEvT3_20rocsparse_direction_NS_24const_host_device_scalarIT1_EES3_PKS3_PKT2_SC_S9_PKT4_PKT5_S7_PT6_21rocsparse_index_base_b
	.p2align	8
	.type	_ZN9rocsparseL18bsrxmvn_4x4_kernelILj128ELj4E21rocsparse_complex_numIdEiidS2_S2_EEvT3_20rocsparse_direction_NS_24const_host_device_scalarIT1_EES3_PKS3_PKT2_SC_S9_PKT4_PKT5_S7_PT6_21rocsparse_index_base_b,@function
_ZN9rocsparseL18bsrxmvn_4x4_kernelILj128ELj4E21rocsparse_complex_numIdEiidS2_S2_EEvT3_20rocsparse_direction_NS_24const_host_device_scalarIT1_EES3_PKS3_PKT2_SC_S9_PKT4_PKT5_S7_PT6_21rocsparse_index_base_b: ; @_ZN9rocsparseL18bsrxmvn_4x4_kernelILj128ELj4E21rocsparse_complex_numIdEiidS2_S2_EEvT3_20rocsparse_direction_NS_24const_host_device_scalarIT1_EES3_PKS3_PKT2_SC_S9_PKT4_PKT5_S7_PT6_21rocsparse_index_base_b
; %bb.0:
	s_clause 0x1
	s_load_b64 s[12:13], s[0:1], 0x68
	s_load_b64 s[2:3], s[0:1], 0x8
	s_add_nc_u64 s[4:5], s[0:1], 8
	s_load_b64 s[6:7], s[0:1], 0x50
	s_wait_kmcnt 0x0
	s_bitcmp1_b32 s13, 0
	s_cselect_b32 s2, s4, s2
	s_cselect_b32 s3, s5, s3
	s_delay_alu instid0(SALU_CYCLE_1)
	v_dual_mov_b32 v1, s2 :: v_dual_mov_b32 v2, s3
	s_add_nc_u64 s[2:3], s[0:1], 0x50
	s_wait_alu 0xfffe
	s_cselect_b32 s2, s2, s6
	s_cselect_b32 s3, s3, s7
	flat_load_b128 v[5:8], v[1:2]
	s_wait_alu 0xfffe
	v_dual_mov_b32 v1, s2 :: v_dual_mov_b32 v2, s3
	flat_load_b128 v[1:4], v[1:2]
	s_wait_loadcnt_dscnt 0x101
	v_cmp_eq_f64_e32 vcc_lo, 0, v[5:6]
	v_cmp_eq_f64_e64 s2, 0, v[7:8]
	s_and_b32 s4, vcc_lo, s2
	s_mov_b32 s2, -1
	s_and_saveexec_b32 s3, s4
	s_cbranch_execz .LBB135_2
; %bb.1:
	s_wait_loadcnt_dscnt 0x0
	v_cmp_neq_f64_e32 vcc_lo, 1.0, v[1:2]
	v_cmp_neq_f64_e64 s2, 0, v[3:4]
	s_wait_alu 0xfffe
	s_or_b32 s2, vcc_lo, s2
	s_wait_alu 0xfffe
	s_or_not1_b32 s2, s2, exec_lo
.LBB135_2:
	s_wait_alu 0xfffe
	s_or_b32 exec_lo, exec_lo, s3
	s_and_saveexec_b32 s3, s2
	s_cbranch_execz .LBB135_8
; %bb.3:
	s_clause 0x1
	s_load_b64 s[4:5], s[0:1], 0x20
	s_load_b64 s[2:3], s[0:1], 0x0
	v_lshrrev_b32_e32 v9, 2, v0
	s_delay_alu instid0(VALU_DEP_1)
	v_lshl_or_b32 v21, ttmp9, 5, v9
	s_wait_kmcnt 0x0
	s_cmp_lg_u64 s[4:5], 0
	s_cbranch_scc0 .LBB135_9
; %bb.4:
	s_load_b32 s6, s[0:1], 0x18
	s_mov_b32 s7, 0
                                        ; implicit-def: $vgpr9
	s_wait_kmcnt 0x0
	v_cmp_gt_i32_e32 vcc_lo, s6, v21
	s_mov_b32 s6, 0
	s_and_saveexec_b32 s8, vcc_lo
	s_delay_alu instid0(SALU_CYCLE_1)
	s_xor_b32 s8, exec_lo, s8
	s_cbranch_execz .LBB135_6
; %bb.5:
	v_ashrrev_i32_e32 v22, 31, v21
	s_mov_b32 s6, exec_lo
	s_delay_alu instid0(VALU_DEP_1) | instskip(NEXT) | instid1(VALU_DEP_1)
	v_lshlrev_b64_e32 v[9:10], 2, v[21:22]
	v_add_co_u32 v9, vcc_lo, s4, v9
	s_delay_alu instid0(VALU_DEP_1)
	v_add_co_ci_u32_e64 v10, null, s5, v10, vcc_lo
	global_load_b32 v9, v[9:10], off
	s_wait_loadcnt 0x0
	v_subrev_nc_u32_e32 v9, s12, v9
.LBB135_6:
	s_or_b32 exec_lo, exec_lo, s8
	s_delay_alu instid0(SALU_CYCLE_1)
	s_and_b32 vcc_lo, exec_lo, s7
	s_wait_alu 0xfffe
	s_cbranch_vccz .LBB135_10
.LBB135_7:
	v_cmp_gt_i32_e32 vcc_lo, s2, v21
	s_and_not1_b32 s2, s6, exec_lo
	s_and_b32 s4, vcc_lo, exec_lo
	s_wait_alu 0xfffe
	s_or_b32 s6, s2, s4
	s_wait_alu 0xfffe
	s_and_b32 exec_lo, exec_lo, s6
	s_cbranch_execnz .LBB135_11
.LBB135_8:
	s_nop 0
	s_sendmsg sendmsg(MSG_DEALLOC_VGPRS)
	s_endpgm
.LBB135_9:
	s_mov_b32 s6, 0
                                        ; implicit-def: $vgpr9
	s_cbranch_execnz .LBB135_7
.LBB135_10:
	v_mov_b32_e32 v21, v9
	s_and_b32 exec_lo, exec_lo, s6
	s_cbranch_execz .LBB135_8
.LBB135_11:
	s_load_b256 s[4:11], s[0:1], 0x28
	s_delay_alu instid0(VALU_DEP_1) | instskip(SKIP_1) | instid1(VALU_DEP_2)
	v_ashrrev_i32_e32 v22, 31, v21
	v_and_b32_e32 v0, 3, v0
	v_lshlrev_b64_e32 v[9:10], 2, v[21:22]
	s_wait_kmcnt 0x0
	s_delay_alu instid0(VALU_DEP_1) | instskip(SKIP_1) | instid1(VALU_DEP_2)
	v_add_co_u32 v11, vcc_lo, s4, v9
	s_wait_alu 0xfffd
	v_add_co_ci_u32_e64 v12, null, s5, v10, vcc_lo
	v_add_co_u32 v9, vcc_lo, s6, v9
	s_wait_alu 0xfffd
	v_add_co_ci_u32_e64 v10, null, s7, v10, vcc_lo
	global_load_b32 v37, v[11:12], off
	v_add_co_u32 v11, vcc_lo, v11, 4
	s_wait_alu 0xfffd
	v_add_co_ci_u32_e64 v12, null, 0, v12, vcc_lo
	s_cmp_eq_u64 s[6:7], 0
	s_load_b64 s[4:5], s[0:1], 0x48
	s_cselect_b32 vcc_lo, -1, 0
	s_cmp_eq_u32 s3, 1
	s_wait_alu 0xfffe
	v_dual_cndmask_b32 v10, v10, v12 :: v_dual_cndmask_b32 v9, v9, v11
	global_load_b32 v13, v[9:10], off
	s_wait_loadcnt 0x1
	v_subrev_nc_u32_e32 v9, s12, v37
	s_delay_alu instid0(VALU_DEP_1) | instskip(NEXT) | instid1(VALU_DEP_1)
	v_add_nc_u32_e32 v9, v9, v0
	v_ashrrev_i32_e32 v10, 31, v9
	s_wait_loadcnt 0x0
	v_subrev_nc_u32_e32 v36, s12, v13
	s_delay_alu instid0(VALU_DEP_2) | instskip(NEXT) | instid1(VALU_DEP_2)
	v_lshlrev_b64_e32 v[11:12], 7, v[9:10]
	v_cmp_lt_i32_e64 s2, v9, v36
	s_delay_alu instid0(VALU_DEP_2) | instskip(SKIP_1) | instid1(VALU_DEP_3)
	v_add_co_u32 v11, vcc_lo, s10, v11
	s_wait_alu 0xfffd
	v_add_co_ci_u32_e64 v12, null, s11, v12, vcc_lo
	s_cbranch_scc1 .LBB135_23
; %bb.12:
	v_dual_mov_b32 v26, 0 :: v_dual_mov_b32 v15, 0
	v_dual_mov_b32 v17, 0 :: v_dual_mov_b32 v24, 0
	;; [unrolled: 1-line block ×8, first 2 shown]
	s_and_saveexec_b32 s6, s2
	s_cbranch_execz .LBB135_22
; %bb.13:
	v_add_nc_u32_e32 v10, v37, v0
	v_not_b32_e32 v13, v37
	v_mov_b32_e32 v22, 0
	v_mov_b32_e32 v28, 0
	v_dual_mov_b32 v26, 0 :: v_dual_mov_b32 v33, v12
	v_subrev_nc_u32_e32 v10, s12, v10
	v_dual_mov_b32 v24, 0 :: v_dual_mov_b32 v29, 0
	v_mov_b32_e32 v25, 0
	s_delay_alu instid0(VALU_DEP_3) | instskip(SKIP_2) | instid1(VALU_DEP_3)
	v_dual_mov_b32 v15, 0 :: v_dual_add_nc_u32 v10, 4, v10
	v_dual_mov_b32 v16, 0 :: v_dual_mov_b32 v19, 0
	v_dual_mov_b32 v20, 0 :: v_dual_mov_b32 v27, 0
	v_max_i32_e32 v10, v10, v36
	v_dual_mov_b32 v32, v11 :: v_dual_mov_b32 v23, 0
	v_mov_b32_e32 v17, 0
	v_mov_b32_e32 v18, 0
	s_delay_alu instid0(VALU_DEP_4) | instskip(SKIP_2) | instid1(VALU_DEP_3)
	v_add3_u32 v10, s12, v10, v13
	v_mov_b32_e32 v13, 0
	v_mov_b32_e32 v14, 0
	v_sub_nc_u32_e32 v10, v10, v0
	s_delay_alu instid0(VALU_DEP_1) | instskip(NEXT) | instid1(VALU_DEP_1)
	v_and_b32_e32 v30, 12, v10
	v_cmp_ne_u32_e32 vcc_lo, 12, v30
	v_mov_b32_e32 v30, v9
	s_and_saveexec_b32 s3, vcc_lo
	s_cbranch_execz .LBB135_17
; %bb.14:
	v_lshrrev_b32_e32 v13, 2, v10
	v_dual_mov_b32 v17, 0 :: v_dual_mov_b32 v30, v9
	v_mov_b32_e32 v18, 0
	s_delay_alu instid0(VALU_DEP_3) | instskip(SKIP_2) | instid1(VALU_DEP_3)
	v_dual_mov_b32 v24, 0 :: v_dual_add_nc_u32 v13, 1, v13
	v_dual_mov_b32 v28, 0 :: v_dual_mov_b32 v25, 0
	v_dual_mov_b32 v26, 0 :: v_dual_mov_b32 v19, 0
	v_dual_mov_b32 v22, 0 :: v_dual_and_b32 v31, 3, v13
	v_mov_b32_e32 v15, 0
	v_mov_b32_e32 v13, 0
	;; [unrolled: 1-line block ×4, first 2 shown]
	v_dual_mov_b32 v29, 0 :: v_dual_mov_b32 v20, 0
	v_dual_mov_b32 v23, 0 :: v_dual_mov_b32 v16, 0
	v_mov_b32_e32 v14, 0
	v_sub_nc_u32_e32 v34, 0, v31
	v_mov_b32_e32 v32, v11
	s_mov_b32 s7, 0
.LBB135_15:                             ; =>This Inner Loop Header: Depth=1
	v_ashrrev_i32_e32 v31, 31, v30
	s_delay_alu instid0(VALU_DEP_3) | instskip(SKIP_2) | instid1(VALU_DEP_2)
	v_add_co_u32 v34, s10, v34, 1
	s_wait_alu 0xfffe
	s_or_b32 s7, s10, s7
	v_lshlrev_b64_e32 v[38:39], 2, v[30:31]
	v_add_nc_u32_e32 v30, 4, v30
	s_delay_alu instid0(VALU_DEP_2) | instskip(SKIP_1) | instid1(VALU_DEP_3)
	v_add_co_u32 v38, vcc_lo, s8, v38
	s_wait_alu 0xfffd
	v_add_co_ci_u32_e64 v39, null, s9, v39, vcc_lo
	global_load_b32 v31, v[38:39], off
	s_clause 0x7
	global_load_b128 v[38:41], v[32:33], off offset:48
	global_load_b128 v[42:45], v[32:33], off offset:32
	;; [unrolled: 1-line block ×3, first 2 shown]
	global_load_b128 v[50:53], v[32:33], off
	global_load_b128 v[54:57], v[32:33], off offset:112
	global_load_b128 v[58:61], v[32:33], off offset:96
	;; [unrolled: 1-line block ×4, first 2 shown]
	s_wait_loadcnt 0x8
	v_subrev_nc_u32_e32 v31, s12, v31
	s_delay_alu instid0(VALU_DEP_1) | instskip(NEXT) | instid1(VALU_DEP_1)
	v_lshlrev_b32_e32 v70, 2, v31
	v_ashrrev_i32_e32 v71, 31, v70
	s_delay_alu instid0(VALU_DEP_1) | instskip(SKIP_1) | instid1(VALU_DEP_1)
	v_lshlrev_b64_e32 v[70:71], 4, v[70:71]
	s_wait_kmcnt 0x0
	v_add_co_u32 v82, vcc_lo, s4, v70
	s_wait_alu 0xfffd
	s_delay_alu instid0(VALU_DEP_2)
	v_add_co_ci_u32_e64 v83, null, s5, v71, vcc_lo
	v_add_co_u32 v32, vcc_lo, 0x200, v32
	s_wait_alu 0xfffd
	v_add_co_ci_u32_e64 v33, null, 0, v33, vcc_lo
	s_clause 0x3
	global_load_b128 v[70:73], v[82:83], off
	global_load_b128 v[74:77], v[82:83], off offset:16
	global_load_b128 v[78:81], v[82:83], off offset:32
	;; [unrolled: 1-line block ×3, first 2 shown]
	s_wait_loadcnt 0x3
	v_fma_f64 v[24:25], v[50:51], v[70:71], v[24:25]
	v_fma_f64 v[17:18], v[70:71], 0, v[17:18]
	v_fma_f64 v[28:29], v[42:43], v[70:71], v[28:29]
	v_fma_f64 v[26:27], v[70:71], 0, v[26:27]
	v_fma_f64 v[22:23], v[66:67], v[70:71], v[22:23]
	v_fma_f64 v[19:20], v[70:71], 0, v[19:20]
	v_fma_f64 v[13:14], v[58:59], v[70:71], v[13:14]
	v_fma_f64 v[15:16], v[70:71], 0, v[15:16]
	v_fma_f64 v[24:25], 0x80000000, v[72:73], v[24:25]
	v_fma_f64 v[17:18], v[50:51], v[72:73], v[17:18]
	v_fma_f64 v[28:29], 0x80000000, v[72:73], v[28:29]
	v_fma_f64 v[26:27], v[42:43], v[72:73], v[26:27]
	v_fma_f64 v[22:23], 0x80000000, v[72:73], v[22:23]
	v_fma_f64 v[19:20], v[66:67], v[72:73], v[19:20]
	v_fma_f64 v[13:14], 0x80000000, v[72:73], v[13:14]
	v_fma_f64 v[15:16], v[58:59], v[72:73], v[15:16]
	s_wait_loadcnt 0x2
	v_fma_f64 v[24:25], v[52:53], v[74:75], v[24:25]
	v_fma_f64 v[17:18], v[74:75], 0, v[17:18]
	v_fma_f64 v[28:29], v[44:45], v[74:75], v[28:29]
	v_fma_f64 v[26:27], v[74:75], 0, v[26:27]
	v_fma_f64 v[22:23], v[68:69], v[74:75], v[22:23]
	v_fma_f64 v[19:20], v[74:75], 0, v[19:20]
	v_fma_f64 v[13:14], v[60:61], v[74:75], v[13:14]
	v_fma_f64 v[15:16], v[74:75], 0, v[15:16]
	v_fma_f64 v[24:25], 0x80000000, v[76:77], v[24:25]
	v_fma_f64 v[17:18], v[52:53], v[76:77], v[17:18]
	v_fma_f64 v[28:29], 0x80000000, v[76:77], v[28:29]
	v_fma_f64 v[26:27], v[44:45], v[76:77], v[26:27]
	v_fma_f64 v[22:23], 0x80000000, v[76:77], v[22:23]
	v_fma_f64 v[19:20], v[68:69], v[76:77], v[19:20]
	v_fma_f64 v[13:14], 0x80000000, v[76:77], v[13:14]
	v_fma_f64 v[15:16], v[60:61], v[76:77], v[15:16]
	s_wait_loadcnt 0x1
	v_fma_f64 v[24:25], v[46:47], v[78:79], v[24:25]
	v_fma_f64 v[17:18], v[78:79], 0, v[17:18]
	v_fma_f64 v[28:29], v[38:39], v[78:79], v[28:29]
	v_fma_f64 v[26:27], v[78:79], 0, v[26:27]
	v_fma_f64 v[22:23], v[62:63], v[78:79], v[22:23]
	v_fma_f64 v[19:20], v[78:79], 0, v[19:20]
	v_fma_f64 v[13:14], v[54:55], v[78:79], v[13:14]
	v_fma_f64 v[15:16], v[78:79], 0, v[15:16]
	v_fma_f64 v[24:25], 0x80000000, v[80:81], v[24:25]
	v_fma_f64 v[17:18], v[46:47], v[80:81], v[17:18]
	v_fma_f64 v[28:29], 0x80000000, v[80:81], v[28:29]
	v_fma_f64 v[26:27], v[38:39], v[80:81], v[26:27]
	v_fma_f64 v[22:23], 0x80000000, v[80:81], v[22:23]
	v_fma_f64 v[19:20], v[62:63], v[80:81], v[19:20]
	v_fma_f64 v[13:14], 0x80000000, v[80:81], v[13:14]
	v_fma_f64 v[15:16], v[54:55], v[80:81], v[15:16]
	s_wait_loadcnt 0x0
	v_fma_f64 v[24:25], v[48:49], v[82:83], v[24:25]
	v_fma_f64 v[17:18], v[82:83], 0, v[17:18]
	v_fma_f64 v[28:29], v[40:41], v[82:83], v[28:29]
	v_fma_f64 v[26:27], v[82:83], 0, v[26:27]
	v_fma_f64 v[22:23], v[64:65], v[82:83], v[22:23]
	v_fma_f64 v[19:20], v[82:83], 0, v[19:20]
	v_fma_f64 v[13:14], v[56:57], v[82:83], v[13:14]
	v_fma_f64 v[15:16], v[82:83], 0, v[15:16]
	v_fma_f64 v[24:25], 0x80000000, v[84:85], v[24:25]
	v_fma_f64 v[17:18], v[48:49], v[84:85], v[17:18]
	v_fma_f64 v[28:29], 0x80000000, v[84:85], v[28:29]
	v_fma_f64 v[26:27], v[40:41], v[84:85], v[26:27]
	v_fma_f64 v[22:23], 0x80000000, v[84:85], v[22:23]
	v_fma_f64 v[19:20], v[64:65], v[84:85], v[19:20]
	v_fma_f64 v[13:14], 0x80000000, v[84:85], v[13:14]
	v_fma_f64 v[15:16], v[56:57], v[84:85], v[15:16]
	s_wait_alu 0xfffe
	s_and_not1_b32 exec_lo, exec_lo, s7
	s_cbranch_execnz .LBB135_15
; %bb.16:
	s_or_b32 exec_lo, exec_lo, s7
.LBB135_17:
	s_wait_alu 0xfffe
	s_or_b32 exec_lo, exec_lo, s3
	s_delay_alu instid0(SALU_CYCLE_1)
	s_mov_b32 s7, exec_lo
	v_cmpx_lt_u32_e32 11, v10
	s_cbranch_execz .LBB135_21
; %bb.18:
	s_mov_b32 s10, 0
.LBB135_19:                             ; =>This Inner Loop Header: Depth=1
	v_ashrrev_i32_e32 v31, 31, v30
	s_delay_alu instid0(VALU_DEP_1) | instskip(SKIP_1) | instid1(VALU_DEP_2)
	v_lshlrev_b64_e32 v[34:35], 2, v[30:31]
	v_add_nc_u32_e32 v30, 16, v30
	v_add_co_u32 v34, vcc_lo, s8, v34
	s_wait_alu 0xfffd
	s_delay_alu instid0(VALU_DEP_3)
	v_add_co_ci_u32_e64 v35, null, s9, v35, vcc_lo
	global_load_b32 v10, v[34:35], off
	s_clause 0x3
	global_load_b128 v[38:41], v[32:33], off offset:32
	global_load_b128 v[42:45], v[32:33], off
	global_load_b128 v[46:49], v[32:33], off offset:96
	global_load_b128 v[50:53], v[32:33], off offset:64
	s_clause 0x2
	global_load_b32 v31, v[34:35], off offset:16
	global_load_b32 v112, v[34:35], off offset:32
	global_load_b32 v113, v[34:35], off offset:48
	s_wait_loadcnt 0x7
	v_subrev_nc_u32_e32 v10, s12, v10
	s_delay_alu instid0(VALU_DEP_1) | instskip(SKIP_2) | instid1(VALU_DEP_2)
	v_lshlrev_b32_e32 v34, 2, v10
	s_wait_loadcnt 0x2
	v_subrev_nc_u32_e32 v10, s12, v31
	v_ashrrev_i32_e32 v35, 31, v34
	s_delay_alu instid0(VALU_DEP_1) | instskip(SKIP_1) | instid1(VALU_DEP_1)
	v_lshlrev_b64_e32 v[34:35], 4, v[34:35]
	s_wait_kmcnt 0x0
	v_add_co_u32 v34, vcc_lo, s4, v34
	s_wait_alu 0xfffd
	s_delay_alu instid0(VALU_DEP_2)
	v_add_co_ci_u32_e64 v35, null, s5, v35, vcc_lo
	s_clause 0x1
	global_load_b128 v[54:57], v[34:35], off
	global_load_b128 v[58:61], v[34:35], off offset:16
	s_clause 0x3
	global_load_b128 v[62:65], v[32:33], off offset:48
	global_load_b128 v[66:69], v[32:33], off offset:16
	;; [unrolled: 1-line block ×4, first 2 shown]
	s_clause 0x1
	global_load_b128 v[78:81], v[34:35], off offset:32
	global_load_b128 v[82:85], v[34:35], off offset:48
	s_clause 0x3
	global_load_b128 v[86:89], v[32:33], off offset:544
	global_load_b128 v[90:93], v[32:33], off offset:512
	;; [unrolled: 1-line block ×4, first 2 shown]
	v_lshlrev_b32_e32 v34, 2, v10
	s_wait_loadcnt 0xd
	v_subrev_nc_u32_e32 v10, s12, v112
	s_delay_alu instid0(VALU_DEP_2) | instskip(NEXT) | instid1(VALU_DEP_1)
	v_ashrrev_i32_e32 v35, 31, v34
	v_lshlrev_b64_e32 v[34:35], 4, v[34:35]
	s_delay_alu instid0(VALU_DEP_1) | instskip(SKIP_1) | instid1(VALU_DEP_2)
	v_add_co_u32 v34, vcc_lo, s4, v34
	s_wait_alu 0xfffd
	v_add_co_ci_u32_e64 v35, null, s5, v35, vcc_lo
	global_load_b128 v[102:105], v[34:35], off
	s_wait_loadcnt 0xc
	v_fma_f64 v[17:18], v[54:55], 0, v[17:18]
	v_fma_f64 v[26:27], v[54:55], 0, v[26:27]
	;; [unrolled: 1-line block ×16, first 2 shown]
	global_load_b128 v[13:16], v[34:35], off offset:16
	s_wait_loadcnt 0xc
	v_fma_f64 v[17:18], v[58:59], 0, v[17:18]
	v_fma_f64 v[26:27], v[58:59], 0, v[26:27]
	;; [unrolled: 1-line block ×16, first 2 shown]
	s_clause 0x3
	global_load_b128 v[17:20], v[32:33], off offset:560
	global_load_b128 v[22:25], v[32:33], off offset:528
	;; [unrolled: 1-line block ×5, first 2 shown]
	s_wait_loadcnt 0xc
	v_fma_f64 v[46:47], v[78:79], 0, v[46:47]
	v_fma_f64 v[50:51], v[78:79], 0, v[50:51]
	;; [unrolled: 1-line block ×16, first 2 shown]
	global_load_b128 v[46:49], v[34:35], off offset:48
	s_wait_loadcnt 0xc
	v_fma_f64 v[34:35], v[82:83], 0, v[66:67]
	v_fma_f64 v[66:67], v[82:83], 0, v[50:51]
	;; [unrolled: 1-line block ×8, first 2 shown]
	v_lshlrev_b32_e32 v82, 2, v10
	s_clause 0x3
	global_load_b128 v[50:53], v[32:33], off offset:1056
	global_load_b128 v[54:57], v[32:33], off offset:1024
	global_load_b128 v[58:61], v[32:33], off offset:1120
	global_load_b128 v[78:81], v[32:33], off offset:1088
	v_subrev_nc_u32_e32 v10, s12, v113
	v_ashrrev_i32_e32 v83, 31, v82
	v_fma_f64 v[34:35], v[68:69], v[84:85], v[34:35]
	v_fma_f64 v[66:67], v[64:65], v[84:85], v[66:67]
	;; [unrolled: 1-line block ×8, first 2 shown]
	v_lshlrev_b64_e32 v[62:63], 4, v[82:83]
	s_delay_alu instid0(VALU_DEP_1) | instskip(SKIP_1) | instid1(VALU_DEP_2)
	v_add_co_u32 v108, vcc_lo, s4, v62
	s_wait_alu 0xfffd
	v_add_co_ci_u32_e64 v109, null, s5, v63, vcc_lo
	global_load_b128 v[62:65], v[108:109], off
	s_wait_loadcnt 0xc
	v_fma_f64 v[34:35], v[102:103], 0, v[34:35]
	v_fma_f64 v[66:67], v[102:103], 0, v[66:67]
	;; [unrolled: 1-line block ×16, first 2 shown]
	global_load_b128 v[66:69], v[108:109], off offset:16
	s_wait_loadcnt 0xc
	v_fma_f64 v[34:35], v[13:14], 0, v[34:35]
	v_fma_f64 v[84:85], v[13:14], 0, v[84:85]
	v_fma_f64 v[86:87], v[92:93], v[13:14], v[86:87]
	v_fma_f64 v[70:71], v[88:89], v[13:14], v[70:71]
	v_fma_f64 v[74:75], v[100:101], v[13:14], v[74:75]
	v_fma_f64 v[76:77], v[13:14], 0, v[76:77]
	v_fma_f64 v[82:83], v[96:97], v[13:14], v[82:83]
	v_fma_f64 v[13:14], v[13:14], 0, v[72:73]
	v_fma_f64 v[34:35], v[92:93], v[15:16], v[34:35]
	v_fma_f64 v[90:91], v[88:89], v[15:16], v[84:85]
	v_fma_f64 v[92:93], 0x80000000, v[15:16], v[86:87]
	v_fma_f64 v[94:95], 0x80000000, v[15:16], v[70:71]
	v_fma_f64 v[98:99], 0x80000000, v[15:16], v[74:75]
	v_fma_f64 v[100:101], v[100:101], v[15:16], v[76:77]
	v_fma_f64 v[102:103], 0x80000000, v[15:16], v[82:83]
	v_fma_f64 v[96:97], v[96:97], v[15:16], v[13:14]
	s_clause 0x3
	global_load_b128 v[13:16], v[32:33], off offset:1072
	global_load_b128 v[70:73], v[32:33], off offset:1040
	global_load_b128 v[74:77], v[32:33], off offset:1136
	global_load_b128 v[82:85], v[32:33], off offset:1104
	global_load_b128 v[86:89], v[108:109], off offset:32
	s_wait_loadcnt 0xc
	v_fma_f64 v[34:35], v[42:43], 0, v[34:35]
	v_fma_f64 v[90:91], v[42:43], 0, v[90:91]
	;; [unrolled: 1-line block ×16, first 2 shown]
	global_load_b128 v[42:45], v[108:109], off offset:48
	s_wait_loadcnt 0xc
	v_fma_f64 v[22:23], v[46:47], 0, v[22:23]
	v_fma_f64 v[17:18], v[46:47], 0, v[17:18]
	;; [unrolled: 1-line block ×8, first 2 shown]
	v_lshlrev_b32_e32 v46, 2, v10
	s_clause 0x3
	global_load_b128 v[90:93], v[32:33], off offset:1568
	global_load_b128 v[94:97], v[32:33], off offset:1536
	global_load_b128 v[98:101], v[32:33], off offset:1632
	global_load_b128 v[102:105], v[32:33], off offset:1600
	v_ashrrev_i32_e32 v47, 31, v46
	v_fma_f64 v[22:23], v[24:25], v[48:49], v[22:23]
	v_fma_f64 v[24:25], v[19:20], v[48:49], v[17:18]
	;; [unrolled: 1-line block ×8, first 2 shown]
	v_lshlrev_b64_e32 v[17:18], 4, v[46:47]
	s_delay_alu instid0(VALU_DEP_1) | instskip(SKIP_1) | instid1(VALU_DEP_2)
	v_add_co_u32 v110, vcc_lo, s4, v17
	s_wait_alu 0xfffd
	v_add_co_ci_u32_e64 v111, null, s5, v18, vcc_lo
	v_cmp_ge_i32_e32 vcc_lo, v30, v36
	global_load_b128 v[17:20], v[110:111], off
	s_wait_alu 0xfffe
	s_or_b32 s10, vcc_lo, s10
	s_wait_loadcnt 0xc
	v_fma_f64 v[22:23], v[62:63], 0, v[22:23]
	v_fma_f64 v[24:25], v[62:63], 0, v[24:25]
	;; [unrolled: 1-line block ×16, first 2 shown]
	global_load_b128 v[22:25], v[110:111], off offset:16
	s_wait_loadcnt 0xc
	v_fma_f64 v[48:49], v[66:67], 0, v[48:49]
	v_fma_f64 v[50:51], v[66:67], 0, v[50:51]
	;; [unrolled: 1-line block ×16, first 2 shown]
	s_clause 0x3
	global_load_b128 v[38:41], v[32:33], off offset:1584
	global_load_b128 v[26:29], v[32:33], off offset:1552
	;; [unrolled: 1-line block ×5, first 2 shown]
	v_add_co_u32 v32, s3, 0x800, v32
	s_wait_alu 0xf1ff
	v_add_co_ci_u32_e64 v33, null, 0, v33, s3
	s_wait_loadcnt 0xc
	v_fma_f64 v[62:63], v[86:87], 0, v[62:63]
	v_fma_f64 v[64:65], v[86:87], 0, v[64:65]
	;; [unrolled: 1-line block ×16, first 2 shown]
	global_load_b128 v[58:61], v[110:111], off offset:48
	s_wait_loadcnt 0xc
	v_fma_f64 v[62:63], v[42:43], 0, v[62:63]
	v_fma_f64 v[13:14], v[42:43], 0, v[13:14]
	v_fma_f64 v[74:75], v[72:73], v[42:43], v[80:81]
	v_fma_f64 v[34:35], v[15:16], v[42:43], v[34:35]
	v_fma_f64 v[64:65], v[84:85], v[42:43], v[64:65]
	v_fma_f64 v[66:67], v[42:43], 0, v[66:67]
	v_fma_f64 v[68:69], v[76:77], v[42:43], v[68:69]
	v_fma_f64 v[42:43], v[42:43], 0, v[70:71]
	v_fma_f64 v[62:63], v[72:73], v[44:45], v[62:63]
	v_fma_f64 v[13:14], v[15:16], v[44:45], v[13:14]
	v_fma_f64 v[70:71], 0x80000000, v[44:45], v[74:75]
	v_fma_f64 v[34:35], 0x80000000, v[44:45], v[34:35]
	v_fma_f64 v[15:16], 0x80000000, v[44:45], v[64:65]
	v_fma_f64 v[64:65], v[84:85], v[44:45], v[66:67]
	v_fma_f64 v[66:67], 0x80000000, v[44:45], v[68:69]
	v_fma_f64 v[42:43], v[76:77], v[44:45], v[42:43]
	s_wait_loadcnt 0x7
	v_fma_f64 v[62:63], v[17:18], 0, v[62:63]
	v_fma_f64 v[13:14], v[17:18], 0, v[13:14]
	v_fma_f64 v[44:45], v[94:95], v[17:18], v[70:71]
	v_fma_f64 v[34:35], v[90:91], v[17:18], v[34:35]
	v_fma_f64 v[15:16], v[102:103], v[17:18], v[15:16]
	v_fma_f64 v[64:65], v[17:18], 0, v[64:65]
	v_fma_f64 v[66:67], v[98:99], v[17:18], v[66:67]
	v_fma_f64 v[17:18], v[17:18], 0, v[42:43]
	v_fma_f64 v[13:14], v[90:91], v[19:20], v[13:14]
	v_fma_f64 v[42:43], 0x80000000, v[19:20], v[44:45]
	v_fma_f64 v[44:45], v[94:95], v[19:20], v[62:63]
	v_fma_f64 v[34:35], 0x80000000, v[19:20], v[34:35]
	v_fma_f64 v[15:16], 0x80000000, v[19:20], v[15:16]
	v_fma_f64 v[62:63], v[102:103], v[19:20], v[64:65]
	v_fma_f64 v[64:65], 0x80000000, v[19:20], v[66:67]
	v_fma_f64 v[17:18], v[98:99], v[19:20], v[17:18]
	;; [unrolled: 17-line block ×5, first 2 shown]
	s_wait_alu 0xfffe
	s_and_not1_b32 exec_lo, exec_lo, s10
	s_cbranch_execnz .LBB135_19
; %bb.20:
	s_or_b32 exec_lo, exec_lo, s10
.LBB135_21:
	s_wait_alu 0xfffe
	s_or_b32 exec_lo, exec_lo, s7
.LBB135_22:
	s_wait_alu 0xfffe
	s_or_b32 exec_lo, exec_lo, s6
	s_cbranch_execz .LBB135_24
	s_branch .LBB135_35
.LBB135_23:
                                        ; implicit-def: $vgpr17_vgpr18
                                        ; implicit-def: $vgpr24_vgpr25
                                        ; implicit-def: $vgpr26_vgpr27
                                        ; implicit-def: $vgpr28_vgpr29
                                        ; implicit-def: $vgpr19_vgpr20
                                        ; implicit-def: $vgpr22_vgpr23
                                        ; implicit-def: $vgpr15_vgpr16
                                        ; implicit-def: $vgpr13_vgpr14
.LBB135_24:
	v_dual_mov_b32 v26, 0 :: v_dual_mov_b32 v15, 0
	v_dual_mov_b32 v17, 0 :: v_dual_mov_b32 v24, 0
	v_dual_mov_b32 v27, 0 :: v_dual_mov_b32 v28, 0
	v_dual_mov_b32 v19, 0 :: v_dual_mov_b32 v22, 0
	v_dual_mov_b32 v16, 0 :: v_dual_mov_b32 v13, 0
	v_dual_mov_b32 v18, 0 :: v_dual_mov_b32 v25, 0
	v_dual_mov_b32 v29, 0 :: v_dual_mov_b32 v20, 0
	v_dual_mov_b32 v23, 0 :: v_dual_mov_b32 v14, 0
	s_and_saveexec_b32 s3, s2
	s_cbranch_execz .LBB135_34
; %bb.25:
	v_add_nc_u32_e32 v10, v37, v0
	v_not_b32_e32 v13, v37
	v_mov_b32_e32 v22, 0
	v_dual_mov_b32 v28, 0 :: v_dual_mov_b32 v17, 0
	s_delay_alu instid0(VALU_DEP_4) | instskip(SKIP_3) | instid1(VALU_DEP_4)
	v_subrev_nc_u32_e32 v10, s12, v10
	v_mov_b32_e32 v26, 0
	v_dual_mov_b32 v24, 0 :: v_dual_mov_b32 v29, 0
	v_mov_b32_e32 v18, 0
	v_dual_mov_b32 v15, 0 :: v_dual_add_nc_u32 v10, 4, v10
	v_dual_mov_b32 v16, 0 :: v_dual_mov_b32 v19, 0
	v_dual_mov_b32 v20, 0 :: v_dual_mov_b32 v25, 0
	s_delay_alu instid0(VALU_DEP_3) | instskip(SKIP_3) | instid1(VALU_DEP_3)
	v_max_i32_e32 v10, v10, v36
	s_mov_b32 s2, exec_lo
	v_mov_b32_e32 v23, 0
	v_mov_b32_e32 v27, 0
	v_add3_u32 v10, s12, v10, v13
	v_mov_b32_e32 v13, 0
	v_mov_b32_e32 v14, 0
	s_delay_alu instid0(VALU_DEP_3) | instskip(NEXT) | instid1(VALU_DEP_1)
	v_sub_nc_u32_e32 v30, v10, v0
	v_and_b32_e32 v10, 12, v30
	s_delay_alu instid0(VALU_DEP_1)
	v_cmpx_ne_u32_e32 12, v10
	s_cbranch_execz .LBB135_29
; %bb.26:
	v_lshrrev_b32_e32 v10, 2, v30
	v_mov_b32_e32 v24, 0
	v_mov_b32_e32 v26, 0
	v_mov_b32_e32 v28, 0
	v_dual_mov_b32 v22, 0 :: v_dual_mov_b32 v13, 0
	v_dual_mov_b32 v17, 0 :: v_dual_add_nc_u32 v10, 1, v10
	v_dual_mov_b32 v18, 0 :: v_dual_mov_b32 v25, 0
	s_delay_alu instid0(VALU_DEP_2)
	v_dual_mov_b32 v19, 0 :: v_dual_and_b32 v10, 3, v10
	v_dual_mov_b32 v20, 0 :: v_dual_mov_b32 v15, 0
	v_mov_b32_e32 v27, 0
	v_mov_b32_e32 v29, 0
	v_dual_mov_b32 v23, 0 :: v_dual_mov_b32 v16, 0
	v_mov_b32_e32 v14, 0
	v_sub_nc_u32_e32 v31, 0, v10
	s_mov_b32 s6, 0
.LBB135_27:                             ; =>This Inner Loop Header: Depth=1
	v_ashrrev_i32_e32 v10, 31, v9
	s_delay_alu instid0(VALU_DEP_2) | instskip(SKIP_2) | instid1(VALU_DEP_2)
	v_add_co_u32 v31, s7, v31, 1
	s_wait_alu 0xfffe
	s_or_b32 s6, s7, s6
	v_lshlrev_b64_e32 v[32:33], 2, v[9:10]
	v_add_nc_u32_e32 v9, 4, v9
	s_delay_alu instid0(VALU_DEP_2) | instskip(SKIP_1) | instid1(VALU_DEP_3)
	v_add_co_u32 v32, vcc_lo, s8, v32
	s_wait_alu 0xfffd
	v_add_co_ci_u32_e64 v33, null, s9, v33, vcc_lo
	global_load_b32 v10, v[32:33], off
	s_clause 0x1
	global_load_b128 v[32:35], v[11:12], off offset:16
	global_load_b128 v[37:40], v[11:12], off
	s_wait_loadcnt 0x2
	v_subrev_nc_u32_e32 v10, s12, v10
	s_delay_alu instid0(VALU_DEP_1) | instskip(NEXT) | instid1(VALU_DEP_1)
	v_lshlrev_b32_e32 v41, 2, v10
	v_ashrrev_i32_e32 v42, 31, v41
	s_delay_alu instid0(VALU_DEP_1) | instskip(SKIP_1) | instid1(VALU_DEP_1)
	v_lshlrev_b64_e32 v[41:42], 4, v[41:42]
	s_wait_kmcnt 0x0
	v_add_co_u32 v69, vcc_lo, s4, v41
	s_wait_alu 0xfffd
	s_delay_alu instid0(VALU_DEP_2)
	v_add_co_ci_u32_e64 v70, null, s5, v42, vcc_lo
	s_clause 0x1
	global_load_b128 v[41:44], v[69:70], off
	global_load_b128 v[45:48], v[69:70], off offset:16
	s_clause 0x3
	global_load_b128 v[49:52], v[11:12], off offset:32
	global_load_b128 v[53:56], v[11:12], off offset:48
	;; [unrolled: 1-line block ×4, first 2 shown]
	s_clause 0x1
	global_load_b128 v[65:68], v[69:70], off offset:32
	global_load_b128 v[69:72], v[69:70], off offset:48
	s_clause 0x1
	global_load_b128 v[73:76], v[11:12], off offset:96
	global_load_b128 v[77:80], v[11:12], off offset:112
	v_add_co_u32 v11, vcc_lo, 0x200, v11
	s_wait_alu 0xfffd
	v_add_co_ci_u32_e64 v12, null, 0, v12, vcc_lo
	s_wait_loadcnt 0x9
	v_fma_f64 v[24:25], v[37:38], v[41:42], v[24:25]
	v_fma_f64 v[17:18], v[41:42], 0, v[17:18]
	;; [unrolled: 1-line block ×16, first 2 shown]
	s_wait_loadcnt 0x7
	v_fma_f64 v[24:25], v[49:50], v[45:46], v[24:25]
	v_fma_f64 v[17:18], v[45:46], 0, v[17:18]
	;; [unrolled: 1-line block ×4, first 2 shown]
	s_wait_loadcnt 0x6
	v_fma_f64 v[22:23], v[53:54], v[45:46], v[22:23]
	v_fma_f64 v[19:20], v[45:46], 0, v[19:20]
	;; [unrolled: 1-line block ×12, first 2 shown]
	s_wait_loadcnt 0x3
	v_fma_f64 v[24:25], v[61:62], v[65:66], v[24:25]
	v_fma_f64 v[17:18], v[65:66], 0, v[17:18]
	v_fma_f64 v[28:29], v[63:64], v[65:66], v[28:29]
	v_fma_f64 v[26:27], v[65:66], 0, v[26:27]
	v_fma_f64 v[22:23], v[57:58], v[65:66], v[22:23]
	v_fma_f64 v[19:20], v[65:66], 0, v[19:20]
	v_fma_f64 v[13:14], v[59:60], v[65:66], v[13:14]
	v_fma_f64 v[15:16], v[65:66], 0, v[15:16]
	v_fma_f64 v[24:25], 0x80000000, v[67:68], v[24:25]
	v_fma_f64 v[17:18], v[61:62], v[67:68], v[17:18]
	v_fma_f64 v[28:29], 0x80000000, v[67:68], v[28:29]
	v_fma_f64 v[26:27], v[63:64], v[67:68], v[26:27]
	v_fma_f64 v[22:23], 0x80000000, v[67:68], v[22:23]
	v_fma_f64 v[19:20], v[57:58], v[67:68], v[19:20]
	v_fma_f64 v[13:14], 0x80000000, v[67:68], v[13:14]
	v_fma_f64 v[15:16], v[59:60], v[67:68], v[15:16]
	s_wait_loadcnt 0x1
	v_fma_f64 v[24:25], v[73:74], v[69:70], v[24:25]
	v_fma_f64 v[17:18], v[69:70], 0, v[17:18]
	;; [unrolled: 1-line block ×4, first 2 shown]
	s_wait_loadcnt 0x0
	v_fma_f64 v[22:23], v[77:78], v[69:70], v[22:23]
	v_fma_f64 v[19:20], v[69:70], 0, v[19:20]
	;; [unrolled: 1-line block ×12, first 2 shown]
	s_wait_alu 0xfffe
	s_and_not1_b32 exec_lo, exec_lo, s6
	s_cbranch_execnz .LBB135_27
; %bb.28:
	s_or_b32 exec_lo, exec_lo, s6
.LBB135_29:
	s_wait_alu 0xfffe
	s_or_b32 exec_lo, exec_lo, s2
	s_delay_alu instid0(SALU_CYCLE_1)
	s_mov_b32 s6, exec_lo
	v_cmpx_lt_u32_e32 11, v30
	s_cbranch_execz .LBB135_33
; %bb.30:
	s_mov_b32 s7, 0
.LBB135_31:                             ; =>This Inner Loop Header: Depth=1
	v_ashrrev_i32_e32 v10, 31, v9
	s_delay_alu instid0(VALU_DEP_1) | instskip(SKIP_1) | instid1(VALU_DEP_2)
	v_lshlrev_b64_e32 v[30:31], 2, v[9:10]
	v_add_nc_u32_e32 v9, 16, v9
	v_add_co_u32 v34, vcc_lo, s8, v30
	s_wait_alu 0xfffd
	s_delay_alu instid0(VALU_DEP_3)
	v_add_co_ci_u32_e64 v35, null, s9, v31, vcc_lo
	global_load_b32 v10, v[34:35], off
	s_clause 0x1
	global_load_b128 v[30:33], v[11:12], off offset:16
	global_load_b128 v[37:40], v[11:12], off
	s_clause 0x2
	global_load_b32 v89, v[34:35], off offset:16
	global_load_b32 v97, v[34:35], off offset:32
	;; [unrolled: 1-line block ×3, first 2 shown]
	s_wait_loadcnt 0x5
	v_subrev_nc_u32_e32 v10, s12, v10
	s_delay_alu instid0(VALU_DEP_1) | instskip(SKIP_2) | instid1(VALU_DEP_2)
	v_lshlrev_b32_e32 v34, 2, v10
	s_wait_loadcnt 0x2
	v_subrev_nc_u32_e32 v10, s12, v89
	v_ashrrev_i32_e32 v35, 31, v34
	s_delay_alu instid0(VALU_DEP_1) | instskip(SKIP_1) | instid1(VALU_DEP_1)
	v_lshlrev_b64_e32 v[34:35], 4, v[34:35]
	s_wait_kmcnt 0x0
	v_add_co_u32 v34, vcc_lo, s4, v34
	s_wait_alu 0xfffd
	s_delay_alu instid0(VALU_DEP_2)
	v_add_co_ci_u32_e64 v35, null, s5, v35, vcc_lo
	global_load_b128 v[41:44], v[34:35], off
	s_clause 0x1
	global_load_b128 v[45:48], v[11:12], off offset:32
	global_load_b128 v[49:52], v[11:12], off offset:48
	global_load_b128 v[53:56], v[34:35], off offset:16
	s_clause 0x1
	global_load_b128 v[57:60], v[11:12], off offset:80
	global_load_b128 v[61:64], v[11:12], off offset:64
	global_load_b128 v[65:68], v[34:35], off offset:32
	;; [unrolled: 4-line block ×3, first 2 shown]
	s_clause 0x1
	global_load_b128 v[81:84], v[11:12], off offset:528
	global_load_b128 v[85:88], v[11:12], off offset:512
	v_lshlrev_b32_e32 v34, 2, v10
	s_wait_loadcnt 0xd
	v_subrev_nc_u32_e32 v10, s12, v97
	s_delay_alu instid0(VALU_DEP_2) | instskip(NEXT) | instid1(VALU_DEP_2)
	v_ashrrev_i32_e32 v35, 31, v34
	v_lshlrev_b32_e32 v97, 2, v10
	s_wait_loadcnt 0xc
	v_subrev_nc_u32_e32 v10, s12, v99
	s_delay_alu instid0(VALU_DEP_3) | instskip(NEXT) | instid1(VALU_DEP_3)
	v_lshlrev_b64_e32 v[34:35], 4, v[34:35]
	v_ashrrev_i32_e32 v98, 31, v97
	s_delay_alu instid0(VALU_DEP_2) | instskip(SKIP_1) | instid1(VALU_DEP_3)
	v_add_co_u32 v34, vcc_lo, s4, v34
	s_wait_alu 0xfffd
	v_add_co_ci_u32_e64 v35, null, s5, v35, vcc_lo
	global_load_b128 v[89:92], v[34:35], off
	s_wait_loadcnt 0xc
	v_fma_f64 v[24:25], v[37:38], v[41:42], v[24:25]
	v_fma_f64 v[17:18], v[41:42], 0, v[17:18]
	v_fma_f64 v[28:29], v[39:40], v[41:42], v[28:29]
	v_fma_f64 v[26:27], v[41:42], 0, v[26:27]
	v_fma_f64 v[22:23], v[30:31], v[41:42], v[22:23]
	v_fma_f64 v[19:20], v[41:42], 0, v[19:20]
	v_fma_f64 v[13:14], v[32:33], v[41:42], v[13:14]
	v_fma_f64 v[15:16], v[41:42], 0, v[15:16]
	v_fma_f64 v[41:42], 0x80000000, v[43:44], v[24:25]
	v_fma_f64 v[37:38], v[37:38], v[43:44], v[17:18]
	v_fma_f64 v[28:29], 0x80000000, v[43:44], v[28:29]
	v_fma_f64 v[26:27], v[39:40], v[43:44], v[26:27]
	v_fma_f64 v[39:40], 0x80000000, v[43:44], v[22:23]
	v_fma_f64 v[30:31], v[30:31], v[43:44], v[19:20]
	v_fma_f64 v[93:94], 0x80000000, v[43:44], v[13:14]
	v_fma_f64 v[32:33], v[32:33], v[43:44], v[15:16]
	s_clause 0x1
	global_load_b128 v[13:16], v[11:12], off offset:544
	global_load_b128 v[17:20], v[11:12], off offset:560
	global_load_b128 v[22:25], v[34:35], off offset:16
	s_wait_loadcnt 0xc
	v_fma_f64 v[41:42], v[45:46], v[53:54], v[41:42]
	v_fma_f64 v[37:38], v[53:54], 0, v[37:38]
	v_fma_f64 v[28:29], v[47:48], v[53:54], v[28:29]
	v_fma_f64 v[26:27], v[53:54], 0, v[26:27]
	v_fma_f64 v[39:40], v[49:50], v[53:54], v[39:40]
	v_fma_f64 v[30:31], v[53:54], 0, v[30:31]
	v_fma_f64 v[43:44], v[51:52], v[53:54], v[93:94]
	v_fma_f64 v[32:33], v[53:54], 0, v[32:33]
	v_fma_f64 v[41:42], 0x80000000, v[55:56], v[41:42]
	v_fma_f64 v[45:46], v[45:46], v[55:56], v[37:38]
	v_fma_f64 v[53:54], 0x80000000, v[55:56], v[28:29]
	v_fma_f64 v[47:48], v[47:48], v[55:56], v[26:27]
	v_fma_f64 v[93:94], 0x80000000, v[55:56], v[39:40]
	v_fma_f64 v[49:50], v[49:50], v[55:56], v[30:31]
	v_fma_f64 v[43:44], 0x80000000, v[55:56], v[43:44]
	v_fma_f64 v[51:52], v[51:52], v[55:56], v[32:33]
	s_clause 0x1
	global_load_b128 v[26:29], v[11:12], off offset:592
	global_load_b128 v[30:33], v[11:12], off offset:576
	global_load_b128 v[37:40], v[34:35], off offset:32
	;; [unrolled: 21-line block ×3, first 2 shown]
	s_wait_loadcnt 0xc
	v_fma_f64 v[34:35], v[69:70], v[77:78], v[65:66]
	v_fma_f64 v[61:62], v[77:78], 0, v[61:62]
	v_fma_f64 v[65:66], v[71:72], v[77:78], v[53:54]
	v_fma_f64 v[63:64], v[77:78], 0, v[63:64]
	v_fma_f64 v[67:68], v[73:74], v[77:78], v[55:56]
	v_fma_f64 v[95:96], v[77:78], 0, v[57:58]
	v_fma_f64 v[93:94], v[75:76], v[77:78], v[93:94]
	v_fma_f64 v[77:78], v[77:78], 0, v[59:60]
	s_clause 0x1
	global_load_b128 v[53:56], v[11:12], off offset:1040
	global_load_b128 v[57:60], v[11:12], off offset:1024
	v_fma_f64 v[34:35], 0x80000000, v[79:80], v[34:35]
	v_fma_f64 v[69:70], v[69:70], v[79:80], v[61:62]
	;; [unrolled: 1-line block ×8, first 2 shown]
	v_lshlrev_b64_e32 v[61:62], 4, v[97:98]
	s_delay_alu instid0(VALU_DEP_1) | instskip(SKIP_1) | instid1(VALU_DEP_2)
	v_add_co_u32 v77, vcc_lo, s4, v61
	s_wait_alu 0xfffd
	v_add_co_ci_u32_e64 v78, null, s5, v62, vcc_lo
	global_load_b128 v[61:64], v[77:78], off
	s_wait_loadcnt 0xc
	v_fma_f64 v[34:35], v[85:86], v[89:90], v[34:35]
	v_fma_f64 v[69:70], v[89:90], 0, v[69:70]
	v_fma_f64 v[65:66], v[87:88], v[89:90], v[65:66]
	v_fma_f64 v[71:72], v[89:90], 0, v[71:72]
	v_fma_f64 v[67:68], v[81:82], v[89:90], v[67:68]
	v_fma_f64 v[73:74], v[89:90], 0, v[73:74]
	v_fma_f64 v[79:80], v[83:84], v[89:90], v[93:94]
	v_fma_f64 v[75:76], v[89:90], 0, v[75:76]
	v_fma_f64 v[34:35], 0x80000000, v[91:92], v[34:35]
	v_fma_f64 v[85:86], v[85:86], v[91:92], v[69:70]
	v_fma_f64 v[89:90], 0x80000000, v[91:92], v[65:66]
	v_fma_f64 v[87:88], v[87:88], v[91:92], v[71:72]
	v_fma_f64 v[93:94], 0x80000000, v[91:92], v[67:68]
	v_fma_f64 v[81:82], v[81:82], v[91:92], v[73:74]
	v_fma_f64 v[79:80], 0x80000000, v[91:92], v[79:80]
	v_fma_f64 v[83:84], v[83:84], v[91:92], v[75:76]
	s_clause 0x1
	global_load_b128 v[65:68], v[11:12], off offset:1056
	global_load_b128 v[69:72], v[11:12], off offset:1072
	global_load_b128 v[73:76], v[77:78], off offset:16
	s_wait_loadcnt 0xc
	v_fma_f64 v[34:35], v[13:14], v[22:23], v[34:35]
	v_fma_f64 v[85:86], v[22:23], 0, v[85:86]
	v_fma_f64 v[89:90], v[15:16], v[22:23], v[89:90]
	v_fma_f64 v[87:88], v[22:23], 0, v[87:88]
	v_fma_f64 v[91:92], v[17:18], v[22:23], v[93:94]
	v_fma_f64 v[81:82], v[22:23], 0, v[81:82]
	v_fma_f64 v[79:80], v[19:20], v[22:23], v[79:80]
	v_fma_f64 v[22:23], v[22:23], 0, v[83:84]
	v_fma_f64 v[34:35], 0x80000000, v[24:25], v[34:35]
	v_fma_f64 v[83:84], v[13:14], v[24:25], v[85:86]
	v_fma_f64 v[85:86], 0x80000000, v[24:25], v[89:90]
	v_fma_f64 v[87:88], v[15:16], v[24:25], v[87:88]
	v_fma_f64 v[89:90], 0x80000000, v[24:25], v[91:92]
	v_fma_f64 v[81:82], v[17:18], v[24:25], v[81:82]
	v_fma_f64 v[79:80], 0x80000000, v[24:25], v[79:80]
	v_fma_f64 v[91:92], v[19:20], v[24:25], v[22:23]
	s_clause 0x1
	global_load_b128 v[13:16], v[11:12], off offset:1104
	global_load_b128 v[17:20], v[11:12], off offset:1088
	global_load_b128 v[22:25], v[77:78], off offset:32
	;; [unrolled: 21-line block ×3, first 2 shown]
	s_wait_loadcnt 0xc
	v_fma_f64 v[34:35], v[41:42], v[49:50], v[34:35]
	v_fma_f64 v[93:94], v[49:50], 0, v[83:84]
	;; [unrolled: 1-line block ×8, first 2 shown]
	v_lshlrev_b32_e32 v91, 2, v10
	s_clause 0x1
	global_load_b128 v[77:80], v[11:12], off offset:1552
	global_load_b128 v[81:84], v[11:12], off offset:1536
	v_ashrrev_i32_e32 v92, 31, v91
	v_fma_f64 v[34:35], 0x80000000, v[51:52], v[34:35]
	v_fma_f64 v[93:94], v[41:42], v[51:52], v[93:94]
	;; [unrolled: 1-line block ×8, first 2 shown]
	v_lshlrev_b64_e32 v[41:42], 4, v[91:92]
	s_delay_alu instid0(VALU_DEP_1) | instskip(SKIP_1) | instid1(VALU_DEP_2)
	v_add_co_u32 v91, vcc_lo, s4, v41
	s_wait_alu 0xfffd
	v_add_co_ci_u32_e64 v92, null, s5, v42, vcc_lo
	v_cmp_ge_i32_e32 vcc_lo, v9, v36
	global_load_b128 v[41:44], v[91:92], off
	s_wait_alu 0xfffe
	s_or_b32 s7, vcc_lo, s7
	s_wait_loadcnt 0xc
	v_fma_f64 v[34:35], v[57:58], v[61:62], v[34:35]
	v_fma_f64 v[49:50], v[61:62], 0, v[93:94]
	v_fma_f64 v[51:52], v[59:60], v[61:62], v[85:86]
	v_fma_f64 v[85:86], v[61:62], 0, v[87:88]
	v_fma_f64 v[87:88], v[53:54], v[61:62], v[89:90]
	v_fma_f64 v[45:46], v[61:62], 0, v[45:46]
	v_fma_f64 v[89:90], v[55:56], v[61:62], v[95:96]
	v_fma_f64 v[47:48], v[61:62], 0, v[47:48]
	v_fma_f64 v[34:35], 0x80000000, v[63:64], v[34:35]
	v_fma_f64 v[57:58], v[57:58], v[63:64], v[49:50]
	v_fma_f64 v[61:62], 0x80000000, v[63:64], v[51:52]
	v_fma_f64 v[59:60], v[59:60], v[63:64], v[85:86]
	v_fma_f64 v[85:86], 0x80000000, v[63:64], v[87:88]
	v_fma_f64 v[87:88], v[53:54], v[63:64], v[45:46]
	v_fma_f64 v[89:90], 0x80000000, v[63:64], v[89:90]
	v_fma_f64 v[63:64], v[55:56], v[63:64], v[47:48]
	s_clause 0x1
	global_load_b128 v[45:48], v[11:12], off offset:1568
	global_load_b128 v[49:52], v[11:12], off offset:1584
	global_load_b128 v[53:56], v[91:92], off offset:16
	s_wait_loadcnt 0xc
	v_fma_f64 v[34:35], v[65:66], v[73:74], v[34:35]
	v_fma_f64 v[57:58], v[73:74], 0, v[57:58]
	v_fma_f64 v[61:62], v[67:68], v[73:74], v[61:62]
	v_fma_f64 v[59:60], v[73:74], 0, v[59:60]
	v_fma_f64 v[85:86], v[69:70], v[73:74], v[85:86]
	v_fma_f64 v[87:88], v[73:74], 0, v[87:88]
	v_fma_f64 v[89:90], v[71:72], v[73:74], v[89:90]
	v_fma_f64 v[63:64], v[73:74], 0, v[63:64]
	v_fma_f64 v[34:35], 0x80000000, v[75:76], v[34:35]
	v_fma_f64 v[73:74], v[65:66], v[75:76], v[57:58]
	v_fma_f64 v[93:94], 0x80000000, v[75:76], v[61:62]
	v_fma_f64 v[95:96], v[67:68], v[75:76], v[59:60]
	v_fma_f64 v[85:86], 0x80000000, v[75:76], v[85:86]
	v_fma_f64 v[69:70], v[69:70], v[75:76], v[87:88]
	v_fma_f64 v[87:88], 0x80000000, v[75:76], v[89:90]
	v_fma_f64 v[71:72], v[71:72], v[75:76], v[63:64]
	s_clause 0x1
	global_load_b128 v[57:60], v[11:12], off offset:1616
	global_load_b128 v[61:64], v[11:12], off offset:1600
	global_load_b128 v[65:68], v[91:92], off offset:32
	;; [unrolled: 21-line block ×3, first 2 shown]
	v_add_co_u32 v11, s2, 0x800, v11
	s_wait_alu 0xf1ff
	v_add_co_ci_u32_e64 v12, null, 0, v12, s2
	s_wait_loadcnt 0xc
	v_fma_f64 v[24:25], v[26:27], v[37:38], v[34:35]
	v_fma_f64 v[17:18], v[37:38], 0, v[17:18]
	v_fma_f64 v[34:35], v[28:29], v[37:38], v[93:94]
	v_fma_f64 v[19:20], v[37:38], 0, v[19:20]
	v_fma_f64 v[85:86], v[30:31], v[37:38], v[85:86]
	v_fma_f64 v[89:90], v[37:38], 0, v[89:90]
	v_fma_f64 v[87:88], v[32:33], v[37:38], v[87:88]
	v_fma_f64 v[22:23], v[37:38], 0, v[22:23]
	v_fma_f64 v[24:25], 0x80000000, v[39:40], v[24:25]
	v_fma_f64 v[17:18], v[26:27], v[39:40], v[17:18]
	v_fma_f64 v[26:27], 0x80000000, v[39:40], v[34:35]
	v_fma_f64 v[19:20], v[28:29], v[39:40], v[19:20]
	v_fma_f64 v[28:29], 0x80000000, v[39:40], v[85:86]
	v_fma_f64 v[30:31], v[30:31], v[39:40], v[89:90]
	v_fma_f64 v[34:35], 0x80000000, v[39:40], v[87:88]
	v_fma_f64 v[22:23], v[32:33], v[39:40], v[22:23]
	s_wait_loadcnt 0x9
	v_fma_f64 v[24:25], v[81:82], v[41:42], v[24:25]
	v_fma_f64 v[17:18], v[41:42], 0, v[17:18]
	v_fma_f64 v[26:27], v[83:84], v[41:42], v[26:27]
	v_fma_f64 v[19:20], v[41:42], 0, v[19:20]
	v_fma_f64 v[28:29], v[77:78], v[41:42], v[28:29]
	v_fma_f64 v[30:31], v[41:42], 0, v[30:31]
	v_fma_f64 v[32:33], v[79:80], v[41:42], v[34:35]
	v_fma_f64 v[22:23], v[41:42], 0, v[22:23]
	v_fma_f64 v[24:25], 0x80000000, v[43:44], v[24:25]
	v_fma_f64 v[17:18], v[81:82], v[43:44], v[17:18]
	v_fma_f64 v[26:27], 0x80000000, v[43:44], v[26:27]
	v_fma_f64 v[19:20], v[83:84], v[43:44], v[19:20]
	v_fma_f64 v[28:29], 0x80000000, v[43:44], v[28:29]
	v_fma_f64 v[30:31], v[77:78], v[43:44], v[30:31]
	v_fma_f64 v[32:33], 0x80000000, v[43:44], v[32:33]
	v_fma_f64 v[22:23], v[79:80], v[43:44], v[22:23]
	;; [unrolled: 17-line block ×5, first 2 shown]
	s_wait_alu 0xfffe
	s_and_not1_b32 exec_lo, exec_lo, s7
	s_cbranch_execnz .LBB135_31
; %bb.32:
	s_or_b32 exec_lo, exec_lo, s7
.LBB135_33:
	s_wait_alu 0xfffe
	s_or_b32 exec_lo, exec_lo, s6
.LBB135_34:
	s_wait_alu 0xfffe
	s_or_b32 exec_lo, exec_lo, s3
.LBB135_35:
	v_mbcnt_lo_u32_b32 v44, -1, 0
	s_delay_alu instid0(VALU_DEP_1) | instskip(NEXT) | instid1(VALU_DEP_1)
	v_xor_b32_e32 v9, 2, v44
	v_cmp_gt_i32_e32 vcc_lo, 32, v9
	s_wait_alu 0xfffd
	v_cndmask_b32_e32 v9, v44, v9, vcc_lo
	s_delay_alu instid0(VALU_DEP_1)
	v_lshlrev_b32_e32 v30, 2, v9
	ds_bpermute_b32 v9, v30, v24
	ds_bpermute_b32 v10, v30, v25
	;; [unrolled: 1-line block ×16, first 2 shown]
	s_wait_dscnt 0xe
	v_add_f64_e32 v[9:10], v[24:25], v[9:10]
	s_wait_dscnt 0xc
	v_add_f64_e32 v[30:31], v[17:18], v[11:12]
	;; [unrolled: 2-line block ×5, first 2 shown]
	v_xor_b32_e32 v22, 1, v44
	s_wait_dscnt 0x4
	v_add_f64_e32 v[19:20], v[19:20], v[38:39]
	s_wait_dscnt 0x2
	v_add_f64_e32 v[13:14], v[13:14], v[40:41]
	;; [unrolled: 2-line block ×3, first 2 shown]
	v_cmp_gt_i32_e32 vcc_lo, 32, v22
	s_wait_alu 0xfffd
	v_cndmask_b32_e32 v22, v44, v22, vcc_lo
	v_cmp_eq_u32_e32 vcc_lo, 3, v0
	s_delay_alu instid0(VALU_DEP_2)
	v_lshlrev_b32_e32 v35, 2, v22
	ds_bpermute_b32 v22, v35, v9
	ds_bpermute_b32 v23, v35, v10
	;; [unrolled: 1-line block ×16, first 2 shown]
	s_and_b32 exec_lo, exec_lo, vcc_lo
	s_cbranch_execz .LBB135_8
; %bb.36:
	s_wait_dscnt 0xc
	v_add_f64_e32 v[30:31], v[30:31], v[40:41]
	s_wait_dscnt 0x8
	v_add_f64_e32 v[24:25], v[24:25], v[38:39]
	;; [unrolled: 2-line block ×4, first 2 shown]
	v_add_f64_e32 v[9:10], v[9:10], v[22:23]
	v_add_f64_e32 v[11:12], v[11:12], v[26:27]
	;; [unrolled: 1-line block ×4, first 2 shown]
	v_cmp_eq_f64_e32 vcc_lo, 0, v[1:2]
	v_cmp_eq_f64_e64 s2, 0, v[3:4]
	s_load_b64 s[0:1], s[0:1], 0x60
	v_lshlrev_b32_e32 v21, 2, v21
	v_mul_f64_e64 v[13:14], v[30:31], -v[7:8]
	v_mul_f64_e32 v[28:29], v[5:6], v[30:31]
	v_mul_f64_e64 v[30:31], v[24:25], -v[7:8]
	v_mul_f64_e32 v[24:25], v[5:6], v[24:25]
	;; [unrolled: 2-line block ×4, first 2 shown]
	s_and_b32 s2, vcc_lo, s2
	v_fma_f64 v[17:18], v[5:6], v[9:10], v[13:14]
	v_fma_f64 v[19:20], v[7:8], v[9:10], v[28:29]
	;; [unrolled: 1-line block ×8, first 2 shown]
	s_wait_alu 0xfffe
	s_and_saveexec_b32 s3, s2
	s_wait_alu 0xfffe
	s_xor_b32 s2, exec_lo, s3
	s_cbranch_execz .LBB135_38
; %bb.37:
	v_ashrrev_i32_e32 v22, 31, v21
	s_delay_alu instid0(VALU_DEP_1) | instskip(SKIP_1) | instid1(VALU_DEP_1)
	v_lshlrev_b64_e32 v[0:1], 4, v[21:22]
                                        ; implicit-def: $vgpr21
	s_wait_kmcnt 0x0
	v_add_co_u32 v0, vcc_lo, s0, v0
	s_wait_alu 0xfffd
	s_delay_alu instid0(VALU_DEP_2)
	v_add_co_ci_u32_e64 v1, null, s1, v1, vcc_lo
	s_clause 0x3
	global_store_b128 v[0:1], v[17:20], off
	global_store_b128 v[0:1], v[13:16], off offset:16
	global_store_b128 v[0:1], v[9:12], off offset:32
	;; [unrolled: 1-line block ×3, first 2 shown]
                                        ; implicit-def: $vgpr3_vgpr4
                                        ; implicit-def: $vgpr17_vgpr18
                                        ; implicit-def: $vgpr13_vgpr14
                                        ; implicit-def: $vgpr9_vgpr10
                                        ; implicit-def: $vgpr5_vgpr6
.LBB135_38:
	s_wait_alu 0xfffe
	s_and_not1_saveexec_b32 s2, s2
	s_cbranch_execz .LBB135_8
; %bb.39:
	v_ashrrev_i32_e32 v22, 31, v21
	s_delay_alu instid0(VALU_DEP_1) | instskip(SKIP_1) | instid1(VALU_DEP_1)
	v_lshlrev_b64_e32 v[21:22], 4, v[21:22]
	s_wait_kmcnt 0x0
	v_add_co_u32 v37, vcc_lo, s0, v21
	s_wait_alu 0xfffd
	s_delay_alu instid0(VALU_DEP_2)
	v_add_co_ci_u32_e64 v38, null, s1, v22, vcc_lo
	s_clause 0x3
	global_load_b128 v[21:24], v[37:38], off
	global_load_b128 v[25:28], v[37:38], off offset:16
	global_load_b128 v[29:32], v[37:38], off offset:32
	;; [unrolled: 1-line block ×3, first 2 shown]
	s_wait_loadcnt 0x3
	v_fma_f64 v[17:18], v[1:2], v[21:22], v[17:18]
	v_fma_f64 v[19:20], v[3:4], v[21:22], v[19:20]
	s_wait_loadcnt 0x2
	v_fma_f64 v[13:14], v[1:2], v[25:26], v[13:14]
	v_fma_f64 v[15:16], v[3:4], v[25:26], v[15:16]
	s_wait_loadcnt 0x1
	v_fma_f64 v[21:22], v[1:2], v[29:30], v[9:10]
	v_fma_f64 v[25:26], v[3:4], v[29:30], v[11:12]
	s_wait_loadcnt 0x0
	v_fma_f64 v[29:30], v[1:2], v[33:34], v[5:6]
	v_fma_f64 v[33:34], v[3:4], v[33:34], v[7:8]
	v_fma_f64 v[5:6], -v[3:4], v[23:24], v[17:18]
	v_fma_f64 v[7:8], v[1:2], v[23:24], v[19:20]
	v_fma_f64 v[9:10], -v[3:4], v[27:28], v[13:14]
	v_fma_f64 v[11:12], v[1:2], v[27:28], v[15:16]
	;; [unrolled: 2-line block ×4, first 2 shown]
	s_clause 0x3
	global_store_b128 v[37:38], v[5:8], off
	global_store_b128 v[37:38], v[9:12], off offset:16
	global_store_b128 v[37:38], v[13:16], off offset:32
	;; [unrolled: 1-line block ×3, first 2 shown]
	s_nop 0
	s_sendmsg sendmsg(MSG_DEALLOC_VGPRS)
	s_endpgm
	.section	.rodata,"a",@progbits
	.p2align	6, 0x0
	.amdhsa_kernel _ZN9rocsparseL18bsrxmvn_4x4_kernelILj128ELj4E21rocsparse_complex_numIdEiidS2_S2_EEvT3_20rocsparse_direction_NS_24const_host_device_scalarIT1_EES3_PKS3_PKT2_SC_S9_PKT4_PKT5_S7_PT6_21rocsparse_index_base_b
		.amdhsa_group_segment_fixed_size 0
		.amdhsa_private_segment_fixed_size 0
		.amdhsa_kernarg_size 112
		.amdhsa_user_sgpr_count 2
		.amdhsa_user_sgpr_dispatch_ptr 0
		.amdhsa_user_sgpr_queue_ptr 0
		.amdhsa_user_sgpr_kernarg_segment_ptr 1
		.amdhsa_user_sgpr_dispatch_id 0
		.amdhsa_user_sgpr_private_segment_size 0
		.amdhsa_wavefront_size32 1
		.amdhsa_uses_dynamic_stack 0
		.amdhsa_enable_private_segment 0
		.amdhsa_system_sgpr_workgroup_id_x 1
		.amdhsa_system_sgpr_workgroup_id_y 0
		.amdhsa_system_sgpr_workgroup_id_z 0
		.amdhsa_system_sgpr_workgroup_info 0
		.amdhsa_system_vgpr_workitem_id 0
		.amdhsa_next_free_vgpr 114
		.amdhsa_next_free_sgpr 14
		.amdhsa_reserve_vcc 1
		.amdhsa_float_round_mode_32 0
		.amdhsa_float_round_mode_16_64 0
		.amdhsa_float_denorm_mode_32 3
		.amdhsa_float_denorm_mode_16_64 3
		.amdhsa_fp16_overflow 0
		.amdhsa_workgroup_processor_mode 1
		.amdhsa_memory_ordered 1
		.amdhsa_forward_progress 1
		.amdhsa_inst_pref_size 85
		.amdhsa_round_robin_scheduling 0
		.amdhsa_exception_fp_ieee_invalid_op 0
		.amdhsa_exception_fp_denorm_src 0
		.amdhsa_exception_fp_ieee_div_zero 0
		.amdhsa_exception_fp_ieee_overflow 0
		.amdhsa_exception_fp_ieee_underflow 0
		.amdhsa_exception_fp_ieee_inexact 0
		.amdhsa_exception_int_div_zero 0
	.end_amdhsa_kernel
	.section	.text._ZN9rocsparseL18bsrxmvn_4x4_kernelILj128ELj4E21rocsparse_complex_numIdEiidS2_S2_EEvT3_20rocsparse_direction_NS_24const_host_device_scalarIT1_EES3_PKS3_PKT2_SC_S9_PKT4_PKT5_S7_PT6_21rocsparse_index_base_b,"axG",@progbits,_ZN9rocsparseL18bsrxmvn_4x4_kernelILj128ELj4E21rocsparse_complex_numIdEiidS2_S2_EEvT3_20rocsparse_direction_NS_24const_host_device_scalarIT1_EES3_PKS3_PKT2_SC_S9_PKT4_PKT5_S7_PT6_21rocsparse_index_base_b,comdat
.Lfunc_end135:
	.size	_ZN9rocsparseL18bsrxmvn_4x4_kernelILj128ELj4E21rocsparse_complex_numIdEiidS2_S2_EEvT3_20rocsparse_direction_NS_24const_host_device_scalarIT1_EES3_PKS3_PKT2_SC_S9_PKT4_PKT5_S7_PT6_21rocsparse_index_base_b, .Lfunc_end135-_ZN9rocsparseL18bsrxmvn_4x4_kernelILj128ELj4E21rocsparse_complex_numIdEiidS2_S2_EEvT3_20rocsparse_direction_NS_24const_host_device_scalarIT1_EES3_PKS3_PKT2_SC_S9_PKT4_PKT5_S7_PT6_21rocsparse_index_base_b
                                        ; -- End function
	.set _ZN9rocsparseL18bsrxmvn_4x4_kernelILj128ELj4E21rocsparse_complex_numIdEiidS2_S2_EEvT3_20rocsparse_direction_NS_24const_host_device_scalarIT1_EES3_PKS3_PKT2_SC_S9_PKT4_PKT5_S7_PT6_21rocsparse_index_base_b.num_vgpr, 114
	.set _ZN9rocsparseL18bsrxmvn_4x4_kernelILj128ELj4E21rocsparse_complex_numIdEiidS2_S2_EEvT3_20rocsparse_direction_NS_24const_host_device_scalarIT1_EES3_PKS3_PKT2_SC_S9_PKT4_PKT5_S7_PT6_21rocsparse_index_base_b.num_agpr, 0
	.set _ZN9rocsparseL18bsrxmvn_4x4_kernelILj128ELj4E21rocsparse_complex_numIdEiidS2_S2_EEvT3_20rocsparse_direction_NS_24const_host_device_scalarIT1_EES3_PKS3_PKT2_SC_S9_PKT4_PKT5_S7_PT6_21rocsparse_index_base_b.numbered_sgpr, 14
	.set _ZN9rocsparseL18bsrxmvn_4x4_kernelILj128ELj4E21rocsparse_complex_numIdEiidS2_S2_EEvT3_20rocsparse_direction_NS_24const_host_device_scalarIT1_EES3_PKS3_PKT2_SC_S9_PKT4_PKT5_S7_PT6_21rocsparse_index_base_b.num_named_barrier, 0
	.set _ZN9rocsparseL18bsrxmvn_4x4_kernelILj128ELj4E21rocsparse_complex_numIdEiidS2_S2_EEvT3_20rocsparse_direction_NS_24const_host_device_scalarIT1_EES3_PKS3_PKT2_SC_S9_PKT4_PKT5_S7_PT6_21rocsparse_index_base_b.private_seg_size, 0
	.set _ZN9rocsparseL18bsrxmvn_4x4_kernelILj128ELj4E21rocsparse_complex_numIdEiidS2_S2_EEvT3_20rocsparse_direction_NS_24const_host_device_scalarIT1_EES3_PKS3_PKT2_SC_S9_PKT4_PKT5_S7_PT6_21rocsparse_index_base_b.uses_vcc, 1
	.set _ZN9rocsparseL18bsrxmvn_4x4_kernelILj128ELj4E21rocsparse_complex_numIdEiidS2_S2_EEvT3_20rocsparse_direction_NS_24const_host_device_scalarIT1_EES3_PKS3_PKT2_SC_S9_PKT4_PKT5_S7_PT6_21rocsparse_index_base_b.uses_flat_scratch, 0
	.set _ZN9rocsparseL18bsrxmvn_4x4_kernelILj128ELj4E21rocsparse_complex_numIdEiidS2_S2_EEvT3_20rocsparse_direction_NS_24const_host_device_scalarIT1_EES3_PKS3_PKT2_SC_S9_PKT4_PKT5_S7_PT6_21rocsparse_index_base_b.has_dyn_sized_stack, 0
	.set _ZN9rocsparseL18bsrxmvn_4x4_kernelILj128ELj4E21rocsparse_complex_numIdEiidS2_S2_EEvT3_20rocsparse_direction_NS_24const_host_device_scalarIT1_EES3_PKS3_PKT2_SC_S9_PKT4_PKT5_S7_PT6_21rocsparse_index_base_b.has_recursion, 0
	.set _ZN9rocsparseL18bsrxmvn_4x4_kernelILj128ELj4E21rocsparse_complex_numIdEiidS2_S2_EEvT3_20rocsparse_direction_NS_24const_host_device_scalarIT1_EES3_PKS3_PKT2_SC_S9_PKT4_PKT5_S7_PT6_21rocsparse_index_base_b.has_indirect_call, 0
	.section	.AMDGPU.csdata,"",@progbits
; Kernel info:
; codeLenInByte = 10840
; TotalNumSgprs: 16
; NumVgprs: 114
; ScratchSize: 0
; MemoryBound: 0
; FloatMode: 240
; IeeeMode: 1
; LDSByteSize: 0 bytes/workgroup (compile time only)
; SGPRBlocks: 0
; VGPRBlocks: 14
; NumSGPRsForWavesPerEU: 16
; NumVGPRsForWavesPerEU: 114
; Occupancy: 12
; WaveLimiterHint : 1
; COMPUTE_PGM_RSRC2:SCRATCH_EN: 0
; COMPUTE_PGM_RSRC2:USER_SGPR: 2
; COMPUTE_PGM_RSRC2:TRAP_HANDLER: 0
; COMPUTE_PGM_RSRC2:TGID_X_EN: 1
; COMPUTE_PGM_RSRC2:TGID_Y_EN: 0
; COMPUTE_PGM_RSRC2:TGID_Z_EN: 0
; COMPUTE_PGM_RSRC2:TIDIG_COMP_CNT: 0
	.section	.text._ZN9rocsparseL18bsrxmvn_4x4_kernelILj128ELj8E21rocsparse_complex_numIdEiidS2_S2_EEvT3_20rocsparse_direction_NS_24const_host_device_scalarIT1_EES3_PKS3_PKT2_SC_S9_PKT4_PKT5_S7_PT6_21rocsparse_index_base_b,"axG",@progbits,_ZN9rocsparseL18bsrxmvn_4x4_kernelILj128ELj8E21rocsparse_complex_numIdEiidS2_S2_EEvT3_20rocsparse_direction_NS_24const_host_device_scalarIT1_EES3_PKS3_PKT2_SC_S9_PKT4_PKT5_S7_PT6_21rocsparse_index_base_b,comdat
	.globl	_ZN9rocsparseL18bsrxmvn_4x4_kernelILj128ELj8E21rocsparse_complex_numIdEiidS2_S2_EEvT3_20rocsparse_direction_NS_24const_host_device_scalarIT1_EES3_PKS3_PKT2_SC_S9_PKT4_PKT5_S7_PT6_21rocsparse_index_base_b ; -- Begin function _ZN9rocsparseL18bsrxmvn_4x4_kernelILj128ELj8E21rocsparse_complex_numIdEiidS2_S2_EEvT3_20rocsparse_direction_NS_24const_host_device_scalarIT1_EES3_PKS3_PKT2_SC_S9_PKT4_PKT5_S7_PT6_21rocsparse_index_base_b
	.p2align	8
	.type	_ZN9rocsparseL18bsrxmvn_4x4_kernelILj128ELj8E21rocsparse_complex_numIdEiidS2_S2_EEvT3_20rocsparse_direction_NS_24const_host_device_scalarIT1_EES3_PKS3_PKT2_SC_S9_PKT4_PKT5_S7_PT6_21rocsparse_index_base_b,@function
_ZN9rocsparseL18bsrxmvn_4x4_kernelILj128ELj8E21rocsparse_complex_numIdEiidS2_S2_EEvT3_20rocsparse_direction_NS_24const_host_device_scalarIT1_EES3_PKS3_PKT2_SC_S9_PKT4_PKT5_S7_PT6_21rocsparse_index_base_b: ; @_ZN9rocsparseL18bsrxmvn_4x4_kernelILj128ELj8E21rocsparse_complex_numIdEiidS2_S2_EEvT3_20rocsparse_direction_NS_24const_host_device_scalarIT1_EES3_PKS3_PKT2_SC_S9_PKT4_PKT5_S7_PT6_21rocsparse_index_base_b
; %bb.0:
	s_clause 0x1
	s_load_b64 s[12:13], s[0:1], 0x68
	s_load_b64 s[2:3], s[0:1], 0x8
	s_add_nc_u64 s[4:5], s[0:1], 8
	s_load_b64 s[6:7], s[0:1], 0x50
	s_wait_kmcnt 0x0
	s_bitcmp1_b32 s13, 0
	s_cselect_b32 s2, s4, s2
	s_cselect_b32 s3, s5, s3
	s_delay_alu instid0(SALU_CYCLE_1)
	v_dual_mov_b32 v1, s2 :: v_dual_mov_b32 v2, s3
	s_add_nc_u64 s[2:3], s[0:1], 0x50
	s_wait_alu 0xfffe
	s_cselect_b32 s2, s2, s6
	s_cselect_b32 s3, s3, s7
	flat_load_b128 v[5:8], v[1:2]
	s_wait_alu 0xfffe
	v_dual_mov_b32 v1, s2 :: v_dual_mov_b32 v2, s3
	flat_load_b128 v[1:4], v[1:2]
	s_wait_loadcnt_dscnt 0x101
	v_cmp_eq_f64_e32 vcc_lo, 0, v[5:6]
	v_cmp_eq_f64_e64 s2, 0, v[7:8]
	s_and_b32 s4, vcc_lo, s2
	s_mov_b32 s2, -1
	s_and_saveexec_b32 s3, s4
	s_cbranch_execz .LBB136_2
; %bb.1:
	s_wait_loadcnt_dscnt 0x0
	v_cmp_neq_f64_e32 vcc_lo, 1.0, v[1:2]
	v_cmp_neq_f64_e64 s2, 0, v[3:4]
	s_wait_alu 0xfffe
	s_or_b32 s2, vcc_lo, s2
	s_wait_alu 0xfffe
	s_or_not1_b32 s2, s2, exec_lo
.LBB136_2:
	s_wait_alu 0xfffe
	s_or_b32 exec_lo, exec_lo, s3
	s_and_saveexec_b32 s3, s2
	s_cbranch_execz .LBB136_8
; %bb.3:
	s_clause 0x1
	s_load_b64 s[4:5], s[0:1], 0x20
	s_load_b64 s[2:3], s[0:1], 0x0
	v_lshrrev_b32_e32 v9, 3, v0
	s_delay_alu instid0(VALU_DEP_1)
	v_lshl_or_b32 v21, ttmp9, 4, v9
	s_wait_kmcnt 0x0
	s_cmp_lg_u64 s[4:5], 0
	s_cbranch_scc0 .LBB136_9
; %bb.4:
	s_load_b32 s6, s[0:1], 0x18
	s_mov_b32 s7, 0
                                        ; implicit-def: $vgpr9
	s_wait_kmcnt 0x0
	v_cmp_gt_i32_e32 vcc_lo, s6, v21
	s_mov_b32 s6, 0
	s_and_saveexec_b32 s8, vcc_lo
	s_delay_alu instid0(SALU_CYCLE_1)
	s_xor_b32 s8, exec_lo, s8
	s_cbranch_execz .LBB136_6
; %bb.5:
	v_ashrrev_i32_e32 v22, 31, v21
	s_mov_b32 s6, exec_lo
	s_delay_alu instid0(VALU_DEP_1) | instskip(NEXT) | instid1(VALU_DEP_1)
	v_lshlrev_b64_e32 v[9:10], 2, v[21:22]
	v_add_co_u32 v9, vcc_lo, s4, v9
	s_delay_alu instid0(VALU_DEP_1)
	v_add_co_ci_u32_e64 v10, null, s5, v10, vcc_lo
	global_load_b32 v9, v[9:10], off
	s_wait_loadcnt 0x0
	v_subrev_nc_u32_e32 v9, s12, v9
.LBB136_6:
	s_or_b32 exec_lo, exec_lo, s8
	s_delay_alu instid0(SALU_CYCLE_1)
	s_and_b32 vcc_lo, exec_lo, s7
	s_wait_alu 0xfffe
	s_cbranch_vccz .LBB136_10
.LBB136_7:
	v_cmp_gt_i32_e32 vcc_lo, s2, v21
	s_and_not1_b32 s2, s6, exec_lo
	s_and_b32 s4, vcc_lo, exec_lo
	s_wait_alu 0xfffe
	s_or_b32 s6, s2, s4
	s_wait_alu 0xfffe
	s_and_b32 exec_lo, exec_lo, s6
	s_cbranch_execnz .LBB136_11
.LBB136_8:
	s_nop 0
	s_sendmsg sendmsg(MSG_DEALLOC_VGPRS)
	s_endpgm
.LBB136_9:
	s_mov_b32 s6, 0
                                        ; implicit-def: $vgpr9
	s_cbranch_execnz .LBB136_7
.LBB136_10:
	v_mov_b32_e32 v21, v9
	s_and_b32 exec_lo, exec_lo, s6
	s_cbranch_execz .LBB136_8
.LBB136_11:
	s_load_b256 s[4:11], s[0:1], 0x28
	s_delay_alu instid0(VALU_DEP_1) | instskip(SKIP_1) | instid1(VALU_DEP_2)
	v_ashrrev_i32_e32 v22, 31, v21
	v_and_b32_e32 v0, 7, v0
	v_lshlrev_b64_e32 v[9:10], 2, v[21:22]
	s_wait_kmcnt 0x0
	s_delay_alu instid0(VALU_DEP_1) | instskip(SKIP_1) | instid1(VALU_DEP_2)
	v_add_co_u32 v11, vcc_lo, s4, v9
	s_wait_alu 0xfffd
	v_add_co_ci_u32_e64 v12, null, s5, v10, vcc_lo
	v_add_co_u32 v9, vcc_lo, s6, v9
	s_wait_alu 0xfffd
	v_add_co_ci_u32_e64 v10, null, s7, v10, vcc_lo
	global_load_b32 v37, v[11:12], off
	v_add_co_u32 v11, vcc_lo, v11, 4
	s_wait_alu 0xfffd
	v_add_co_ci_u32_e64 v12, null, 0, v12, vcc_lo
	s_cmp_eq_u64 s[6:7], 0
	s_load_b64 s[4:5], s[0:1], 0x48
	s_cselect_b32 vcc_lo, -1, 0
	s_cmp_eq_u32 s3, 1
	s_wait_alu 0xfffe
	v_dual_cndmask_b32 v10, v10, v12 :: v_dual_cndmask_b32 v9, v9, v11
	global_load_b32 v13, v[9:10], off
	s_wait_loadcnt 0x1
	v_subrev_nc_u32_e32 v9, s12, v37
	s_delay_alu instid0(VALU_DEP_1) | instskip(NEXT) | instid1(VALU_DEP_1)
	v_add_nc_u32_e32 v9, v9, v0
	v_ashrrev_i32_e32 v10, 31, v9
	s_wait_loadcnt 0x0
	v_subrev_nc_u32_e32 v36, s12, v13
	s_delay_alu instid0(VALU_DEP_2) | instskip(NEXT) | instid1(VALU_DEP_2)
	v_lshlrev_b64_e32 v[11:12], 7, v[9:10]
	v_cmp_lt_i32_e64 s2, v9, v36
	s_delay_alu instid0(VALU_DEP_2) | instskip(SKIP_1) | instid1(VALU_DEP_3)
	v_add_co_u32 v11, vcc_lo, s10, v11
	s_wait_alu 0xfffd
	v_add_co_ci_u32_e64 v12, null, s11, v12, vcc_lo
	s_cbranch_scc1 .LBB136_23
; %bb.12:
	v_dual_mov_b32 v26, 0 :: v_dual_mov_b32 v15, 0
	v_dual_mov_b32 v17, 0 :: v_dual_mov_b32 v24, 0
	;; [unrolled: 1-line block ×8, first 2 shown]
	s_and_saveexec_b32 s6, s2
	s_cbranch_execz .LBB136_22
; %bb.13:
	v_add_nc_u32_e32 v10, v37, v0
	v_not_b32_e32 v13, v37
	v_mov_b32_e32 v22, 0
	v_mov_b32_e32 v28, 0
	v_dual_mov_b32 v26, 0 :: v_dual_mov_b32 v33, v12
	v_subrev_nc_u32_e32 v10, s12, v10
	v_dual_mov_b32 v24, 0 :: v_dual_mov_b32 v29, 0
	v_mov_b32_e32 v25, 0
	s_delay_alu instid0(VALU_DEP_3) | instskip(SKIP_2) | instid1(VALU_DEP_3)
	v_dual_mov_b32 v15, 0 :: v_dual_add_nc_u32 v10, 8, v10
	v_dual_mov_b32 v16, 0 :: v_dual_mov_b32 v19, 0
	v_dual_mov_b32 v20, 0 :: v_dual_mov_b32 v27, 0
	v_max_i32_e32 v10, v10, v36
	v_dual_mov_b32 v32, v11 :: v_dual_mov_b32 v23, 0
	v_mov_b32_e32 v17, 0
	v_mov_b32_e32 v18, 0
	s_delay_alu instid0(VALU_DEP_4) | instskip(SKIP_2) | instid1(VALU_DEP_3)
	v_add3_u32 v10, s12, v10, v13
	v_mov_b32_e32 v13, 0
	v_mov_b32_e32 v14, 0
	v_sub_nc_u32_e32 v10, v10, v0
	s_delay_alu instid0(VALU_DEP_1) | instskip(NEXT) | instid1(VALU_DEP_1)
	v_and_b32_e32 v30, 24, v10
	v_cmp_ne_u32_e32 vcc_lo, 24, v30
	v_mov_b32_e32 v30, v9
	s_and_saveexec_b32 s3, vcc_lo
	s_cbranch_execz .LBB136_17
; %bb.14:
	v_lshrrev_b32_e32 v13, 3, v10
	v_dual_mov_b32 v17, 0 :: v_dual_mov_b32 v30, v9
	v_mov_b32_e32 v18, 0
	s_delay_alu instid0(VALU_DEP_3) | instskip(SKIP_2) | instid1(VALU_DEP_3)
	v_dual_mov_b32 v24, 0 :: v_dual_add_nc_u32 v13, 1, v13
	v_dual_mov_b32 v28, 0 :: v_dual_mov_b32 v25, 0
	v_dual_mov_b32 v26, 0 :: v_dual_mov_b32 v19, 0
	v_dual_mov_b32 v22, 0 :: v_dual_and_b32 v31, 3, v13
	v_mov_b32_e32 v15, 0
	v_mov_b32_e32 v13, 0
	;; [unrolled: 1-line block ×4, first 2 shown]
	v_dual_mov_b32 v29, 0 :: v_dual_mov_b32 v20, 0
	v_dual_mov_b32 v23, 0 :: v_dual_mov_b32 v16, 0
	v_mov_b32_e32 v14, 0
	v_sub_nc_u32_e32 v34, 0, v31
	v_mov_b32_e32 v32, v11
	s_mov_b32 s7, 0
.LBB136_15:                             ; =>This Inner Loop Header: Depth=1
	v_ashrrev_i32_e32 v31, 31, v30
	s_delay_alu instid0(VALU_DEP_3) | instskip(SKIP_2) | instid1(VALU_DEP_2)
	v_add_co_u32 v34, s10, v34, 1
	s_wait_alu 0xfffe
	s_or_b32 s7, s10, s7
	v_lshlrev_b64_e32 v[38:39], 2, v[30:31]
	v_add_nc_u32_e32 v30, 8, v30
	s_delay_alu instid0(VALU_DEP_2) | instskip(SKIP_1) | instid1(VALU_DEP_3)
	v_add_co_u32 v38, vcc_lo, s8, v38
	s_wait_alu 0xfffd
	v_add_co_ci_u32_e64 v39, null, s9, v39, vcc_lo
	global_load_b32 v31, v[38:39], off
	s_clause 0x7
	global_load_b128 v[38:41], v[32:33], off offset:48
	global_load_b128 v[42:45], v[32:33], off offset:32
	;; [unrolled: 1-line block ×3, first 2 shown]
	global_load_b128 v[50:53], v[32:33], off
	global_load_b128 v[54:57], v[32:33], off offset:112
	global_load_b128 v[58:61], v[32:33], off offset:96
	;; [unrolled: 1-line block ×4, first 2 shown]
	s_wait_loadcnt 0x8
	v_subrev_nc_u32_e32 v31, s12, v31
	s_delay_alu instid0(VALU_DEP_1) | instskip(NEXT) | instid1(VALU_DEP_1)
	v_lshlrev_b32_e32 v70, 2, v31
	v_ashrrev_i32_e32 v71, 31, v70
	s_delay_alu instid0(VALU_DEP_1) | instskip(SKIP_1) | instid1(VALU_DEP_1)
	v_lshlrev_b64_e32 v[70:71], 4, v[70:71]
	s_wait_kmcnt 0x0
	v_add_co_u32 v82, vcc_lo, s4, v70
	s_wait_alu 0xfffd
	s_delay_alu instid0(VALU_DEP_2)
	v_add_co_ci_u32_e64 v83, null, s5, v71, vcc_lo
	v_add_co_u32 v32, vcc_lo, 0x400, v32
	s_wait_alu 0xfffd
	v_add_co_ci_u32_e64 v33, null, 0, v33, vcc_lo
	s_clause 0x3
	global_load_b128 v[70:73], v[82:83], off
	global_load_b128 v[74:77], v[82:83], off offset:16
	global_load_b128 v[78:81], v[82:83], off offset:32
	;; [unrolled: 1-line block ×3, first 2 shown]
	s_wait_loadcnt 0x3
	v_fma_f64 v[24:25], v[50:51], v[70:71], v[24:25]
	v_fma_f64 v[17:18], v[70:71], 0, v[17:18]
	v_fma_f64 v[28:29], v[42:43], v[70:71], v[28:29]
	v_fma_f64 v[26:27], v[70:71], 0, v[26:27]
	v_fma_f64 v[22:23], v[66:67], v[70:71], v[22:23]
	v_fma_f64 v[19:20], v[70:71], 0, v[19:20]
	v_fma_f64 v[13:14], v[58:59], v[70:71], v[13:14]
	v_fma_f64 v[15:16], v[70:71], 0, v[15:16]
	v_fma_f64 v[24:25], 0x80000000, v[72:73], v[24:25]
	v_fma_f64 v[17:18], v[50:51], v[72:73], v[17:18]
	v_fma_f64 v[28:29], 0x80000000, v[72:73], v[28:29]
	v_fma_f64 v[26:27], v[42:43], v[72:73], v[26:27]
	v_fma_f64 v[22:23], 0x80000000, v[72:73], v[22:23]
	v_fma_f64 v[19:20], v[66:67], v[72:73], v[19:20]
	v_fma_f64 v[13:14], 0x80000000, v[72:73], v[13:14]
	v_fma_f64 v[15:16], v[58:59], v[72:73], v[15:16]
	s_wait_loadcnt 0x2
	v_fma_f64 v[24:25], v[52:53], v[74:75], v[24:25]
	v_fma_f64 v[17:18], v[74:75], 0, v[17:18]
	v_fma_f64 v[28:29], v[44:45], v[74:75], v[28:29]
	v_fma_f64 v[26:27], v[74:75], 0, v[26:27]
	v_fma_f64 v[22:23], v[68:69], v[74:75], v[22:23]
	v_fma_f64 v[19:20], v[74:75], 0, v[19:20]
	v_fma_f64 v[13:14], v[60:61], v[74:75], v[13:14]
	v_fma_f64 v[15:16], v[74:75], 0, v[15:16]
	v_fma_f64 v[24:25], 0x80000000, v[76:77], v[24:25]
	v_fma_f64 v[17:18], v[52:53], v[76:77], v[17:18]
	v_fma_f64 v[28:29], 0x80000000, v[76:77], v[28:29]
	v_fma_f64 v[26:27], v[44:45], v[76:77], v[26:27]
	v_fma_f64 v[22:23], 0x80000000, v[76:77], v[22:23]
	v_fma_f64 v[19:20], v[68:69], v[76:77], v[19:20]
	v_fma_f64 v[13:14], 0x80000000, v[76:77], v[13:14]
	v_fma_f64 v[15:16], v[60:61], v[76:77], v[15:16]
	;; [unrolled: 17-line block ×4, first 2 shown]
	s_wait_alu 0xfffe
	s_and_not1_b32 exec_lo, exec_lo, s7
	s_cbranch_execnz .LBB136_15
; %bb.16:
	s_or_b32 exec_lo, exec_lo, s7
.LBB136_17:
	s_wait_alu 0xfffe
	s_or_b32 exec_lo, exec_lo, s3
	s_delay_alu instid0(SALU_CYCLE_1)
	s_mov_b32 s7, exec_lo
	v_cmpx_lt_u32_e32 23, v10
	s_cbranch_execz .LBB136_21
; %bb.18:
	s_mov_b32 s10, 0
.LBB136_19:                             ; =>This Inner Loop Header: Depth=1
	v_ashrrev_i32_e32 v31, 31, v30
	s_delay_alu instid0(VALU_DEP_1) | instskip(SKIP_1) | instid1(VALU_DEP_2)
	v_lshlrev_b64_e32 v[34:35], 2, v[30:31]
	v_add_nc_u32_e32 v30, 32, v30
	v_add_co_u32 v34, vcc_lo, s8, v34
	s_wait_alu 0xfffd
	s_delay_alu instid0(VALU_DEP_3)
	v_add_co_ci_u32_e64 v35, null, s9, v35, vcc_lo
	global_load_b32 v10, v[34:35], off
	s_clause 0x3
	global_load_b128 v[38:41], v[32:33], off offset:32
	global_load_b128 v[42:45], v[32:33], off
	global_load_b128 v[46:49], v[32:33], off offset:96
	global_load_b128 v[50:53], v[32:33], off offset:64
	s_clause 0x2
	global_load_b32 v31, v[34:35], off offset:32
	global_load_b32 v112, v[34:35], off offset:64
	;; [unrolled: 1-line block ×3, first 2 shown]
	s_wait_loadcnt 0x7
	v_subrev_nc_u32_e32 v10, s12, v10
	s_delay_alu instid0(VALU_DEP_1) | instskip(SKIP_2) | instid1(VALU_DEP_2)
	v_lshlrev_b32_e32 v34, 2, v10
	s_wait_loadcnt 0x2
	v_subrev_nc_u32_e32 v10, s12, v31
	v_ashrrev_i32_e32 v35, 31, v34
	s_delay_alu instid0(VALU_DEP_1) | instskip(SKIP_1) | instid1(VALU_DEP_1)
	v_lshlrev_b64_e32 v[34:35], 4, v[34:35]
	s_wait_kmcnt 0x0
	v_add_co_u32 v34, vcc_lo, s4, v34
	s_wait_alu 0xfffd
	s_delay_alu instid0(VALU_DEP_2)
	v_add_co_ci_u32_e64 v35, null, s5, v35, vcc_lo
	s_clause 0x1
	global_load_b128 v[54:57], v[34:35], off
	global_load_b128 v[58:61], v[34:35], off offset:16
	s_clause 0x3
	global_load_b128 v[62:65], v[32:33], off offset:48
	global_load_b128 v[66:69], v[32:33], off offset:16
	;; [unrolled: 1-line block ×4, first 2 shown]
	s_clause 0x1
	global_load_b128 v[78:81], v[34:35], off offset:32
	global_load_b128 v[82:85], v[34:35], off offset:48
	s_clause 0x3
	global_load_b128 v[86:89], v[32:33], off offset:1056
	global_load_b128 v[90:93], v[32:33], off offset:1024
	global_load_b128 v[94:97], v[32:33], off offset:1120
	global_load_b128 v[98:101], v[32:33], off offset:1088
	v_lshlrev_b32_e32 v34, 2, v10
	s_wait_loadcnt 0xd
	v_subrev_nc_u32_e32 v10, s12, v112
	s_delay_alu instid0(VALU_DEP_2) | instskip(NEXT) | instid1(VALU_DEP_1)
	v_ashrrev_i32_e32 v35, 31, v34
	v_lshlrev_b64_e32 v[34:35], 4, v[34:35]
	s_delay_alu instid0(VALU_DEP_1) | instskip(SKIP_1) | instid1(VALU_DEP_2)
	v_add_co_u32 v34, vcc_lo, s4, v34
	s_wait_alu 0xfffd
	v_add_co_ci_u32_e64 v35, null, s5, v35, vcc_lo
	global_load_b128 v[102:105], v[34:35], off
	s_wait_loadcnt 0xc
	v_fma_f64 v[17:18], v[54:55], 0, v[17:18]
	v_fma_f64 v[26:27], v[54:55], 0, v[26:27]
	;; [unrolled: 1-line block ×16, first 2 shown]
	global_load_b128 v[13:16], v[34:35], off offset:16
	s_wait_loadcnt 0xc
	v_fma_f64 v[17:18], v[58:59], 0, v[17:18]
	v_fma_f64 v[26:27], v[58:59], 0, v[26:27]
	;; [unrolled: 1-line block ×16, first 2 shown]
	s_clause 0x3
	global_load_b128 v[17:20], v[32:33], off offset:1072
	global_load_b128 v[22:25], v[32:33], off offset:1040
	;; [unrolled: 1-line block ×5, first 2 shown]
	s_wait_loadcnt 0xc
	v_fma_f64 v[46:47], v[78:79], 0, v[46:47]
	v_fma_f64 v[50:51], v[78:79], 0, v[50:51]
	;; [unrolled: 1-line block ×16, first 2 shown]
	global_load_b128 v[46:49], v[34:35], off offset:48
	s_wait_loadcnt 0xc
	v_fma_f64 v[34:35], v[82:83], 0, v[66:67]
	v_fma_f64 v[66:67], v[82:83], 0, v[50:51]
	;; [unrolled: 1-line block ×8, first 2 shown]
	v_lshlrev_b32_e32 v82, 2, v10
	s_clause 0x3
	global_load_b128 v[50:53], v[32:33], off offset:2080
	global_load_b128 v[54:57], v[32:33], off offset:2048
	;; [unrolled: 1-line block ×4, first 2 shown]
	v_subrev_nc_u32_e32 v10, s12, v113
	v_ashrrev_i32_e32 v83, 31, v82
	v_fma_f64 v[34:35], v[68:69], v[84:85], v[34:35]
	v_fma_f64 v[66:67], v[64:65], v[84:85], v[66:67]
	;; [unrolled: 1-line block ×8, first 2 shown]
	v_lshlrev_b64_e32 v[62:63], 4, v[82:83]
	s_delay_alu instid0(VALU_DEP_1) | instskip(SKIP_1) | instid1(VALU_DEP_2)
	v_add_co_u32 v108, vcc_lo, s4, v62
	s_wait_alu 0xfffd
	v_add_co_ci_u32_e64 v109, null, s5, v63, vcc_lo
	global_load_b128 v[62:65], v[108:109], off
	s_wait_loadcnt 0xc
	v_fma_f64 v[34:35], v[102:103], 0, v[34:35]
	v_fma_f64 v[66:67], v[102:103], 0, v[66:67]
	;; [unrolled: 1-line block ×16, first 2 shown]
	global_load_b128 v[66:69], v[108:109], off offset:16
	s_wait_loadcnt 0xc
	v_fma_f64 v[34:35], v[13:14], 0, v[34:35]
	v_fma_f64 v[84:85], v[13:14], 0, v[84:85]
	;; [unrolled: 1-line block ×16, first 2 shown]
	s_clause 0x3
	global_load_b128 v[13:16], v[32:33], off offset:2096
	global_load_b128 v[70:73], v[32:33], off offset:2064
	;; [unrolled: 1-line block ×5, first 2 shown]
	s_wait_loadcnt 0xc
	v_fma_f64 v[34:35], v[42:43], 0, v[34:35]
	v_fma_f64 v[90:91], v[42:43], 0, v[90:91]
	;; [unrolled: 1-line block ×16, first 2 shown]
	global_load_b128 v[42:45], v[108:109], off offset:48
	s_wait_loadcnt 0xc
	v_fma_f64 v[22:23], v[46:47], 0, v[22:23]
	v_fma_f64 v[17:18], v[46:47], 0, v[17:18]
	;; [unrolled: 1-line block ×8, first 2 shown]
	v_lshlrev_b32_e32 v46, 2, v10
	s_clause 0x3
	global_load_b128 v[90:93], v[32:33], off offset:3104
	global_load_b128 v[94:97], v[32:33], off offset:3072
	;; [unrolled: 1-line block ×4, first 2 shown]
	v_ashrrev_i32_e32 v47, 31, v46
	v_fma_f64 v[22:23], v[24:25], v[48:49], v[22:23]
	v_fma_f64 v[24:25], v[19:20], v[48:49], v[17:18]
	;; [unrolled: 1-line block ×8, first 2 shown]
	v_lshlrev_b64_e32 v[17:18], 4, v[46:47]
	s_delay_alu instid0(VALU_DEP_1) | instskip(SKIP_1) | instid1(VALU_DEP_2)
	v_add_co_u32 v110, vcc_lo, s4, v17
	s_wait_alu 0xfffd
	v_add_co_ci_u32_e64 v111, null, s5, v18, vcc_lo
	v_cmp_ge_i32_e32 vcc_lo, v30, v36
	global_load_b128 v[17:20], v[110:111], off
	s_wait_alu 0xfffe
	s_or_b32 s10, vcc_lo, s10
	s_wait_loadcnt 0xc
	v_fma_f64 v[22:23], v[62:63], 0, v[22:23]
	v_fma_f64 v[24:25], v[62:63], 0, v[24:25]
	;; [unrolled: 1-line block ×16, first 2 shown]
	global_load_b128 v[22:25], v[110:111], off offset:16
	s_wait_loadcnt 0xc
	v_fma_f64 v[48:49], v[66:67], 0, v[48:49]
	v_fma_f64 v[50:51], v[66:67], 0, v[50:51]
	;; [unrolled: 1-line block ×16, first 2 shown]
	s_clause 0x3
	global_load_b128 v[38:41], v[32:33], off offset:3120
	global_load_b128 v[26:29], v[32:33], off offset:3088
	;; [unrolled: 1-line block ×5, first 2 shown]
	v_add_co_u32 v32, s3, 0x1000, v32
	s_wait_alu 0xf1ff
	v_add_co_ci_u32_e64 v33, null, 0, v33, s3
	s_wait_loadcnt 0xc
	v_fma_f64 v[62:63], v[86:87], 0, v[62:63]
	v_fma_f64 v[64:65], v[86:87], 0, v[64:65]
	;; [unrolled: 1-line block ×16, first 2 shown]
	global_load_b128 v[58:61], v[110:111], off offset:48
	s_wait_loadcnt 0xc
	v_fma_f64 v[62:63], v[42:43], 0, v[62:63]
	v_fma_f64 v[13:14], v[42:43], 0, v[13:14]
	v_fma_f64 v[74:75], v[72:73], v[42:43], v[80:81]
	v_fma_f64 v[34:35], v[15:16], v[42:43], v[34:35]
	v_fma_f64 v[64:65], v[84:85], v[42:43], v[64:65]
	v_fma_f64 v[66:67], v[42:43], 0, v[66:67]
	v_fma_f64 v[68:69], v[76:77], v[42:43], v[68:69]
	v_fma_f64 v[42:43], v[42:43], 0, v[70:71]
	v_fma_f64 v[62:63], v[72:73], v[44:45], v[62:63]
	v_fma_f64 v[13:14], v[15:16], v[44:45], v[13:14]
	v_fma_f64 v[70:71], 0x80000000, v[44:45], v[74:75]
	v_fma_f64 v[34:35], 0x80000000, v[44:45], v[34:35]
	v_fma_f64 v[15:16], 0x80000000, v[44:45], v[64:65]
	v_fma_f64 v[64:65], v[84:85], v[44:45], v[66:67]
	v_fma_f64 v[66:67], 0x80000000, v[44:45], v[68:69]
	v_fma_f64 v[42:43], v[76:77], v[44:45], v[42:43]
	s_wait_loadcnt 0x7
	v_fma_f64 v[62:63], v[17:18], 0, v[62:63]
	v_fma_f64 v[13:14], v[17:18], 0, v[13:14]
	v_fma_f64 v[44:45], v[94:95], v[17:18], v[70:71]
	v_fma_f64 v[34:35], v[90:91], v[17:18], v[34:35]
	v_fma_f64 v[15:16], v[102:103], v[17:18], v[15:16]
	v_fma_f64 v[64:65], v[17:18], 0, v[64:65]
	v_fma_f64 v[66:67], v[98:99], v[17:18], v[66:67]
	v_fma_f64 v[17:18], v[17:18], 0, v[42:43]
	v_fma_f64 v[13:14], v[90:91], v[19:20], v[13:14]
	v_fma_f64 v[42:43], 0x80000000, v[19:20], v[44:45]
	v_fma_f64 v[44:45], v[94:95], v[19:20], v[62:63]
	v_fma_f64 v[34:35], 0x80000000, v[19:20], v[34:35]
	v_fma_f64 v[15:16], 0x80000000, v[19:20], v[15:16]
	v_fma_f64 v[62:63], v[102:103], v[19:20], v[64:65]
	v_fma_f64 v[64:65], 0x80000000, v[19:20], v[66:67]
	v_fma_f64 v[17:18], v[98:99], v[19:20], v[17:18]
	;; [unrolled: 17-line block ×5, first 2 shown]
	s_wait_alu 0xfffe
	s_and_not1_b32 exec_lo, exec_lo, s10
	s_cbranch_execnz .LBB136_19
; %bb.20:
	s_or_b32 exec_lo, exec_lo, s10
.LBB136_21:
	s_wait_alu 0xfffe
	s_or_b32 exec_lo, exec_lo, s7
.LBB136_22:
	s_wait_alu 0xfffe
	s_or_b32 exec_lo, exec_lo, s6
	s_cbranch_execz .LBB136_24
	s_branch .LBB136_35
.LBB136_23:
                                        ; implicit-def: $vgpr17_vgpr18
                                        ; implicit-def: $vgpr24_vgpr25
                                        ; implicit-def: $vgpr26_vgpr27
                                        ; implicit-def: $vgpr28_vgpr29
                                        ; implicit-def: $vgpr19_vgpr20
                                        ; implicit-def: $vgpr22_vgpr23
                                        ; implicit-def: $vgpr15_vgpr16
                                        ; implicit-def: $vgpr13_vgpr14
.LBB136_24:
	v_dual_mov_b32 v26, 0 :: v_dual_mov_b32 v15, 0
	v_dual_mov_b32 v17, 0 :: v_dual_mov_b32 v24, 0
	;; [unrolled: 1-line block ×8, first 2 shown]
	s_and_saveexec_b32 s3, s2
	s_cbranch_execz .LBB136_34
; %bb.25:
	v_add_nc_u32_e32 v10, v37, v0
	v_not_b32_e32 v13, v37
	v_mov_b32_e32 v22, 0
	v_dual_mov_b32 v28, 0 :: v_dual_mov_b32 v17, 0
	s_delay_alu instid0(VALU_DEP_4) | instskip(SKIP_3) | instid1(VALU_DEP_4)
	v_subrev_nc_u32_e32 v10, s12, v10
	v_mov_b32_e32 v26, 0
	v_dual_mov_b32 v24, 0 :: v_dual_mov_b32 v29, 0
	v_mov_b32_e32 v18, 0
	v_dual_mov_b32 v15, 0 :: v_dual_add_nc_u32 v10, 8, v10
	v_dual_mov_b32 v16, 0 :: v_dual_mov_b32 v19, 0
	v_dual_mov_b32 v20, 0 :: v_dual_mov_b32 v25, 0
	s_delay_alu instid0(VALU_DEP_3) | instskip(SKIP_3) | instid1(VALU_DEP_3)
	v_max_i32_e32 v10, v10, v36
	s_mov_b32 s2, exec_lo
	v_mov_b32_e32 v23, 0
	v_mov_b32_e32 v27, 0
	v_add3_u32 v10, s12, v10, v13
	v_mov_b32_e32 v13, 0
	v_mov_b32_e32 v14, 0
	s_delay_alu instid0(VALU_DEP_3) | instskip(NEXT) | instid1(VALU_DEP_1)
	v_sub_nc_u32_e32 v30, v10, v0
	v_and_b32_e32 v10, 24, v30
	s_delay_alu instid0(VALU_DEP_1)
	v_cmpx_ne_u32_e32 24, v10
	s_cbranch_execz .LBB136_29
; %bb.26:
	v_lshrrev_b32_e32 v10, 3, v30
	v_mov_b32_e32 v24, 0
	v_mov_b32_e32 v26, 0
	;; [unrolled: 1-line block ×3, first 2 shown]
	v_dual_mov_b32 v22, 0 :: v_dual_mov_b32 v13, 0
	v_dual_mov_b32 v17, 0 :: v_dual_add_nc_u32 v10, 1, v10
	v_dual_mov_b32 v18, 0 :: v_dual_mov_b32 v25, 0
	s_delay_alu instid0(VALU_DEP_2)
	v_dual_mov_b32 v19, 0 :: v_dual_and_b32 v10, 3, v10
	v_dual_mov_b32 v20, 0 :: v_dual_mov_b32 v15, 0
	v_mov_b32_e32 v27, 0
	v_mov_b32_e32 v29, 0
	v_dual_mov_b32 v23, 0 :: v_dual_mov_b32 v16, 0
	v_mov_b32_e32 v14, 0
	v_sub_nc_u32_e32 v31, 0, v10
	s_mov_b32 s6, 0
.LBB136_27:                             ; =>This Inner Loop Header: Depth=1
	v_ashrrev_i32_e32 v10, 31, v9
	s_delay_alu instid0(VALU_DEP_2) | instskip(SKIP_2) | instid1(VALU_DEP_2)
	v_add_co_u32 v31, s7, v31, 1
	s_wait_alu 0xfffe
	s_or_b32 s6, s7, s6
	v_lshlrev_b64_e32 v[32:33], 2, v[9:10]
	v_add_nc_u32_e32 v9, 8, v9
	s_delay_alu instid0(VALU_DEP_2) | instskip(SKIP_1) | instid1(VALU_DEP_3)
	v_add_co_u32 v32, vcc_lo, s8, v32
	s_wait_alu 0xfffd
	v_add_co_ci_u32_e64 v33, null, s9, v33, vcc_lo
	global_load_b32 v10, v[32:33], off
	s_clause 0x1
	global_load_b128 v[32:35], v[11:12], off offset:16
	global_load_b128 v[37:40], v[11:12], off
	s_wait_loadcnt 0x2
	v_subrev_nc_u32_e32 v10, s12, v10
	s_delay_alu instid0(VALU_DEP_1) | instskip(NEXT) | instid1(VALU_DEP_1)
	v_lshlrev_b32_e32 v41, 2, v10
	v_ashrrev_i32_e32 v42, 31, v41
	s_delay_alu instid0(VALU_DEP_1) | instskip(SKIP_1) | instid1(VALU_DEP_1)
	v_lshlrev_b64_e32 v[41:42], 4, v[41:42]
	s_wait_kmcnt 0x0
	v_add_co_u32 v69, vcc_lo, s4, v41
	s_wait_alu 0xfffd
	s_delay_alu instid0(VALU_DEP_2)
	v_add_co_ci_u32_e64 v70, null, s5, v42, vcc_lo
	s_clause 0x1
	global_load_b128 v[41:44], v[69:70], off
	global_load_b128 v[45:48], v[69:70], off offset:16
	s_clause 0x3
	global_load_b128 v[49:52], v[11:12], off offset:32
	global_load_b128 v[53:56], v[11:12], off offset:48
	;; [unrolled: 1-line block ×4, first 2 shown]
	s_clause 0x1
	global_load_b128 v[65:68], v[69:70], off offset:32
	global_load_b128 v[69:72], v[69:70], off offset:48
	s_clause 0x1
	global_load_b128 v[73:76], v[11:12], off offset:96
	global_load_b128 v[77:80], v[11:12], off offset:112
	v_add_co_u32 v11, vcc_lo, 0x400, v11
	s_wait_alu 0xfffd
	v_add_co_ci_u32_e64 v12, null, 0, v12, vcc_lo
	s_wait_loadcnt 0x9
	v_fma_f64 v[24:25], v[37:38], v[41:42], v[24:25]
	v_fma_f64 v[17:18], v[41:42], 0, v[17:18]
	;; [unrolled: 1-line block ×16, first 2 shown]
	s_wait_loadcnt 0x7
	v_fma_f64 v[24:25], v[49:50], v[45:46], v[24:25]
	v_fma_f64 v[17:18], v[45:46], 0, v[17:18]
	;; [unrolled: 1-line block ×4, first 2 shown]
	s_wait_loadcnt 0x6
	v_fma_f64 v[22:23], v[53:54], v[45:46], v[22:23]
	v_fma_f64 v[19:20], v[45:46], 0, v[19:20]
	;; [unrolled: 1-line block ×12, first 2 shown]
	s_wait_loadcnt 0x3
	v_fma_f64 v[24:25], v[61:62], v[65:66], v[24:25]
	v_fma_f64 v[17:18], v[65:66], 0, v[17:18]
	;; [unrolled: 1-line block ×16, first 2 shown]
	s_wait_loadcnt 0x1
	v_fma_f64 v[24:25], v[73:74], v[69:70], v[24:25]
	v_fma_f64 v[17:18], v[69:70], 0, v[17:18]
	;; [unrolled: 1-line block ×4, first 2 shown]
	s_wait_loadcnt 0x0
	v_fma_f64 v[22:23], v[77:78], v[69:70], v[22:23]
	v_fma_f64 v[19:20], v[69:70], 0, v[19:20]
	;; [unrolled: 1-line block ×12, first 2 shown]
	s_wait_alu 0xfffe
	s_and_not1_b32 exec_lo, exec_lo, s6
	s_cbranch_execnz .LBB136_27
; %bb.28:
	s_or_b32 exec_lo, exec_lo, s6
.LBB136_29:
	s_wait_alu 0xfffe
	s_or_b32 exec_lo, exec_lo, s2
	s_delay_alu instid0(SALU_CYCLE_1)
	s_mov_b32 s6, exec_lo
	v_cmpx_lt_u32_e32 23, v30
	s_cbranch_execz .LBB136_33
; %bb.30:
	s_mov_b32 s7, 0
.LBB136_31:                             ; =>This Inner Loop Header: Depth=1
	v_ashrrev_i32_e32 v10, 31, v9
	s_delay_alu instid0(VALU_DEP_1) | instskip(SKIP_1) | instid1(VALU_DEP_2)
	v_lshlrev_b64_e32 v[30:31], 2, v[9:10]
	v_add_nc_u32_e32 v9, 32, v9
	v_add_co_u32 v34, vcc_lo, s8, v30
	s_wait_alu 0xfffd
	s_delay_alu instid0(VALU_DEP_3)
	v_add_co_ci_u32_e64 v35, null, s9, v31, vcc_lo
	global_load_b32 v10, v[34:35], off
	s_clause 0x1
	global_load_b128 v[30:33], v[11:12], off offset:16
	global_load_b128 v[37:40], v[11:12], off
	s_clause 0x2
	global_load_b32 v89, v[34:35], off offset:32
	global_load_b32 v97, v[34:35], off offset:64
	;; [unrolled: 1-line block ×3, first 2 shown]
	s_wait_loadcnt 0x5
	v_subrev_nc_u32_e32 v10, s12, v10
	s_delay_alu instid0(VALU_DEP_1) | instskip(SKIP_2) | instid1(VALU_DEP_2)
	v_lshlrev_b32_e32 v34, 2, v10
	s_wait_loadcnt 0x2
	v_subrev_nc_u32_e32 v10, s12, v89
	v_ashrrev_i32_e32 v35, 31, v34
	s_delay_alu instid0(VALU_DEP_1) | instskip(SKIP_1) | instid1(VALU_DEP_1)
	v_lshlrev_b64_e32 v[34:35], 4, v[34:35]
	s_wait_kmcnt 0x0
	v_add_co_u32 v34, vcc_lo, s4, v34
	s_wait_alu 0xfffd
	s_delay_alu instid0(VALU_DEP_2)
	v_add_co_ci_u32_e64 v35, null, s5, v35, vcc_lo
	global_load_b128 v[41:44], v[34:35], off
	s_clause 0x1
	global_load_b128 v[45:48], v[11:12], off offset:32
	global_load_b128 v[49:52], v[11:12], off offset:48
	global_load_b128 v[53:56], v[34:35], off offset:16
	s_clause 0x1
	global_load_b128 v[57:60], v[11:12], off offset:80
	global_load_b128 v[61:64], v[11:12], off offset:64
	global_load_b128 v[65:68], v[34:35], off offset:32
	;; [unrolled: 4-line block ×3, first 2 shown]
	s_clause 0x1
	global_load_b128 v[81:84], v[11:12], off offset:1040
	global_load_b128 v[85:88], v[11:12], off offset:1024
	v_lshlrev_b32_e32 v34, 2, v10
	s_wait_loadcnt 0xd
	v_subrev_nc_u32_e32 v10, s12, v97
	s_delay_alu instid0(VALU_DEP_2) | instskip(NEXT) | instid1(VALU_DEP_2)
	v_ashrrev_i32_e32 v35, 31, v34
	v_lshlrev_b32_e32 v97, 2, v10
	s_wait_loadcnt 0xc
	v_subrev_nc_u32_e32 v10, s12, v99
	s_delay_alu instid0(VALU_DEP_3) | instskip(NEXT) | instid1(VALU_DEP_3)
	v_lshlrev_b64_e32 v[34:35], 4, v[34:35]
	v_ashrrev_i32_e32 v98, 31, v97
	s_delay_alu instid0(VALU_DEP_2) | instskip(SKIP_1) | instid1(VALU_DEP_3)
	v_add_co_u32 v34, vcc_lo, s4, v34
	s_wait_alu 0xfffd
	v_add_co_ci_u32_e64 v35, null, s5, v35, vcc_lo
	global_load_b128 v[89:92], v[34:35], off
	s_wait_loadcnt 0xc
	v_fma_f64 v[24:25], v[37:38], v[41:42], v[24:25]
	v_fma_f64 v[17:18], v[41:42], 0, v[17:18]
	v_fma_f64 v[28:29], v[39:40], v[41:42], v[28:29]
	v_fma_f64 v[26:27], v[41:42], 0, v[26:27]
	v_fma_f64 v[22:23], v[30:31], v[41:42], v[22:23]
	v_fma_f64 v[19:20], v[41:42], 0, v[19:20]
	v_fma_f64 v[13:14], v[32:33], v[41:42], v[13:14]
	v_fma_f64 v[15:16], v[41:42], 0, v[15:16]
	v_fma_f64 v[41:42], 0x80000000, v[43:44], v[24:25]
	v_fma_f64 v[37:38], v[37:38], v[43:44], v[17:18]
	v_fma_f64 v[28:29], 0x80000000, v[43:44], v[28:29]
	v_fma_f64 v[26:27], v[39:40], v[43:44], v[26:27]
	v_fma_f64 v[39:40], 0x80000000, v[43:44], v[22:23]
	v_fma_f64 v[30:31], v[30:31], v[43:44], v[19:20]
	v_fma_f64 v[93:94], 0x80000000, v[43:44], v[13:14]
	v_fma_f64 v[32:33], v[32:33], v[43:44], v[15:16]
	s_clause 0x1
	global_load_b128 v[13:16], v[11:12], off offset:1056
	global_load_b128 v[17:20], v[11:12], off offset:1072
	global_load_b128 v[22:25], v[34:35], off offset:16
	s_wait_loadcnt 0xc
	v_fma_f64 v[41:42], v[45:46], v[53:54], v[41:42]
	v_fma_f64 v[37:38], v[53:54], 0, v[37:38]
	v_fma_f64 v[28:29], v[47:48], v[53:54], v[28:29]
	v_fma_f64 v[26:27], v[53:54], 0, v[26:27]
	v_fma_f64 v[39:40], v[49:50], v[53:54], v[39:40]
	v_fma_f64 v[30:31], v[53:54], 0, v[30:31]
	v_fma_f64 v[43:44], v[51:52], v[53:54], v[93:94]
	v_fma_f64 v[32:33], v[53:54], 0, v[32:33]
	v_fma_f64 v[41:42], 0x80000000, v[55:56], v[41:42]
	v_fma_f64 v[45:46], v[45:46], v[55:56], v[37:38]
	v_fma_f64 v[53:54], 0x80000000, v[55:56], v[28:29]
	v_fma_f64 v[47:48], v[47:48], v[55:56], v[26:27]
	v_fma_f64 v[93:94], 0x80000000, v[55:56], v[39:40]
	v_fma_f64 v[49:50], v[49:50], v[55:56], v[30:31]
	v_fma_f64 v[43:44], 0x80000000, v[55:56], v[43:44]
	v_fma_f64 v[51:52], v[51:52], v[55:56], v[32:33]
	s_clause 0x1
	global_load_b128 v[26:29], v[11:12], off offset:1104
	global_load_b128 v[30:33], v[11:12], off offset:1088
	global_load_b128 v[37:40], v[34:35], off offset:32
	;; [unrolled: 21-line block ×3, first 2 shown]
	s_wait_loadcnt 0xc
	v_fma_f64 v[34:35], v[69:70], v[77:78], v[65:66]
	v_fma_f64 v[61:62], v[77:78], 0, v[61:62]
	;; [unrolled: 1-line block ×8, first 2 shown]
	s_clause 0x1
	global_load_b128 v[53:56], v[11:12], off offset:2064
	global_load_b128 v[57:60], v[11:12], off offset:2048
	v_fma_f64 v[34:35], 0x80000000, v[79:80], v[34:35]
	v_fma_f64 v[69:70], v[69:70], v[79:80], v[61:62]
	;; [unrolled: 1-line block ×8, first 2 shown]
	v_lshlrev_b64_e32 v[61:62], 4, v[97:98]
	s_delay_alu instid0(VALU_DEP_1) | instskip(SKIP_1) | instid1(VALU_DEP_2)
	v_add_co_u32 v77, vcc_lo, s4, v61
	s_wait_alu 0xfffd
	v_add_co_ci_u32_e64 v78, null, s5, v62, vcc_lo
	global_load_b128 v[61:64], v[77:78], off
	s_wait_loadcnt 0xc
	v_fma_f64 v[34:35], v[85:86], v[89:90], v[34:35]
	v_fma_f64 v[69:70], v[89:90], 0, v[69:70]
	v_fma_f64 v[65:66], v[87:88], v[89:90], v[65:66]
	v_fma_f64 v[71:72], v[89:90], 0, v[71:72]
	v_fma_f64 v[67:68], v[81:82], v[89:90], v[67:68]
	v_fma_f64 v[73:74], v[89:90], 0, v[73:74]
	v_fma_f64 v[79:80], v[83:84], v[89:90], v[93:94]
	v_fma_f64 v[75:76], v[89:90], 0, v[75:76]
	v_fma_f64 v[34:35], 0x80000000, v[91:92], v[34:35]
	v_fma_f64 v[85:86], v[85:86], v[91:92], v[69:70]
	v_fma_f64 v[89:90], 0x80000000, v[91:92], v[65:66]
	v_fma_f64 v[87:88], v[87:88], v[91:92], v[71:72]
	v_fma_f64 v[93:94], 0x80000000, v[91:92], v[67:68]
	v_fma_f64 v[81:82], v[81:82], v[91:92], v[73:74]
	v_fma_f64 v[79:80], 0x80000000, v[91:92], v[79:80]
	v_fma_f64 v[83:84], v[83:84], v[91:92], v[75:76]
	s_clause 0x1
	global_load_b128 v[65:68], v[11:12], off offset:2080
	global_load_b128 v[69:72], v[11:12], off offset:2096
	global_load_b128 v[73:76], v[77:78], off offset:16
	s_wait_loadcnt 0xc
	v_fma_f64 v[34:35], v[13:14], v[22:23], v[34:35]
	v_fma_f64 v[85:86], v[22:23], 0, v[85:86]
	v_fma_f64 v[89:90], v[15:16], v[22:23], v[89:90]
	v_fma_f64 v[87:88], v[22:23], 0, v[87:88]
	v_fma_f64 v[91:92], v[17:18], v[22:23], v[93:94]
	v_fma_f64 v[81:82], v[22:23], 0, v[81:82]
	v_fma_f64 v[79:80], v[19:20], v[22:23], v[79:80]
	v_fma_f64 v[22:23], v[22:23], 0, v[83:84]
	v_fma_f64 v[34:35], 0x80000000, v[24:25], v[34:35]
	v_fma_f64 v[83:84], v[13:14], v[24:25], v[85:86]
	v_fma_f64 v[85:86], 0x80000000, v[24:25], v[89:90]
	v_fma_f64 v[87:88], v[15:16], v[24:25], v[87:88]
	v_fma_f64 v[89:90], 0x80000000, v[24:25], v[91:92]
	v_fma_f64 v[81:82], v[17:18], v[24:25], v[81:82]
	v_fma_f64 v[79:80], 0x80000000, v[24:25], v[79:80]
	v_fma_f64 v[91:92], v[19:20], v[24:25], v[22:23]
	s_clause 0x1
	global_load_b128 v[13:16], v[11:12], off offset:2128
	global_load_b128 v[17:20], v[11:12], off offset:2112
	global_load_b128 v[22:25], v[77:78], off offset:32
	;; [unrolled: 21-line block ×3, first 2 shown]
	s_wait_loadcnt 0xc
	v_fma_f64 v[34:35], v[41:42], v[49:50], v[34:35]
	v_fma_f64 v[93:94], v[49:50], 0, v[83:84]
	;; [unrolled: 1-line block ×8, first 2 shown]
	v_lshlrev_b32_e32 v91, 2, v10
	s_clause 0x1
	global_load_b128 v[77:80], v[11:12], off offset:3088
	global_load_b128 v[81:84], v[11:12], off offset:3072
	v_ashrrev_i32_e32 v92, 31, v91
	v_fma_f64 v[34:35], 0x80000000, v[51:52], v[34:35]
	v_fma_f64 v[93:94], v[41:42], v[51:52], v[93:94]
	;; [unrolled: 1-line block ×8, first 2 shown]
	v_lshlrev_b64_e32 v[41:42], 4, v[91:92]
	s_delay_alu instid0(VALU_DEP_1) | instskip(SKIP_1) | instid1(VALU_DEP_2)
	v_add_co_u32 v91, vcc_lo, s4, v41
	s_wait_alu 0xfffd
	v_add_co_ci_u32_e64 v92, null, s5, v42, vcc_lo
	v_cmp_ge_i32_e32 vcc_lo, v9, v36
	global_load_b128 v[41:44], v[91:92], off
	s_wait_alu 0xfffe
	s_or_b32 s7, vcc_lo, s7
	s_wait_loadcnt 0xc
	v_fma_f64 v[34:35], v[57:58], v[61:62], v[34:35]
	v_fma_f64 v[49:50], v[61:62], 0, v[93:94]
	v_fma_f64 v[51:52], v[59:60], v[61:62], v[85:86]
	v_fma_f64 v[85:86], v[61:62], 0, v[87:88]
	v_fma_f64 v[87:88], v[53:54], v[61:62], v[89:90]
	v_fma_f64 v[45:46], v[61:62], 0, v[45:46]
	v_fma_f64 v[89:90], v[55:56], v[61:62], v[95:96]
	v_fma_f64 v[47:48], v[61:62], 0, v[47:48]
	v_fma_f64 v[34:35], 0x80000000, v[63:64], v[34:35]
	v_fma_f64 v[57:58], v[57:58], v[63:64], v[49:50]
	v_fma_f64 v[61:62], 0x80000000, v[63:64], v[51:52]
	v_fma_f64 v[59:60], v[59:60], v[63:64], v[85:86]
	v_fma_f64 v[85:86], 0x80000000, v[63:64], v[87:88]
	v_fma_f64 v[87:88], v[53:54], v[63:64], v[45:46]
	v_fma_f64 v[89:90], 0x80000000, v[63:64], v[89:90]
	v_fma_f64 v[63:64], v[55:56], v[63:64], v[47:48]
	s_clause 0x1
	global_load_b128 v[45:48], v[11:12], off offset:3104
	global_load_b128 v[49:52], v[11:12], off offset:3120
	global_load_b128 v[53:56], v[91:92], off offset:16
	s_wait_loadcnt 0xc
	v_fma_f64 v[34:35], v[65:66], v[73:74], v[34:35]
	v_fma_f64 v[57:58], v[73:74], 0, v[57:58]
	v_fma_f64 v[61:62], v[67:68], v[73:74], v[61:62]
	v_fma_f64 v[59:60], v[73:74], 0, v[59:60]
	v_fma_f64 v[85:86], v[69:70], v[73:74], v[85:86]
	v_fma_f64 v[87:88], v[73:74], 0, v[87:88]
	v_fma_f64 v[89:90], v[71:72], v[73:74], v[89:90]
	v_fma_f64 v[63:64], v[73:74], 0, v[63:64]
	v_fma_f64 v[34:35], 0x80000000, v[75:76], v[34:35]
	v_fma_f64 v[73:74], v[65:66], v[75:76], v[57:58]
	v_fma_f64 v[93:94], 0x80000000, v[75:76], v[61:62]
	v_fma_f64 v[95:96], v[67:68], v[75:76], v[59:60]
	v_fma_f64 v[85:86], 0x80000000, v[75:76], v[85:86]
	v_fma_f64 v[69:70], v[69:70], v[75:76], v[87:88]
	v_fma_f64 v[87:88], 0x80000000, v[75:76], v[89:90]
	v_fma_f64 v[71:72], v[71:72], v[75:76], v[63:64]
	s_clause 0x1
	global_load_b128 v[57:60], v[11:12], off offset:3152
	global_load_b128 v[61:64], v[11:12], off offset:3136
	global_load_b128 v[65:68], v[91:92], off offset:32
	;; [unrolled: 21-line block ×3, first 2 shown]
	v_add_co_u32 v11, s2, 0x1000, v11
	s_wait_alu 0xf1ff
	v_add_co_ci_u32_e64 v12, null, 0, v12, s2
	s_wait_loadcnt 0xc
	v_fma_f64 v[24:25], v[26:27], v[37:38], v[34:35]
	v_fma_f64 v[17:18], v[37:38], 0, v[17:18]
	v_fma_f64 v[34:35], v[28:29], v[37:38], v[93:94]
	v_fma_f64 v[19:20], v[37:38], 0, v[19:20]
	v_fma_f64 v[85:86], v[30:31], v[37:38], v[85:86]
	v_fma_f64 v[89:90], v[37:38], 0, v[89:90]
	v_fma_f64 v[87:88], v[32:33], v[37:38], v[87:88]
	v_fma_f64 v[22:23], v[37:38], 0, v[22:23]
	v_fma_f64 v[24:25], 0x80000000, v[39:40], v[24:25]
	v_fma_f64 v[17:18], v[26:27], v[39:40], v[17:18]
	v_fma_f64 v[26:27], 0x80000000, v[39:40], v[34:35]
	v_fma_f64 v[19:20], v[28:29], v[39:40], v[19:20]
	v_fma_f64 v[28:29], 0x80000000, v[39:40], v[85:86]
	v_fma_f64 v[30:31], v[30:31], v[39:40], v[89:90]
	v_fma_f64 v[34:35], 0x80000000, v[39:40], v[87:88]
	v_fma_f64 v[22:23], v[32:33], v[39:40], v[22:23]
	s_wait_loadcnt 0x9
	v_fma_f64 v[24:25], v[81:82], v[41:42], v[24:25]
	v_fma_f64 v[17:18], v[41:42], 0, v[17:18]
	v_fma_f64 v[26:27], v[83:84], v[41:42], v[26:27]
	v_fma_f64 v[19:20], v[41:42], 0, v[19:20]
	v_fma_f64 v[28:29], v[77:78], v[41:42], v[28:29]
	v_fma_f64 v[30:31], v[41:42], 0, v[30:31]
	v_fma_f64 v[32:33], v[79:80], v[41:42], v[34:35]
	v_fma_f64 v[22:23], v[41:42], 0, v[22:23]
	v_fma_f64 v[24:25], 0x80000000, v[43:44], v[24:25]
	v_fma_f64 v[17:18], v[81:82], v[43:44], v[17:18]
	v_fma_f64 v[26:27], 0x80000000, v[43:44], v[26:27]
	v_fma_f64 v[19:20], v[83:84], v[43:44], v[19:20]
	v_fma_f64 v[28:29], 0x80000000, v[43:44], v[28:29]
	v_fma_f64 v[30:31], v[77:78], v[43:44], v[30:31]
	v_fma_f64 v[32:33], 0x80000000, v[43:44], v[32:33]
	v_fma_f64 v[22:23], v[79:80], v[43:44], v[22:23]
	s_wait_loadcnt 0x6
	v_fma_f64 v[24:25], v[45:46], v[53:54], v[24:25]
	v_fma_f64 v[17:18], v[53:54], 0, v[17:18]
	v_fma_f64 v[26:27], v[47:48], v[53:54], v[26:27]
	v_fma_f64 v[19:20], v[53:54], 0, v[19:20]
	v_fma_f64 v[28:29], v[49:50], v[53:54], v[28:29]
	v_fma_f64 v[30:31], v[53:54], 0, v[30:31]
	v_fma_f64 v[32:33], v[51:52], v[53:54], v[32:33]
	v_fma_f64 v[22:23], v[53:54], 0, v[22:23]
	v_fma_f64 v[24:25], 0x80000000, v[55:56], v[24:25]
	v_fma_f64 v[17:18], v[45:46], v[55:56], v[17:18]
	v_fma_f64 v[26:27], 0x80000000, v[55:56], v[26:27]
	v_fma_f64 v[19:20], v[47:48], v[55:56], v[19:20]
	v_fma_f64 v[28:29], 0x80000000, v[55:56], v[28:29]
	v_fma_f64 v[30:31], v[49:50], v[55:56], v[30:31]
	v_fma_f64 v[32:33], 0x80000000, v[55:56], v[32:33]
	v_fma_f64 v[22:23], v[51:52], v[55:56], v[22:23]
	s_wait_loadcnt 0x3
	v_fma_f64 v[24:25], v[61:62], v[65:66], v[24:25]
	v_fma_f64 v[17:18], v[65:66], 0, v[17:18]
	v_fma_f64 v[26:27], v[63:64], v[65:66], v[26:27]
	v_fma_f64 v[19:20], v[65:66], 0, v[19:20]
	v_fma_f64 v[28:29], v[57:58], v[65:66], v[28:29]
	v_fma_f64 v[30:31], v[65:66], 0, v[30:31]
	v_fma_f64 v[32:33], v[59:60], v[65:66], v[32:33]
	v_fma_f64 v[22:23], v[65:66], 0, v[22:23]
	v_fma_f64 v[24:25], 0x80000000, v[67:68], v[24:25]
	v_fma_f64 v[17:18], v[61:62], v[67:68], v[17:18]
	v_fma_f64 v[26:27], 0x80000000, v[67:68], v[26:27]
	v_fma_f64 v[19:20], v[63:64], v[67:68], v[19:20]
	v_fma_f64 v[28:29], 0x80000000, v[67:68], v[28:29]
	v_fma_f64 v[30:31], v[57:58], v[67:68], v[30:31]
	v_fma_f64 v[32:33], 0x80000000, v[67:68], v[32:33]
	v_fma_f64 v[22:23], v[59:60], v[67:68], v[22:23]
	s_wait_loadcnt 0x0
	v_fma_f64 v[24:25], v[13:14], v[73:74], v[24:25]
	v_fma_f64 v[17:18], v[73:74], 0, v[17:18]
	v_fma_f64 v[26:27], v[15:16], v[73:74], v[26:27]
	v_fma_f64 v[19:20], v[73:74], 0, v[19:20]
	v_fma_f64 v[34:35], v[69:70], v[73:74], v[28:29]
	v_fma_f64 v[30:31], v[73:74], 0, v[30:31]
	v_fma_f64 v[32:33], v[71:72], v[73:74], v[32:33]
	v_fma_f64 v[37:38], v[73:74], 0, v[22:23]
	v_fma_f64 v[24:25], 0x80000000, v[75:76], v[24:25]
	v_fma_f64 v[17:18], v[13:14], v[75:76], v[17:18]
	v_fma_f64 v[28:29], 0x80000000, v[75:76], v[26:27]
	v_fma_f64 v[26:27], v[15:16], v[75:76], v[19:20]
	v_fma_f64 v[22:23], 0x80000000, v[75:76], v[34:35]
	v_fma_f64 v[19:20], v[69:70], v[75:76], v[30:31]
	v_fma_f64 v[13:14], 0x80000000, v[75:76], v[32:33]
	v_fma_f64 v[15:16], v[71:72], v[75:76], v[37:38]
	s_wait_alu 0xfffe
	s_and_not1_b32 exec_lo, exec_lo, s7
	s_cbranch_execnz .LBB136_31
; %bb.32:
	s_or_b32 exec_lo, exec_lo, s7
.LBB136_33:
	s_wait_alu 0xfffe
	s_or_b32 exec_lo, exec_lo, s6
.LBB136_34:
	s_wait_alu 0xfffe
	s_or_b32 exec_lo, exec_lo, s3
.LBB136_35:
	v_mbcnt_lo_u32_b32 v44, -1, 0
	s_delay_alu instid0(VALU_DEP_1) | instskip(NEXT) | instid1(VALU_DEP_1)
	v_xor_b32_e32 v9, 4, v44
	v_cmp_gt_i32_e32 vcc_lo, 32, v9
	s_wait_alu 0xfffd
	v_cndmask_b32_e32 v9, v44, v9, vcc_lo
	s_delay_alu instid0(VALU_DEP_1)
	v_lshlrev_b32_e32 v41, 2, v9
	ds_bpermute_b32 v9, v41, v24
	ds_bpermute_b32 v10, v41, v25
	;; [unrolled: 1-line block ×14, first 2 shown]
	s_wait_dscnt 0xc
	v_add_f64_e32 v[9:10], v[24:25], v[9:10]
	s_wait_dscnt 0xa
	v_add_f64_e32 v[22:23], v[22:23], v[34:35]
	s_wait_dscnt 0x8
	v_add_f64_e32 v[24:25], v[26:27], v[32:33]
	s_wait_dscnt 0x6
	v_add_f64_e32 v[26:27], v[13:14], v[38:39]
	v_xor_b32_e32 v13, 2, v44
	s_wait_dscnt 0x4
	v_add_f64_e32 v[11:12], v[17:18], v[11:12]
	s_wait_dscnt 0x2
	v_add_f64_e32 v[17:18], v[28:29], v[30:31]
	v_cmp_gt_i32_e32 vcc_lo, 32, v13
	s_wait_dscnt 0x0
	v_add_f64_e32 v[19:20], v[19:20], v[36:37]
	s_wait_alu 0xfffd
	v_cndmask_b32_e32 v13, v44, v13, vcc_lo
	s_delay_alu instid0(VALU_DEP_1)
	v_lshlrev_b32_e32 v28, 2, v13
	ds_bpermute_b32 v13, v28, v9
	ds_bpermute_b32 v14, v28, v10
	;; [unrolled: 1-line block ×10, first 2 shown]
	s_wait_dscnt 0x8
	v_add_f64_e32 v[9:10], v[9:10], v[13:14]
	s_wait_dscnt 0x6
	v_add_f64_e32 v[13:14], v[22:23], v[36:37]
	v_xor_b32_e32 v22, 1, v44
	s_wait_dscnt 0x4
	v_add_f64_e32 v[24:25], v[24:25], v[34:35]
	s_delay_alu instid0(VALU_DEP_2)
	v_cmp_gt_i32_e32 vcc_lo, 32, v22
	s_wait_alu 0xfffd
	v_cndmask_b32_e32 v22, v44, v22, vcc_lo
	ds_bpermute_b32 v40, v41, v15
	ds_bpermute_b32 v41, v41, v16
	s_wait_dscnt 0x2
	v_add_f64_e32 v[19:20], v[19:20], v[38:39]
	v_cmp_eq_u32_e32 vcc_lo, 7, v0
	v_lshlrev_b32_e32 v35, 2, v22
	s_wait_dscnt 0x0
	v_add_f64_e32 v[30:31], v[15:16], v[40:41]
	ds_bpermute_b32 v15, v28, v11
	ds_bpermute_b32 v16, v28, v12
	;; [unrolled: 1-line block ×12, first 2 shown]
	s_wait_dscnt 0xa
	v_add_f64_e32 v[28:29], v[11:12], v[15:16]
	v_add_f64_e32 v[11:12], v[17:18], v[32:33]
	s_wait_dscnt 0x8
	v_add_f64_e32 v[15:16], v[26:27], v[40:41]
	s_wait_dscnt 0x0
	v_add_f64_e32 v[17:18], v[30:31], v[42:43]
	ds_bpermute_b32 v30, v35, v13
	ds_bpermute_b32 v31, v35, v14
	;; [unrolled: 1-line block ×10, first 2 shown]
	s_and_b32 exec_lo, exec_lo, vcc_lo
	s_cbranch_execz .LBB136_8
; %bb.36:
	s_wait_dscnt 0x6
	v_add_f64_e32 v[28:29], v[28:29], v[40:41]
	v_add_f64_e32 v[24:25], v[24:25], v[38:39]
	;; [unrolled: 1-line block ×3, first 2 shown]
	s_wait_dscnt 0x0
	v_add_f64_e32 v[17:18], v[17:18], v[34:35]
	v_add_f64_e32 v[9:10], v[9:10], v[22:23]
	;; [unrolled: 1-line block ×5, first 2 shown]
	v_cmp_eq_f64_e32 vcc_lo, 0, v[1:2]
	v_cmp_eq_f64_e64 s2, 0, v[3:4]
	s_load_b64 s[0:1], s[0:1], 0x60
	v_lshlrev_b32_e32 v21, 2, v21
	v_mul_f64_e64 v[13:14], v[28:29], -v[7:8]
	v_mul_f64_e32 v[15:16], v[5:6], v[28:29]
	v_mul_f64_e64 v[28:29], v[24:25], -v[7:8]
	v_mul_f64_e32 v[24:25], v[5:6], v[24:25]
	;; [unrolled: 2-line block ×4, first 2 shown]
	s_and_b32 s2, vcc_lo, s2
	v_fma_f64 v[17:18], v[5:6], v[9:10], v[13:14]
	v_fma_f64 v[19:20], v[7:8], v[9:10], v[15:16]
	;; [unrolled: 1-line block ×8, first 2 shown]
	s_wait_alu 0xfffe
	s_and_saveexec_b32 s3, s2
	s_wait_alu 0xfffe
	s_xor_b32 s2, exec_lo, s3
	s_cbranch_execz .LBB136_38
; %bb.37:
	v_ashrrev_i32_e32 v22, 31, v21
	s_delay_alu instid0(VALU_DEP_1) | instskip(SKIP_1) | instid1(VALU_DEP_1)
	v_lshlrev_b64_e32 v[0:1], 4, v[21:22]
                                        ; implicit-def: $vgpr21
	s_wait_kmcnt 0x0
	v_add_co_u32 v0, vcc_lo, s0, v0
	s_wait_alu 0xfffd
	s_delay_alu instid0(VALU_DEP_2)
	v_add_co_ci_u32_e64 v1, null, s1, v1, vcc_lo
	s_clause 0x3
	global_store_b128 v[0:1], v[17:20], off
	global_store_b128 v[0:1], v[13:16], off offset:16
	global_store_b128 v[0:1], v[9:12], off offset:32
	;; [unrolled: 1-line block ×3, first 2 shown]
                                        ; implicit-def: $vgpr3_vgpr4
                                        ; implicit-def: $vgpr17_vgpr18
                                        ; implicit-def: $vgpr13_vgpr14
                                        ; implicit-def: $vgpr9_vgpr10
                                        ; implicit-def: $vgpr5_vgpr6
.LBB136_38:
	s_wait_alu 0xfffe
	s_and_not1_saveexec_b32 s2, s2
	s_cbranch_execz .LBB136_8
; %bb.39:
	v_ashrrev_i32_e32 v22, 31, v21
	s_delay_alu instid0(VALU_DEP_1) | instskip(SKIP_1) | instid1(VALU_DEP_1)
	v_lshlrev_b64_e32 v[21:22], 4, v[21:22]
	s_wait_kmcnt 0x0
	v_add_co_u32 v37, vcc_lo, s0, v21
	s_wait_alu 0xfffd
	s_delay_alu instid0(VALU_DEP_2)
	v_add_co_ci_u32_e64 v38, null, s1, v22, vcc_lo
	s_clause 0x3
	global_load_b128 v[21:24], v[37:38], off
	global_load_b128 v[25:28], v[37:38], off offset:16
	global_load_b128 v[29:32], v[37:38], off offset:32
	;; [unrolled: 1-line block ×3, first 2 shown]
	s_wait_loadcnt 0x3
	v_fma_f64 v[17:18], v[1:2], v[21:22], v[17:18]
	v_fma_f64 v[19:20], v[3:4], v[21:22], v[19:20]
	s_wait_loadcnt 0x2
	v_fma_f64 v[13:14], v[1:2], v[25:26], v[13:14]
	v_fma_f64 v[15:16], v[3:4], v[25:26], v[15:16]
	;; [unrolled: 3-line block ×4, first 2 shown]
	v_fma_f64 v[5:6], -v[3:4], v[23:24], v[17:18]
	v_fma_f64 v[7:8], v[1:2], v[23:24], v[19:20]
	v_fma_f64 v[9:10], -v[3:4], v[27:28], v[13:14]
	v_fma_f64 v[11:12], v[1:2], v[27:28], v[15:16]
	;; [unrolled: 2-line block ×4, first 2 shown]
	s_clause 0x3
	global_store_b128 v[37:38], v[5:8], off
	global_store_b128 v[37:38], v[9:12], off offset:16
	global_store_b128 v[37:38], v[13:16], off offset:32
	;; [unrolled: 1-line block ×3, first 2 shown]
	s_nop 0
	s_sendmsg sendmsg(MSG_DEALLOC_VGPRS)
	s_endpgm
	.section	.rodata,"a",@progbits
	.p2align	6, 0x0
	.amdhsa_kernel _ZN9rocsparseL18bsrxmvn_4x4_kernelILj128ELj8E21rocsparse_complex_numIdEiidS2_S2_EEvT3_20rocsparse_direction_NS_24const_host_device_scalarIT1_EES3_PKS3_PKT2_SC_S9_PKT4_PKT5_S7_PT6_21rocsparse_index_base_b
		.amdhsa_group_segment_fixed_size 0
		.amdhsa_private_segment_fixed_size 0
		.amdhsa_kernarg_size 112
		.amdhsa_user_sgpr_count 2
		.amdhsa_user_sgpr_dispatch_ptr 0
		.amdhsa_user_sgpr_queue_ptr 0
		.amdhsa_user_sgpr_kernarg_segment_ptr 1
		.amdhsa_user_sgpr_dispatch_id 0
		.amdhsa_user_sgpr_private_segment_size 0
		.amdhsa_wavefront_size32 1
		.amdhsa_uses_dynamic_stack 0
		.amdhsa_enable_private_segment 0
		.amdhsa_system_sgpr_workgroup_id_x 1
		.amdhsa_system_sgpr_workgroup_id_y 0
		.amdhsa_system_sgpr_workgroup_id_z 0
		.amdhsa_system_sgpr_workgroup_info 0
		.amdhsa_system_vgpr_workitem_id 0
		.amdhsa_next_free_vgpr 114
		.amdhsa_next_free_sgpr 14
		.amdhsa_reserve_vcc 1
		.amdhsa_float_round_mode_32 0
		.amdhsa_float_round_mode_16_64 0
		.amdhsa_float_denorm_mode_32 3
		.amdhsa_float_denorm_mode_16_64 3
		.amdhsa_fp16_overflow 0
		.amdhsa_workgroup_processor_mode 1
		.amdhsa_memory_ordered 1
		.amdhsa_forward_progress 1
		.amdhsa_inst_pref_size 87
		.amdhsa_round_robin_scheduling 0
		.amdhsa_exception_fp_ieee_invalid_op 0
		.amdhsa_exception_fp_denorm_src 0
		.amdhsa_exception_fp_ieee_div_zero 0
		.amdhsa_exception_fp_ieee_overflow 0
		.amdhsa_exception_fp_ieee_underflow 0
		.amdhsa_exception_fp_ieee_inexact 0
		.amdhsa_exception_int_div_zero 0
	.end_amdhsa_kernel
	.section	.text._ZN9rocsparseL18bsrxmvn_4x4_kernelILj128ELj8E21rocsparse_complex_numIdEiidS2_S2_EEvT3_20rocsparse_direction_NS_24const_host_device_scalarIT1_EES3_PKS3_PKT2_SC_S9_PKT4_PKT5_S7_PT6_21rocsparse_index_base_b,"axG",@progbits,_ZN9rocsparseL18bsrxmvn_4x4_kernelILj128ELj8E21rocsparse_complex_numIdEiidS2_S2_EEvT3_20rocsparse_direction_NS_24const_host_device_scalarIT1_EES3_PKS3_PKT2_SC_S9_PKT4_PKT5_S7_PT6_21rocsparse_index_base_b,comdat
.Lfunc_end136:
	.size	_ZN9rocsparseL18bsrxmvn_4x4_kernelILj128ELj8E21rocsparse_complex_numIdEiidS2_S2_EEvT3_20rocsparse_direction_NS_24const_host_device_scalarIT1_EES3_PKS3_PKT2_SC_S9_PKT4_PKT5_S7_PT6_21rocsparse_index_base_b, .Lfunc_end136-_ZN9rocsparseL18bsrxmvn_4x4_kernelILj128ELj8E21rocsparse_complex_numIdEiidS2_S2_EEvT3_20rocsparse_direction_NS_24const_host_device_scalarIT1_EES3_PKS3_PKT2_SC_S9_PKT4_PKT5_S7_PT6_21rocsparse_index_base_b
                                        ; -- End function
	.set _ZN9rocsparseL18bsrxmvn_4x4_kernelILj128ELj8E21rocsparse_complex_numIdEiidS2_S2_EEvT3_20rocsparse_direction_NS_24const_host_device_scalarIT1_EES3_PKS3_PKT2_SC_S9_PKT4_PKT5_S7_PT6_21rocsparse_index_base_b.num_vgpr, 114
	.set _ZN9rocsparseL18bsrxmvn_4x4_kernelILj128ELj8E21rocsparse_complex_numIdEiidS2_S2_EEvT3_20rocsparse_direction_NS_24const_host_device_scalarIT1_EES3_PKS3_PKT2_SC_S9_PKT4_PKT5_S7_PT6_21rocsparse_index_base_b.num_agpr, 0
	.set _ZN9rocsparseL18bsrxmvn_4x4_kernelILj128ELj8E21rocsparse_complex_numIdEiidS2_S2_EEvT3_20rocsparse_direction_NS_24const_host_device_scalarIT1_EES3_PKS3_PKT2_SC_S9_PKT4_PKT5_S7_PT6_21rocsparse_index_base_b.numbered_sgpr, 14
	.set _ZN9rocsparseL18bsrxmvn_4x4_kernelILj128ELj8E21rocsparse_complex_numIdEiidS2_S2_EEvT3_20rocsparse_direction_NS_24const_host_device_scalarIT1_EES3_PKS3_PKT2_SC_S9_PKT4_PKT5_S7_PT6_21rocsparse_index_base_b.num_named_barrier, 0
	.set _ZN9rocsparseL18bsrxmvn_4x4_kernelILj128ELj8E21rocsparse_complex_numIdEiidS2_S2_EEvT3_20rocsparse_direction_NS_24const_host_device_scalarIT1_EES3_PKS3_PKT2_SC_S9_PKT4_PKT5_S7_PT6_21rocsparse_index_base_b.private_seg_size, 0
	.set _ZN9rocsparseL18bsrxmvn_4x4_kernelILj128ELj8E21rocsparse_complex_numIdEiidS2_S2_EEvT3_20rocsparse_direction_NS_24const_host_device_scalarIT1_EES3_PKS3_PKT2_SC_S9_PKT4_PKT5_S7_PT6_21rocsparse_index_base_b.uses_vcc, 1
	.set _ZN9rocsparseL18bsrxmvn_4x4_kernelILj128ELj8E21rocsparse_complex_numIdEiidS2_S2_EEvT3_20rocsparse_direction_NS_24const_host_device_scalarIT1_EES3_PKS3_PKT2_SC_S9_PKT4_PKT5_S7_PT6_21rocsparse_index_base_b.uses_flat_scratch, 0
	.set _ZN9rocsparseL18bsrxmvn_4x4_kernelILj128ELj8E21rocsparse_complex_numIdEiidS2_S2_EEvT3_20rocsparse_direction_NS_24const_host_device_scalarIT1_EES3_PKS3_PKT2_SC_S9_PKT4_PKT5_S7_PT6_21rocsparse_index_base_b.has_dyn_sized_stack, 0
	.set _ZN9rocsparseL18bsrxmvn_4x4_kernelILj128ELj8E21rocsparse_complex_numIdEiidS2_S2_EEvT3_20rocsparse_direction_NS_24const_host_device_scalarIT1_EES3_PKS3_PKT2_SC_S9_PKT4_PKT5_S7_PT6_21rocsparse_index_base_b.has_recursion, 0
	.set _ZN9rocsparseL18bsrxmvn_4x4_kernelILj128ELj8E21rocsparse_complex_numIdEiidS2_S2_EEvT3_20rocsparse_direction_NS_24const_host_device_scalarIT1_EES3_PKS3_PKT2_SC_S9_PKT4_PKT5_S7_PT6_21rocsparse_index_base_b.has_indirect_call, 0
	.section	.AMDGPU.csdata,"",@progbits
; Kernel info:
; codeLenInByte = 11044
; TotalNumSgprs: 16
; NumVgprs: 114
; ScratchSize: 0
; MemoryBound: 0
; FloatMode: 240
; IeeeMode: 1
; LDSByteSize: 0 bytes/workgroup (compile time only)
; SGPRBlocks: 0
; VGPRBlocks: 14
; NumSGPRsForWavesPerEU: 16
; NumVGPRsForWavesPerEU: 114
; Occupancy: 12
; WaveLimiterHint : 1
; COMPUTE_PGM_RSRC2:SCRATCH_EN: 0
; COMPUTE_PGM_RSRC2:USER_SGPR: 2
; COMPUTE_PGM_RSRC2:TRAP_HANDLER: 0
; COMPUTE_PGM_RSRC2:TGID_X_EN: 1
; COMPUTE_PGM_RSRC2:TGID_Y_EN: 0
; COMPUTE_PGM_RSRC2:TGID_Z_EN: 0
; COMPUTE_PGM_RSRC2:TIDIG_COMP_CNT: 0
	.section	.text._ZN9rocsparseL18bsrxmvn_4x4_kernelILj128ELj16E21rocsparse_complex_numIdEiidS2_S2_EEvT3_20rocsparse_direction_NS_24const_host_device_scalarIT1_EES3_PKS3_PKT2_SC_S9_PKT4_PKT5_S7_PT6_21rocsparse_index_base_b,"axG",@progbits,_ZN9rocsparseL18bsrxmvn_4x4_kernelILj128ELj16E21rocsparse_complex_numIdEiidS2_S2_EEvT3_20rocsparse_direction_NS_24const_host_device_scalarIT1_EES3_PKS3_PKT2_SC_S9_PKT4_PKT5_S7_PT6_21rocsparse_index_base_b,comdat
	.globl	_ZN9rocsparseL18bsrxmvn_4x4_kernelILj128ELj16E21rocsparse_complex_numIdEiidS2_S2_EEvT3_20rocsparse_direction_NS_24const_host_device_scalarIT1_EES3_PKS3_PKT2_SC_S9_PKT4_PKT5_S7_PT6_21rocsparse_index_base_b ; -- Begin function _ZN9rocsparseL18bsrxmvn_4x4_kernelILj128ELj16E21rocsparse_complex_numIdEiidS2_S2_EEvT3_20rocsparse_direction_NS_24const_host_device_scalarIT1_EES3_PKS3_PKT2_SC_S9_PKT4_PKT5_S7_PT6_21rocsparse_index_base_b
	.p2align	8
	.type	_ZN9rocsparseL18bsrxmvn_4x4_kernelILj128ELj16E21rocsparse_complex_numIdEiidS2_S2_EEvT3_20rocsparse_direction_NS_24const_host_device_scalarIT1_EES3_PKS3_PKT2_SC_S9_PKT4_PKT5_S7_PT6_21rocsparse_index_base_b,@function
_ZN9rocsparseL18bsrxmvn_4x4_kernelILj128ELj16E21rocsparse_complex_numIdEiidS2_S2_EEvT3_20rocsparse_direction_NS_24const_host_device_scalarIT1_EES3_PKS3_PKT2_SC_S9_PKT4_PKT5_S7_PT6_21rocsparse_index_base_b: ; @_ZN9rocsparseL18bsrxmvn_4x4_kernelILj128ELj16E21rocsparse_complex_numIdEiidS2_S2_EEvT3_20rocsparse_direction_NS_24const_host_device_scalarIT1_EES3_PKS3_PKT2_SC_S9_PKT4_PKT5_S7_PT6_21rocsparse_index_base_b
; %bb.0:
	s_clause 0x1
	s_load_b64 s[12:13], s[0:1], 0x68
	s_load_b64 s[2:3], s[0:1], 0x8
	s_add_nc_u64 s[4:5], s[0:1], 8
	s_load_b64 s[6:7], s[0:1], 0x50
	s_wait_kmcnt 0x0
	s_bitcmp1_b32 s13, 0
	s_cselect_b32 s2, s4, s2
	s_cselect_b32 s3, s5, s3
	s_delay_alu instid0(SALU_CYCLE_1)
	v_dual_mov_b32 v1, s2 :: v_dual_mov_b32 v2, s3
	s_add_nc_u64 s[2:3], s[0:1], 0x50
	s_wait_alu 0xfffe
	s_cselect_b32 s2, s2, s6
	s_cselect_b32 s3, s3, s7
	flat_load_b128 v[5:8], v[1:2]
	s_wait_alu 0xfffe
	v_dual_mov_b32 v1, s2 :: v_dual_mov_b32 v2, s3
	flat_load_b128 v[1:4], v[1:2]
	s_wait_loadcnt_dscnt 0x101
	v_cmp_eq_f64_e32 vcc_lo, 0, v[5:6]
	v_cmp_eq_f64_e64 s2, 0, v[7:8]
	s_and_b32 s4, vcc_lo, s2
	s_mov_b32 s2, -1
	s_and_saveexec_b32 s3, s4
	s_cbranch_execz .LBB137_2
; %bb.1:
	s_wait_loadcnt_dscnt 0x0
	v_cmp_neq_f64_e32 vcc_lo, 1.0, v[1:2]
	v_cmp_neq_f64_e64 s2, 0, v[3:4]
	s_wait_alu 0xfffe
	s_or_b32 s2, vcc_lo, s2
	s_wait_alu 0xfffe
	s_or_not1_b32 s2, s2, exec_lo
.LBB137_2:
	s_wait_alu 0xfffe
	s_or_b32 exec_lo, exec_lo, s3
	s_and_saveexec_b32 s3, s2
	s_cbranch_execz .LBB137_8
; %bb.3:
	s_clause 0x1
	s_load_b64 s[4:5], s[0:1], 0x20
	s_load_b64 s[2:3], s[0:1], 0x0
	v_lshrrev_b32_e32 v9, 4, v0
	s_delay_alu instid0(VALU_DEP_1)
	v_lshl_or_b32 v21, ttmp9, 3, v9
	s_wait_kmcnt 0x0
	s_cmp_lg_u64 s[4:5], 0
	s_cbranch_scc0 .LBB137_9
; %bb.4:
	s_load_b32 s6, s[0:1], 0x18
	s_mov_b32 s7, 0
                                        ; implicit-def: $vgpr9
	s_wait_kmcnt 0x0
	v_cmp_gt_i32_e32 vcc_lo, s6, v21
	s_mov_b32 s6, 0
	s_and_saveexec_b32 s8, vcc_lo
	s_delay_alu instid0(SALU_CYCLE_1)
	s_xor_b32 s8, exec_lo, s8
	s_cbranch_execz .LBB137_6
; %bb.5:
	v_ashrrev_i32_e32 v22, 31, v21
	s_mov_b32 s6, exec_lo
	s_delay_alu instid0(VALU_DEP_1) | instskip(NEXT) | instid1(VALU_DEP_1)
	v_lshlrev_b64_e32 v[9:10], 2, v[21:22]
	v_add_co_u32 v9, vcc_lo, s4, v9
	s_delay_alu instid0(VALU_DEP_1)
	v_add_co_ci_u32_e64 v10, null, s5, v10, vcc_lo
	global_load_b32 v9, v[9:10], off
	s_wait_loadcnt 0x0
	v_subrev_nc_u32_e32 v9, s12, v9
.LBB137_6:
	s_or_b32 exec_lo, exec_lo, s8
	s_delay_alu instid0(SALU_CYCLE_1)
	s_and_b32 vcc_lo, exec_lo, s7
	s_wait_alu 0xfffe
	s_cbranch_vccz .LBB137_10
.LBB137_7:
	v_cmp_gt_i32_e32 vcc_lo, s2, v21
	s_and_not1_b32 s2, s6, exec_lo
	s_and_b32 s4, vcc_lo, exec_lo
	s_wait_alu 0xfffe
	s_or_b32 s6, s2, s4
	s_wait_alu 0xfffe
	s_and_b32 exec_lo, exec_lo, s6
	s_cbranch_execnz .LBB137_11
.LBB137_8:
	s_nop 0
	s_sendmsg sendmsg(MSG_DEALLOC_VGPRS)
	s_endpgm
.LBB137_9:
	s_mov_b32 s6, 0
                                        ; implicit-def: $vgpr9
	s_cbranch_execnz .LBB137_7
.LBB137_10:
	v_mov_b32_e32 v21, v9
	s_and_b32 exec_lo, exec_lo, s6
	s_cbranch_execz .LBB137_8
.LBB137_11:
	s_load_b256 s[4:11], s[0:1], 0x28
	s_delay_alu instid0(VALU_DEP_1) | instskip(SKIP_1) | instid1(VALU_DEP_2)
	v_ashrrev_i32_e32 v22, 31, v21
	v_and_b32_e32 v0, 15, v0
	v_lshlrev_b64_e32 v[9:10], 2, v[21:22]
	s_wait_kmcnt 0x0
	s_delay_alu instid0(VALU_DEP_1) | instskip(SKIP_1) | instid1(VALU_DEP_2)
	v_add_co_u32 v11, vcc_lo, s4, v9
	s_wait_alu 0xfffd
	v_add_co_ci_u32_e64 v12, null, s5, v10, vcc_lo
	v_add_co_u32 v9, vcc_lo, s6, v9
	s_wait_alu 0xfffd
	v_add_co_ci_u32_e64 v10, null, s7, v10, vcc_lo
	global_load_b32 v37, v[11:12], off
	v_add_co_u32 v11, vcc_lo, v11, 4
	s_wait_alu 0xfffd
	v_add_co_ci_u32_e64 v12, null, 0, v12, vcc_lo
	s_cmp_eq_u64 s[6:7], 0
	s_load_b64 s[4:5], s[0:1], 0x48
	s_cselect_b32 vcc_lo, -1, 0
	s_cmp_eq_u32 s3, 1
	s_wait_alu 0xfffe
	v_dual_cndmask_b32 v10, v10, v12 :: v_dual_cndmask_b32 v9, v9, v11
	global_load_b32 v13, v[9:10], off
	s_wait_loadcnt 0x1
	v_subrev_nc_u32_e32 v9, s12, v37
	s_delay_alu instid0(VALU_DEP_1) | instskip(NEXT) | instid1(VALU_DEP_1)
	v_add_nc_u32_e32 v9, v9, v0
	v_ashrrev_i32_e32 v10, 31, v9
	s_wait_loadcnt 0x0
	v_subrev_nc_u32_e32 v36, s12, v13
	s_delay_alu instid0(VALU_DEP_2) | instskip(NEXT) | instid1(VALU_DEP_2)
	v_lshlrev_b64_e32 v[11:12], 7, v[9:10]
	v_cmp_lt_i32_e64 s2, v9, v36
	s_delay_alu instid0(VALU_DEP_2) | instskip(SKIP_1) | instid1(VALU_DEP_3)
	v_add_co_u32 v11, vcc_lo, s10, v11
	s_wait_alu 0xfffd
	v_add_co_ci_u32_e64 v12, null, s11, v12, vcc_lo
	s_cbranch_scc1 .LBB137_23
; %bb.12:
	v_dual_mov_b32 v26, 0 :: v_dual_mov_b32 v15, 0
	v_dual_mov_b32 v17, 0 :: v_dual_mov_b32 v24, 0
	;; [unrolled: 1-line block ×8, first 2 shown]
	s_and_saveexec_b32 s6, s2
	s_cbranch_execz .LBB137_22
; %bb.13:
	v_add_nc_u32_e32 v10, v37, v0
	v_not_b32_e32 v13, v37
	v_mov_b32_e32 v22, 0
	v_mov_b32_e32 v28, 0
	v_dual_mov_b32 v26, 0 :: v_dual_mov_b32 v33, v12
	v_subrev_nc_u32_e32 v10, s12, v10
	v_dual_mov_b32 v24, 0 :: v_dual_mov_b32 v29, 0
	v_mov_b32_e32 v25, 0
	s_delay_alu instid0(VALU_DEP_3) | instskip(SKIP_2) | instid1(VALU_DEP_3)
	v_dual_mov_b32 v15, 0 :: v_dual_add_nc_u32 v10, 16, v10
	v_dual_mov_b32 v16, 0 :: v_dual_mov_b32 v19, 0
	v_dual_mov_b32 v20, 0 :: v_dual_mov_b32 v27, 0
	v_max_i32_e32 v10, v10, v36
	v_dual_mov_b32 v32, v11 :: v_dual_mov_b32 v23, 0
	v_mov_b32_e32 v17, 0
	v_mov_b32_e32 v18, 0
	s_delay_alu instid0(VALU_DEP_4) | instskip(SKIP_2) | instid1(VALU_DEP_3)
	v_add3_u32 v10, s12, v10, v13
	v_mov_b32_e32 v13, 0
	v_mov_b32_e32 v14, 0
	v_sub_nc_u32_e32 v10, v10, v0
	s_delay_alu instid0(VALU_DEP_1) | instskip(NEXT) | instid1(VALU_DEP_1)
	v_and_b32_e32 v30, 48, v10
	v_cmp_ne_u32_e32 vcc_lo, 48, v30
	v_mov_b32_e32 v30, v9
	s_and_saveexec_b32 s3, vcc_lo
	s_cbranch_execz .LBB137_17
; %bb.14:
	v_lshrrev_b32_e32 v13, 4, v10
	v_dual_mov_b32 v17, 0 :: v_dual_mov_b32 v30, v9
	v_mov_b32_e32 v18, 0
	s_delay_alu instid0(VALU_DEP_3) | instskip(SKIP_2) | instid1(VALU_DEP_3)
	v_dual_mov_b32 v24, 0 :: v_dual_add_nc_u32 v13, 1, v13
	v_dual_mov_b32 v28, 0 :: v_dual_mov_b32 v25, 0
	v_dual_mov_b32 v26, 0 :: v_dual_mov_b32 v19, 0
	v_dual_mov_b32 v22, 0 :: v_dual_and_b32 v31, 3, v13
	v_mov_b32_e32 v15, 0
	v_mov_b32_e32 v13, 0
	;; [unrolled: 1-line block ×4, first 2 shown]
	v_dual_mov_b32 v29, 0 :: v_dual_mov_b32 v20, 0
	v_dual_mov_b32 v23, 0 :: v_dual_mov_b32 v16, 0
	v_mov_b32_e32 v14, 0
	v_sub_nc_u32_e32 v34, 0, v31
	v_mov_b32_e32 v32, v11
	s_mov_b32 s7, 0
.LBB137_15:                             ; =>This Inner Loop Header: Depth=1
	v_ashrrev_i32_e32 v31, 31, v30
	s_delay_alu instid0(VALU_DEP_3) | instskip(SKIP_2) | instid1(VALU_DEP_2)
	v_add_co_u32 v34, s10, v34, 1
	s_wait_alu 0xfffe
	s_or_b32 s7, s10, s7
	v_lshlrev_b64_e32 v[38:39], 2, v[30:31]
	v_add_nc_u32_e32 v30, 16, v30
	s_delay_alu instid0(VALU_DEP_2) | instskip(SKIP_1) | instid1(VALU_DEP_3)
	v_add_co_u32 v38, vcc_lo, s8, v38
	s_wait_alu 0xfffd
	v_add_co_ci_u32_e64 v39, null, s9, v39, vcc_lo
	global_load_b32 v31, v[38:39], off
	s_clause 0x7
	global_load_b128 v[38:41], v[32:33], off offset:48
	global_load_b128 v[42:45], v[32:33], off offset:32
	;; [unrolled: 1-line block ×3, first 2 shown]
	global_load_b128 v[50:53], v[32:33], off
	global_load_b128 v[54:57], v[32:33], off offset:112
	global_load_b128 v[58:61], v[32:33], off offset:96
	;; [unrolled: 1-line block ×4, first 2 shown]
	s_wait_loadcnt 0x8
	v_subrev_nc_u32_e32 v31, s12, v31
	s_delay_alu instid0(VALU_DEP_1) | instskip(NEXT) | instid1(VALU_DEP_1)
	v_lshlrev_b32_e32 v70, 2, v31
	v_ashrrev_i32_e32 v71, 31, v70
	s_delay_alu instid0(VALU_DEP_1) | instskip(SKIP_1) | instid1(VALU_DEP_1)
	v_lshlrev_b64_e32 v[70:71], 4, v[70:71]
	s_wait_kmcnt 0x0
	v_add_co_u32 v82, vcc_lo, s4, v70
	s_wait_alu 0xfffd
	s_delay_alu instid0(VALU_DEP_2)
	v_add_co_ci_u32_e64 v83, null, s5, v71, vcc_lo
	v_add_co_u32 v32, vcc_lo, 0x800, v32
	s_wait_alu 0xfffd
	v_add_co_ci_u32_e64 v33, null, 0, v33, vcc_lo
	s_clause 0x3
	global_load_b128 v[70:73], v[82:83], off
	global_load_b128 v[74:77], v[82:83], off offset:16
	global_load_b128 v[78:81], v[82:83], off offset:32
	;; [unrolled: 1-line block ×3, first 2 shown]
	s_wait_loadcnt 0x3
	v_fma_f64 v[24:25], v[50:51], v[70:71], v[24:25]
	v_fma_f64 v[17:18], v[70:71], 0, v[17:18]
	v_fma_f64 v[28:29], v[42:43], v[70:71], v[28:29]
	v_fma_f64 v[26:27], v[70:71], 0, v[26:27]
	v_fma_f64 v[22:23], v[66:67], v[70:71], v[22:23]
	v_fma_f64 v[19:20], v[70:71], 0, v[19:20]
	v_fma_f64 v[13:14], v[58:59], v[70:71], v[13:14]
	v_fma_f64 v[15:16], v[70:71], 0, v[15:16]
	v_fma_f64 v[24:25], 0x80000000, v[72:73], v[24:25]
	v_fma_f64 v[17:18], v[50:51], v[72:73], v[17:18]
	v_fma_f64 v[28:29], 0x80000000, v[72:73], v[28:29]
	v_fma_f64 v[26:27], v[42:43], v[72:73], v[26:27]
	v_fma_f64 v[22:23], 0x80000000, v[72:73], v[22:23]
	v_fma_f64 v[19:20], v[66:67], v[72:73], v[19:20]
	v_fma_f64 v[13:14], 0x80000000, v[72:73], v[13:14]
	v_fma_f64 v[15:16], v[58:59], v[72:73], v[15:16]
	s_wait_loadcnt 0x2
	v_fma_f64 v[24:25], v[52:53], v[74:75], v[24:25]
	v_fma_f64 v[17:18], v[74:75], 0, v[17:18]
	v_fma_f64 v[28:29], v[44:45], v[74:75], v[28:29]
	v_fma_f64 v[26:27], v[74:75], 0, v[26:27]
	v_fma_f64 v[22:23], v[68:69], v[74:75], v[22:23]
	v_fma_f64 v[19:20], v[74:75], 0, v[19:20]
	v_fma_f64 v[13:14], v[60:61], v[74:75], v[13:14]
	v_fma_f64 v[15:16], v[74:75], 0, v[15:16]
	v_fma_f64 v[24:25], 0x80000000, v[76:77], v[24:25]
	v_fma_f64 v[17:18], v[52:53], v[76:77], v[17:18]
	v_fma_f64 v[28:29], 0x80000000, v[76:77], v[28:29]
	v_fma_f64 v[26:27], v[44:45], v[76:77], v[26:27]
	v_fma_f64 v[22:23], 0x80000000, v[76:77], v[22:23]
	v_fma_f64 v[19:20], v[68:69], v[76:77], v[19:20]
	v_fma_f64 v[13:14], 0x80000000, v[76:77], v[13:14]
	v_fma_f64 v[15:16], v[60:61], v[76:77], v[15:16]
	;; [unrolled: 17-line block ×4, first 2 shown]
	s_wait_alu 0xfffe
	s_and_not1_b32 exec_lo, exec_lo, s7
	s_cbranch_execnz .LBB137_15
; %bb.16:
	s_or_b32 exec_lo, exec_lo, s7
.LBB137_17:
	s_wait_alu 0xfffe
	s_or_b32 exec_lo, exec_lo, s3
	s_delay_alu instid0(SALU_CYCLE_1)
	s_mov_b32 s7, exec_lo
	v_cmpx_lt_u32_e32 47, v10
	s_cbranch_execz .LBB137_21
; %bb.18:
	s_mov_b32 s10, 0
.LBB137_19:                             ; =>This Inner Loop Header: Depth=1
	v_ashrrev_i32_e32 v31, 31, v30
	s_delay_alu instid0(VALU_DEP_1) | instskip(SKIP_1) | instid1(VALU_DEP_2)
	v_lshlrev_b64_e32 v[34:35], 2, v[30:31]
	v_add_nc_u32_e32 v30, 64, v30
	v_add_co_u32 v34, vcc_lo, s8, v34
	s_wait_alu 0xfffd
	s_delay_alu instid0(VALU_DEP_3)
	v_add_co_ci_u32_e64 v35, null, s9, v35, vcc_lo
	global_load_b32 v10, v[34:35], off
	s_clause 0x3
	global_load_b128 v[38:41], v[32:33], off offset:32
	global_load_b128 v[42:45], v[32:33], off
	global_load_b128 v[46:49], v[32:33], off offset:96
	global_load_b128 v[50:53], v[32:33], off offset:64
	s_clause 0x2
	global_load_b32 v31, v[34:35], off offset:64
	global_load_b32 v112, v[34:35], off offset:128
	;; [unrolled: 1-line block ×3, first 2 shown]
	s_wait_loadcnt 0x7
	v_subrev_nc_u32_e32 v10, s12, v10
	s_delay_alu instid0(VALU_DEP_1) | instskip(SKIP_2) | instid1(VALU_DEP_2)
	v_lshlrev_b32_e32 v34, 2, v10
	s_wait_loadcnt 0x2
	v_subrev_nc_u32_e32 v10, s12, v31
	v_ashrrev_i32_e32 v35, 31, v34
	s_delay_alu instid0(VALU_DEP_1) | instskip(SKIP_1) | instid1(VALU_DEP_1)
	v_lshlrev_b64_e32 v[34:35], 4, v[34:35]
	s_wait_kmcnt 0x0
	v_add_co_u32 v34, vcc_lo, s4, v34
	s_wait_alu 0xfffd
	s_delay_alu instid0(VALU_DEP_2)
	v_add_co_ci_u32_e64 v35, null, s5, v35, vcc_lo
	s_clause 0x1
	global_load_b128 v[54:57], v[34:35], off
	global_load_b128 v[58:61], v[34:35], off offset:16
	s_clause 0x3
	global_load_b128 v[62:65], v[32:33], off offset:48
	global_load_b128 v[66:69], v[32:33], off offset:16
	;; [unrolled: 1-line block ×4, first 2 shown]
	s_clause 0x1
	global_load_b128 v[78:81], v[34:35], off offset:32
	global_load_b128 v[82:85], v[34:35], off offset:48
	s_clause 0x3
	global_load_b128 v[86:89], v[32:33], off offset:2080
	global_load_b128 v[90:93], v[32:33], off offset:2048
	;; [unrolled: 1-line block ×4, first 2 shown]
	v_lshlrev_b32_e32 v34, 2, v10
	s_wait_loadcnt 0xd
	v_subrev_nc_u32_e32 v10, s12, v112
	s_delay_alu instid0(VALU_DEP_2) | instskip(NEXT) | instid1(VALU_DEP_1)
	v_ashrrev_i32_e32 v35, 31, v34
	v_lshlrev_b64_e32 v[34:35], 4, v[34:35]
	s_delay_alu instid0(VALU_DEP_1) | instskip(SKIP_1) | instid1(VALU_DEP_2)
	v_add_co_u32 v34, vcc_lo, s4, v34
	s_wait_alu 0xfffd
	v_add_co_ci_u32_e64 v35, null, s5, v35, vcc_lo
	global_load_b128 v[102:105], v[34:35], off
	s_wait_loadcnt 0xc
	v_fma_f64 v[17:18], v[54:55], 0, v[17:18]
	v_fma_f64 v[26:27], v[54:55], 0, v[26:27]
	;; [unrolled: 1-line block ×16, first 2 shown]
	global_load_b128 v[13:16], v[34:35], off offset:16
	s_wait_loadcnt 0xc
	v_fma_f64 v[17:18], v[58:59], 0, v[17:18]
	v_fma_f64 v[26:27], v[58:59], 0, v[26:27]
	;; [unrolled: 1-line block ×16, first 2 shown]
	s_clause 0x3
	global_load_b128 v[17:20], v[32:33], off offset:2096
	global_load_b128 v[22:25], v[32:33], off offset:2064
	;; [unrolled: 1-line block ×5, first 2 shown]
	s_wait_loadcnt 0xc
	v_fma_f64 v[46:47], v[78:79], 0, v[46:47]
	v_fma_f64 v[50:51], v[78:79], 0, v[50:51]
	;; [unrolled: 1-line block ×16, first 2 shown]
	global_load_b128 v[46:49], v[34:35], off offset:48
	s_wait_loadcnt 0xc
	v_fma_f64 v[34:35], v[82:83], 0, v[66:67]
	v_fma_f64 v[66:67], v[82:83], 0, v[50:51]
	;; [unrolled: 1-line block ×8, first 2 shown]
	v_lshlrev_b32_e32 v82, 2, v10
	s_clause 0x3
	global_load_b128 v[50:53], v[32:33], off offset:4128
	global_load_b128 v[54:57], v[32:33], off offset:4096
	;; [unrolled: 1-line block ×4, first 2 shown]
	v_subrev_nc_u32_e32 v10, s12, v113
	v_ashrrev_i32_e32 v83, 31, v82
	v_fma_f64 v[34:35], v[68:69], v[84:85], v[34:35]
	v_fma_f64 v[66:67], v[64:65], v[84:85], v[66:67]
	;; [unrolled: 1-line block ×8, first 2 shown]
	v_lshlrev_b64_e32 v[62:63], 4, v[82:83]
	s_delay_alu instid0(VALU_DEP_1) | instskip(SKIP_1) | instid1(VALU_DEP_2)
	v_add_co_u32 v108, vcc_lo, s4, v62
	s_wait_alu 0xfffd
	v_add_co_ci_u32_e64 v109, null, s5, v63, vcc_lo
	global_load_b128 v[62:65], v[108:109], off
	s_wait_loadcnt 0xc
	v_fma_f64 v[34:35], v[102:103], 0, v[34:35]
	v_fma_f64 v[66:67], v[102:103], 0, v[66:67]
	;; [unrolled: 1-line block ×16, first 2 shown]
	global_load_b128 v[66:69], v[108:109], off offset:16
	s_wait_loadcnt 0xc
	v_fma_f64 v[34:35], v[13:14], 0, v[34:35]
	v_fma_f64 v[84:85], v[13:14], 0, v[84:85]
	;; [unrolled: 1-line block ×16, first 2 shown]
	s_clause 0x3
	global_load_b128 v[13:16], v[32:33], off offset:4144
	global_load_b128 v[70:73], v[32:33], off offset:4112
	;; [unrolled: 1-line block ×5, first 2 shown]
	s_wait_loadcnt 0xc
	v_fma_f64 v[34:35], v[42:43], 0, v[34:35]
	v_fma_f64 v[90:91], v[42:43], 0, v[90:91]
	;; [unrolled: 1-line block ×16, first 2 shown]
	global_load_b128 v[42:45], v[108:109], off offset:48
	s_wait_loadcnt 0xc
	v_fma_f64 v[22:23], v[46:47], 0, v[22:23]
	v_fma_f64 v[17:18], v[46:47], 0, v[17:18]
	;; [unrolled: 1-line block ×8, first 2 shown]
	v_lshlrev_b32_e32 v46, 2, v10
	s_clause 0x3
	global_load_b128 v[90:93], v[32:33], off offset:6176
	global_load_b128 v[94:97], v[32:33], off offset:6144
	;; [unrolled: 1-line block ×4, first 2 shown]
	v_ashrrev_i32_e32 v47, 31, v46
	v_fma_f64 v[22:23], v[24:25], v[48:49], v[22:23]
	v_fma_f64 v[24:25], v[19:20], v[48:49], v[17:18]
	;; [unrolled: 1-line block ×8, first 2 shown]
	v_lshlrev_b64_e32 v[17:18], 4, v[46:47]
	s_delay_alu instid0(VALU_DEP_1) | instskip(SKIP_1) | instid1(VALU_DEP_2)
	v_add_co_u32 v110, vcc_lo, s4, v17
	s_wait_alu 0xfffd
	v_add_co_ci_u32_e64 v111, null, s5, v18, vcc_lo
	v_cmp_ge_i32_e32 vcc_lo, v30, v36
	global_load_b128 v[17:20], v[110:111], off
	s_wait_alu 0xfffe
	s_or_b32 s10, vcc_lo, s10
	s_wait_loadcnt 0xc
	v_fma_f64 v[22:23], v[62:63], 0, v[22:23]
	v_fma_f64 v[24:25], v[62:63], 0, v[24:25]
	;; [unrolled: 1-line block ×16, first 2 shown]
	global_load_b128 v[22:25], v[110:111], off offset:16
	s_wait_loadcnt 0xc
	v_fma_f64 v[48:49], v[66:67], 0, v[48:49]
	v_fma_f64 v[50:51], v[66:67], 0, v[50:51]
	;; [unrolled: 1-line block ×16, first 2 shown]
	s_clause 0x3
	global_load_b128 v[38:41], v[32:33], off offset:6192
	global_load_b128 v[26:29], v[32:33], off offset:6160
	;; [unrolled: 1-line block ×5, first 2 shown]
	v_add_co_u32 v32, s3, 0x2000, v32
	s_wait_alu 0xf1ff
	v_add_co_ci_u32_e64 v33, null, 0, v33, s3
	s_wait_loadcnt 0xc
	v_fma_f64 v[62:63], v[86:87], 0, v[62:63]
	v_fma_f64 v[64:65], v[86:87], 0, v[64:65]
	;; [unrolled: 1-line block ×16, first 2 shown]
	global_load_b128 v[58:61], v[110:111], off offset:48
	s_wait_loadcnt 0xc
	v_fma_f64 v[62:63], v[42:43], 0, v[62:63]
	v_fma_f64 v[13:14], v[42:43], 0, v[13:14]
	v_fma_f64 v[74:75], v[72:73], v[42:43], v[80:81]
	v_fma_f64 v[34:35], v[15:16], v[42:43], v[34:35]
	v_fma_f64 v[64:65], v[84:85], v[42:43], v[64:65]
	v_fma_f64 v[66:67], v[42:43], 0, v[66:67]
	v_fma_f64 v[68:69], v[76:77], v[42:43], v[68:69]
	v_fma_f64 v[42:43], v[42:43], 0, v[70:71]
	v_fma_f64 v[62:63], v[72:73], v[44:45], v[62:63]
	v_fma_f64 v[13:14], v[15:16], v[44:45], v[13:14]
	v_fma_f64 v[70:71], 0x80000000, v[44:45], v[74:75]
	v_fma_f64 v[34:35], 0x80000000, v[44:45], v[34:35]
	v_fma_f64 v[15:16], 0x80000000, v[44:45], v[64:65]
	v_fma_f64 v[64:65], v[84:85], v[44:45], v[66:67]
	v_fma_f64 v[66:67], 0x80000000, v[44:45], v[68:69]
	v_fma_f64 v[42:43], v[76:77], v[44:45], v[42:43]
	s_wait_loadcnt 0x7
	v_fma_f64 v[62:63], v[17:18], 0, v[62:63]
	v_fma_f64 v[13:14], v[17:18], 0, v[13:14]
	v_fma_f64 v[44:45], v[94:95], v[17:18], v[70:71]
	v_fma_f64 v[34:35], v[90:91], v[17:18], v[34:35]
	v_fma_f64 v[15:16], v[102:103], v[17:18], v[15:16]
	v_fma_f64 v[64:65], v[17:18], 0, v[64:65]
	v_fma_f64 v[66:67], v[98:99], v[17:18], v[66:67]
	v_fma_f64 v[17:18], v[17:18], 0, v[42:43]
	v_fma_f64 v[13:14], v[90:91], v[19:20], v[13:14]
	v_fma_f64 v[42:43], 0x80000000, v[19:20], v[44:45]
	v_fma_f64 v[44:45], v[94:95], v[19:20], v[62:63]
	v_fma_f64 v[34:35], 0x80000000, v[19:20], v[34:35]
	v_fma_f64 v[15:16], 0x80000000, v[19:20], v[15:16]
	v_fma_f64 v[62:63], v[102:103], v[19:20], v[64:65]
	v_fma_f64 v[64:65], 0x80000000, v[19:20], v[66:67]
	v_fma_f64 v[17:18], v[98:99], v[19:20], v[17:18]
	;; [unrolled: 17-line block ×5, first 2 shown]
	s_wait_alu 0xfffe
	s_and_not1_b32 exec_lo, exec_lo, s10
	s_cbranch_execnz .LBB137_19
; %bb.20:
	s_or_b32 exec_lo, exec_lo, s10
.LBB137_21:
	s_wait_alu 0xfffe
	s_or_b32 exec_lo, exec_lo, s7
.LBB137_22:
	s_wait_alu 0xfffe
	s_or_b32 exec_lo, exec_lo, s6
	s_cbranch_execz .LBB137_24
	s_branch .LBB137_35
.LBB137_23:
                                        ; implicit-def: $vgpr17_vgpr18
                                        ; implicit-def: $vgpr24_vgpr25
                                        ; implicit-def: $vgpr26_vgpr27
                                        ; implicit-def: $vgpr28_vgpr29
                                        ; implicit-def: $vgpr19_vgpr20
                                        ; implicit-def: $vgpr22_vgpr23
                                        ; implicit-def: $vgpr15_vgpr16
                                        ; implicit-def: $vgpr13_vgpr14
.LBB137_24:
	v_dual_mov_b32 v26, 0 :: v_dual_mov_b32 v15, 0
	v_dual_mov_b32 v17, 0 :: v_dual_mov_b32 v24, 0
	;; [unrolled: 1-line block ×8, first 2 shown]
	s_and_saveexec_b32 s3, s2
	s_cbranch_execz .LBB137_34
; %bb.25:
	v_add_nc_u32_e32 v10, v37, v0
	v_not_b32_e32 v13, v37
	v_mov_b32_e32 v22, 0
	v_dual_mov_b32 v28, 0 :: v_dual_mov_b32 v17, 0
	s_delay_alu instid0(VALU_DEP_4) | instskip(SKIP_3) | instid1(VALU_DEP_4)
	v_subrev_nc_u32_e32 v10, s12, v10
	v_mov_b32_e32 v26, 0
	v_dual_mov_b32 v24, 0 :: v_dual_mov_b32 v29, 0
	v_mov_b32_e32 v18, 0
	v_dual_mov_b32 v15, 0 :: v_dual_add_nc_u32 v10, 16, v10
	v_dual_mov_b32 v16, 0 :: v_dual_mov_b32 v19, 0
	v_dual_mov_b32 v20, 0 :: v_dual_mov_b32 v25, 0
	s_delay_alu instid0(VALU_DEP_3) | instskip(SKIP_3) | instid1(VALU_DEP_3)
	v_max_i32_e32 v10, v10, v36
	s_mov_b32 s2, exec_lo
	v_mov_b32_e32 v23, 0
	v_mov_b32_e32 v27, 0
	v_add3_u32 v10, s12, v10, v13
	v_mov_b32_e32 v13, 0
	v_mov_b32_e32 v14, 0
	s_delay_alu instid0(VALU_DEP_3) | instskip(NEXT) | instid1(VALU_DEP_1)
	v_sub_nc_u32_e32 v30, v10, v0
	v_and_b32_e32 v10, 48, v30
	s_delay_alu instid0(VALU_DEP_1)
	v_cmpx_ne_u32_e32 48, v10
	s_cbranch_execz .LBB137_29
; %bb.26:
	v_lshrrev_b32_e32 v10, 4, v30
	v_mov_b32_e32 v24, 0
	v_mov_b32_e32 v26, 0
	;; [unrolled: 1-line block ×3, first 2 shown]
	v_dual_mov_b32 v22, 0 :: v_dual_mov_b32 v13, 0
	v_dual_mov_b32 v17, 0 :: v_dual_add_nc_u32 v10, 1, v10
	v_dual_mov_b32 v18, 0 :: v_dual_mov_b32 v25, 0
	s_delay_alu instid0(VALU_DEP_2)
	v_dual_mov_b32 v19, 0 :: v_dual_and_b32 v10, 3, v10
	v_dual_mov_b32 v20, 0 :: v_dual_mov_b32 v15, 0
	v_mov_b32_e32 v27, 0
	v_mov_b32_e32 v29, 0
	v_dual_mov_b32 v23, 0 :: v_dual_mov_b32 v16, 0
	v_mov_b32_e32 v14, 0
	v_sub_nc_u32_e32 v31, 0, v10
	s_mov_b32 s6, 0
.LBB137_27:                             ; =>This Inner Loop Header: Depth=1
	v_ashrrev_i32_e32 v10, 31, v9
	s_delay_alu instid0(VALU_DEP_2) | instskip(SKIP_2) | instid1(VALU_DEP_2)
	v_add_co_u32 v31, s7, v31, 1
	s_wait_alu 0xfffe
	s_or_b32 s6, s7, s6
	v_lshlrev_b64_e32 v[32:33], 2, v[9:10]
	v_add_nc_u32_e32 v9, 16, v9
	s_delay_alu instid0(VALU_DEP_2) | instskip(SKIP_1) | instid1(VALU_DEP_3)
	v_add_co_u32 v32, vcc_lo, s8, v32
	s_wait_alu 0xfffd
	v_add_co_ci_u32_e64 v33, null, s9, v33, vcc_lo
	global_load_b32 v10, v[32:33], off
	s_clause 0x1
	global_load_b128 v[32:35], v[11:12], off offset:16
	global_load_b128 v[37:40], v[11:12], off
	s_wait_loadcnt 0x2
	v_subrev_nc_u32_e32 v10, s12, v10
	s_delay_alu instid0(VALU_DEP_1) | instskip(NEXT) | instid1(VALU_DEP_1)
	v_lshlrev_b32_e32 v41, 2, v10
	v_ashrrev_i32_e32 v42, 31, v41
	s_delay_alu instid0(VALU_DEP_1) | instskip(SKIP_1) | instid1(VALU_DEP_1)
	v_lshlrev_b64_e32 v[41:42], 4, v[41:42]
	s_wait_kmcnt 0x0
	v_add_co_u32 v69, vcc_lo, s4, v41
	s_wait_alu 0xfffd
	s_delay_alu instid0(VALU_DEP_2)
	v_add_co_ci_u32_e64 v70, null, s5, v42, vcc_lo
	s_clause 0x1
	global_load_b128 v[41:44], v[69:70], off
	global_load_b128 v[45:48], v[69:70], off offset:16
	s_clause 0x3
	global_load_b128 v[49:52], v[11:12], off offset:32
	global_load_b128 v[53:56], v[11:12], off offset:48
	;; [unrolled: 1-line block ×4, first 2 shown]
	s_clause 0x1
	global_load_b128 v[65:68], v[69:70], off offset:32
	global_load_b128 v[69:72], v[69:70], off offset:48
	s_clause 0x1
	global_load_b128 v[73:76], v[11:12], off offset:96
	global_load_b128 v[77:80], v[11:12], off offset:112
	v_add_co_u32 v11, vcc_lo, 0x800, v11
	s_wait_alu 0xfffd
	v_add_co_ci_u32_e64 v12, null, 0, v12, vcc_lo
	s_wait_loadcnt 0x9
	v_fma_f64 v[24:25], v[37:38], v[41:42], v[24:25]
	v_fma_f64 v[17:18], v[41:42], 0, v[17:18]
	;; [unrolled: 1-line block ×16, first 2 shown]
	s_wait_loadcnt 0x7
	v_fma_f64 v[24:25], v[49:50], v[45:46], v[24:25]
	v_fma_f64 v[17:18], v[45:46], 0, v[17:18]
	v_fma_f64 v[28:29], v[51:52], v[45:46], v[28:29]
	v_fma_f64 v[26:27], v[45:46], 0, v[26:27]
	s_wait_loadcnt 0x6
	v_fma_f64 v[22:23], v[53:54], v[45:46], v[22:23]
	v_fma_f64 v[19:20], v[45:46], 0, v[19:20]
	;; [unrolled: 1-line block ×12, first 2 shown]
	s_wait_loadcnt 0x3
	v_fma_f64 v[24:25], v[61:62], v[65:66], v[24:25]
	v_fma_f64 v[17:18], v[65:66], 0, v[17:18]
	;; [unrolled: 1-line block ×16, first 2 shown]
	s_wait_loadcnt 0x1
	v_fma_f64 v[24:25], v[73:74], v[69:70], v[24:25]
	v_fma_f64 v[17:18], v[69:70], 0, v[17:18]
	;; [unrolled: 1-line block ×4, first 2 shown]
	s_wait_loadcnt 0x0
	v_fma_f64 v[22:23], v[77:78], v[69:70], v[22:23]
	v_fma_f64 v[19:20], v[69:70], 0, v[19:20]
	;; [unrolled: 1-line block ×12, first 2 shown]
	s_wait_alu 0xfffe
	s_and_not1_b32 exec_lo, exec_lo, s6
	s_cbranch_execnz .LBB137_27
; %bb.28:
	s_or_b32 exec_lo, exec_lo, s6
.LBB137_29:
	s_wait_alu 0xfffe
	s_or_b32 exec_lo, exec_lo, s2
	s_delay_alu instid0(SALU_CYCLE_1)
	s_mov_b32 s6, exec_lo
	v_cmpx_lt_u32_e32 47, v30
	s_cbranch_execz .LBB137_33
; %bb.30:
	s_mov_b32 s7, 0
.LBB137_31:                             ; =>This Inner Loop Header: Depth=1
	v_ashrrev_i32_e32 v10, 31, v9
	s_delay_alu instid0(VALU_DEP_1) | instskip(SKIP_1) | instid1(VALU_DEP_2)
	v_lshlrev_b64_e32 v[30:31], 2, v[9:10]
	v_add_nc_u32_e32 v9, 64, v9
	v_add_co_u32 v34, vcc_lo, s8, v30
	s_wait_alu 0xfffd
	s_delay_alu instid0(VALU_DEP_3)
	v_add_co_ci_u32_e64 v35, null, s9, v31, vcc_lo
	global_load_b32 v10, v[34:35], off
	s_clause 0x1
	global_load_b128 v[30:33], v[11:12], off offset:16
	global_load_b128 v[37:40], v[11:12], off
	s_clause 0x2
	global_load_b32 v89, v[34:35], off offset:64
	global_load_b32 v97, v[34:35], off offset:128
	;; [unrolled: 1-line block ×3, first 2 shown]
	s_wait_loadcnt 0x5
	v_subrev_nc_u32_e32 v10, s12, v10
	s_delay_alu instid0(VALU_DEP_1) | instskip(SKIP_2) | instid1(VALU_DEP_2)
	v_lshlrev_b32_e32 v34, 2, v10
	s_wait_loadcnt 0x2
	v_subrev_nc_u32_e32 v10, s12, v89
	v_ashrrev_i32_e32 v35, 31, v34
	s_delay_alu instid0(VALU_DEP_1) | instskip(SKIP_1) | instid1(VALU_DEP_1)
	v_lshlrev_b64_e32 v[34:35], 4, v[34:35]
	s_wait_kmcnt 0x0
	v_add_co_u32 v34, vcc_lo, s4, v34
	s_wait_alu 0xfffd
	s_delay_alu instid0(VALU_DEP_2)
	v_add_co_ci_u32_e64 v35, null, s5, v35, vcc_lo
	global_load_b128 v[41:44], v[34:35], off
	s_clause 0x1
	global_load_b128 v[45:48], v[11:12], off offset:32
	global_load_b128 v[49:52], v[11:12], off offset:48
	global_load_b128 v[53:56], v[34:35], off offset:16
	s_clause 0x1
	global_load_b128 v[57:60], v[11:12], off offset:80
	global_load_b128 v[61:64], v[11:12], off offset:64
	global_load_b128 v[65:68], v[34:35], off offset:32
	;; [unrolled: 4-line block ×3, first 2 shown]
	s_clause 0x1
	global_load_b128 v[81:84], v[11:12], off offset:2064
	global_load_b128 v[85:88], v[11:12], off offset:2048
	v_lshlrev_b32_e32 v34, 2, v10
	s_wait_loadcnt 0xd
	v_subrev_nc_u32_e32 v10, s12, v97
	s_delay_alu instid0(VALU_DEP_2) | instskip(NEXT) | instid1(VALU_DEP_2)
	v_ashrrev_i32_e32 v35, 31, v34
	v_lshlrev_b32_e32 v97, 2, v10
	s_wait_loadcnt 0xc
	v_subrev_nc_u32_e32 v10, s12, v99
	s_delay_alu instid0(VALU_DEP_3) | instskip(NEXT) | instid1(VALU_DEP_3)
	v_lshlrev_b64_e32 v[34:35], 4, v[34:35]
	v_ashrrev_i32_e32 v98, 31, v97
	s_delay_alu instid0(VALU_DEP_2) | instskip(SKIP_1) | instid1(VALU_DEP_3)
	v_add_co_u32 v34, vcc_lo, s4, v34
	s_wait_alu 0xfffd
	v_add_co_ci_u32_e64 v35, null, s5, v35, vcc_lo
	global_load_b128 v[89:92], v[34:35], off
	s_wait_loadcnt 0xc
	v_fma_f64 v[24:25], v[37:38], v[41:42], v[24:25]
	v_fma_f64 v[17:18], v[41:42], 0, v[17:18]
	v_fma_f64 v[28:29], v[39:40], v[41:42], v[28:29]
	v_fma_f64 v[26:27], v[41:42], 0, v[26:27]
	v_fma_f64 v[22:23], v[30:31], v[41:42], v[22:23]
	v_fma_f64 v[19:20], v[41:42], 0, v[19:20]
	v_fma_f64 v[13:14], v[32:33], v[41:42], v[13:14]
	v_fma_f64 v[15:16], v[41:42], 0, v[15:16]
	v_fma_f64 v[41:42], 0x80000000, v[43:44], v[24:25]
	v_fma_f64 v[37:38], v[37:38], v[43:44], v[17:18]
	v_fma_f64 v[28:29], 0x80000000, v[43:44], v[28:29]
	v_fma_f64 v[26:27], v[39:40], v[43:44], v[26:27]
	v_fma_f64 v[39:40], 0x80000000, v[43:44], v[22:23]
	v_fma_f64 v[30:31], v[30:31], v[43:44], v[19:20]
	v_fma_f64 v[93:94], 0x80000000, v[43:44], v[13:14]
	v_fma_f64 v[32:33], v[32:33], v[43:44], v[15:16]
	s_clause 0x1
	global_load_b128 v[13:16], v[11:12], off offset:2080
	global_load_b128 v[17:20], v[11:12], off offset:2096
	global_load_b128 v[22:25], v[34:35], off offset:16
	s_wait_loadcnt 0xc
	v_fma_f64 v[41:42], v[45:46], v[53:54], v[41:42]
	v_fma_f64 v[37:38], v[53:54], 0, v[37:38]
	v_fma_f64 v[28:29], v[47:48], v[53:54], v[28:29]
	v_fma_f64 v[26:27], v[53:54], 0, v[26:27]
	v_fma_f64 v[39:40], v[49:50], v[53:54], v[39:40]
	v_fma_f64 v[30:31], v[53:54], 0, v[30:31]
	v_fma_f64 v[43:44], v[51:52], v[53:54], v[93:94]
	v_fma_f64 v[32:33], v[53:54], 0, v[32:33]
	v_fma_f64 v[41:42], 0x80000000, v[55:56], v[41:42]
	v_fma_f64 v[45:46], v[45:46], v[55:56], v[37:38]
	v_fma_f64 v[53:54], 0x80000000, v[55:56], v[28:29]
	v_fma_f64 v[47:48], v[47:48], v[55:56], v[26:27]
	v_fma_f64 v[93:94], 0x80000000, v[55:56], v[39:40]
	v_fma_f64 v[49:50], v[49:50], v[55:56], v[30:31]
	v_fma_f64 v[43:44], 0x80000000, v[55:56], v[43:44]
	v_fma_f64 v[51:52], v[51:52], v[55:56], v[32:33]
	s_clause 0x1
	global_load_b128 v[26:29], v[11:12], off offset:2128
	global_load_b128 v[30:33], v[11:12], off offset:2112
	global_load_b128 v[37:40], v[34:35], off offset:32
	;; [unrolled: 21-line block ×3, first 2 shown]
	s_wait_loadcnt 0xc
	v_fma_f64 v[34:35], v[69:70], v[77:78], v[65:66]
	v_fma_f64 v[61:62], v[77:78], 0, v[61:62]
	;; [unrolled: 1-line block ×8, first 2 shown]
	s_clause 0x1
	global_load_b128 v[53:56], v[11:12], off offset:4112
	global_load_b128 v[57:60], v[11:12], off offset:4096
	v_fma_f64 v[34:35], 0x80000000, v[79:80], v[34:35]
	v_fma_f64 v[69:70], v[69:70], v[79:80], v[61:62]
	;; [unrolled: 1-line block ×8, first 2 shown]
	v_lshlrev_b64_e32 v[61:62], 4, v[97:98]
	s_delay_alu instid0(VALU_DEP_1) | instskip(SKIP_1) | instid1(VALU_DEP_2)
	v_add_co_u32 v77, vcc_lo, s4, v61
	s_wait_alu 0xfffd
	v_add_co_ci_u32_e64 v78, null, s5, v62, vcc_lo
	global_load_b128 v[61:64], v[77:78], off
	s_wait_loadcnt 0xc
	v_fma_f64 v[34:35], v[85:86], v[89:90], v[34:35]
	v_fma_f64 v[69:70], v[89:90], 0, v[69:70]
	v_fma_f64 v[65:66], v[87:88], v[89:90], v[65:66]
	v_fma_f64 v[71:72], v[89:90], 0, v[71:72]
	v_fma_f64 v[67:68], v[81:82], v[89:90], v[67:68]
	v_fma_f64 v[73:74], v[89:90], 0, v[73:74]
	v_fma_f64 v[79:80], v[83:84], v[89:90], v[93:94]
	v_fma_f64 v[75:76], v[89:90], 0, v[75:76]
	v_fma_f64 v[34:35], 0x80000000, v[91:92], v[34:35]
	v_fma_f64 v[85:86], v[85:86], v[91:92], v[69:70]
	v_fma_f64 v[89:90], 0x80000000, v[91:92], v[65:66]
	v_fma_f64 v[87:88], v[87:88], v[91:92], v[71:72]
	v_fma_f64 v[93:94], 0x80000000, v[91:92], v[67:68]
	v_fma_f64 v[81:82], v[81:82], v[91:92], v[73:74]
	v_fma_f64 v[79:80], 0x80000000, v[91:92], v[79:80]
	v_fma_f64 v[83:84], v[83:84], v[91:92], v[75:76]
	s_clause 0x1
	global_load_b128 v[65:68], v[11:12], off offset:4128
	global_load_b128 v[69:72], v[11:12], off offset:4144
	global_load_b128 v[73:76], v[77:78], off offset:16
	s_wait_loadcnt 0xc
	v_fma_f64 v[34:35], v[13:14], v[22:23], v[34:35]
	v_fma_f64 v[85:86], v[22:23], 0, v[85:86]
	v_fma_f64 v[89:90], v[15:16], v[22:23], v[89:90]
	v_fma_f64 v[87:88], v[22:23], 0, v[87:88]
	v_fma_f64 v[91:92], v[17:18], v[22:23], v[93:94]
	v_fma_f64 v[81:82], v[22:23], 0, v[81:82]
	v_fma_f64 v[79:80], v[19:20], v[22:23], v[79:80]
	v_fma_f64 v[22:23], v[22:23], 0, v[83:84]
	v_fma_f64 v[34:35], 0x80000000, v[24:25], v[34:35]
	v_fma_f64 v[83:84], v[13:14], v[24:25], v[85:86]
	v_fma_f64 v[85:86], 0x80000000, v[24:25], v[89:90]
	v_fma_f64 v[87:88], v[15:16], v[24:25], v[87:88]
	v_fma_f64 v[89:90], 0x80000000, v[24:25], v[91:92]
	v_fma_f64 v[81:82], v[17:18], v[24:25], v[81:82]
	v_fma_f64 v[79:80], 0x80000000, v[24:25], v[79:80]
	v_fma_f64 v[91:92], v[19:20], v[24:25], v[22:23]
	s_clause 0x1
	global_load_b128 v[13:16], v[11:12], off offset:4176
	global_load_b128 v[17:20], v[11:12], off offset:4160
	global_load_b128 v[22:25], v[77:78], off offset:32
	;; [unrolled: 21-line block ×3, first 2 shown]
	s_wait_loadcnt 0xc
	v_fma_f64 v[34:35], v[41:42], v[49:50], v[34:35]
	v_fma_f64 v[93:94], v[49:50], 0, v[83:84]
	;; [unrolled: 1-line block ×8, first 2 shown]
	v_lshlrev_b32_e32 v91, 2, v10
	s_clause 0x1
	global_load_b128 v[77:80], v[11:12], off offset:6160
	global_load_b128 v[81:84], v[11:12], off offset:6144
	v_ashrrev_i32_e32 v92, 31, v91
	v_fma_f64 v[34:35], 0x80000000, v[51:52], v[34:35]
	v_fma_f64 v[93:94], v[41:42], v[51:52], v[93:94]
	;; [unrolled: 1-line block ×8, first 2 shown]
	v_lshlrev_b64_e32 v[41:42], 4, v[91:92]
	s_delay_alu instid0(VALU_DEP_1) | instskip(SKIP_1) | instid1(VALU_DEP_2)
	v_add_co_u32 v91, vcc_lo, s4, v41
	s_wait_alu 0xfffd
	v_add_co_ci_u32_e64 v92, null, s5, v42, vcc_lo
	v_cmp_ge_i32_e32 vcc_lo, v9, v36
	global_load_b128 v[41:44], v[91:92], off
	s_wait_alu 0xfffe
	s_or_b32 s7, vcc_lo, s7
	s_wait_loadcnt 0xc
	v_fma_f64 v[34:35], v[57:58], v[61:62], v[34:35]
	v_fma_f64 v[49:50], v[61:62], 0, v[93:94]
	v_fma_f64 v[51:52], v[59:60], v[61:62], v[85:86]
	v_fma_f64 v[85:86], v[61:62], 0, v[87:88]
	v_fma_f64 v[87:88], v[53:54], v[61:62], v[89:90]
	v_fma_f64 v[45:46], v[61:62], 0, v[45:46]
	v_fma_f64 v[89:90], v[55:56], v[61:62], v[95:96]
	v_fma_f64 v[47:48], v[61:62], 0, v[47:48]
	v_fma_f64 v[34:35], 0x80000000, v[63:64], v[34:35]
	v_fma_f64 v[57:58], v[57:58], v[63:64], v[49:50]
	v_fma_f64 v[61:62], 0x80000000, v[63:64], v[51:52]
	v_fma_f64 v[59:60], v[59:60], v[63:64], v[85:86]
	v_fma_f64 v[85:86], 0x80000000, v[63:64], v[87:88]
	v_fma_f64 v[87:88], v[53:54], v[63:64], v[45:46]
	v_fma_f64 v[89:90], 0x80000000, v[63:64], v[89:90]
	v_fma_f64 v[63:64], v[55:56], v[63:64], v[47:48]
	s_clause 0x1
	global_load_b128 v[45:48], v[11:12], off offset:6176
	global_load_b128 v[49:52], v[11:12], off offset:6192
	global_load_b128 v[53:56], v[91:92], off offset:16
	s_wait_loadcnt 0xc
	v_fma_f64 v[34:35], v[65:66], v[73:74], v[34:35]
	v_fma_f64 v[57:58], v[73:74], 0, v[57:58]
	v_fma_f64 v[61:62], v[67:68], v[73:74], v[61:62]
	v_fma_f64 v[59:60], v[73:74], 0, v[59:60]
	v_fma_f64 v[85:86], v[69:70], v[73:74], v[85:86]
	v_fma_f64 v[87:88], v[73:74], 0, v[87:88]
	v_fma_f64 v[89:90], v[71:72], v[73:74], v[89:90]
	v_fma_f64 v[63:64], v[73:74], 0, v[63:64]
	v_fma_f64 v[34:35], 0x80000000, v[75:76], v[34:35]
	v_fma_f64 v[73:74], v[65:66], v[75:76], v[57:58]
	v_fma_f64 v[93:94], 0x80000000, v[75:76], v[61:62]
	v_fma_f64 v[95:96], v[67:68], v[75:76], v[59:60]
	v_fma_f64 v[85:86], 0x80000000, v[75:76], v[85:86]
	v_fma_f64 v[69:70], v[69:70], v[75:76], v[87:88]
	v_fma_f64 v[87:88], 0x80000000, v[75:76], v[89:90]
	v_fma_f64 v[71:72], v[71:72], v[75:76], v[63:64]
	s_clause 0x1
	global_load_b128 v[57:60], v[11:12], off offset:6224
	global_load_b128 v[61:64], v[11:12], off offset:6208
	global_load_b128 v[65:68], v[91:92], off offset:32
	;; [unrolled: 21-line block ×3, first 2 shown]
	v_add_co_u32 v11, s2, 0x2000, v11
	s_wait_alu 0xf1ff
	v_add_co_ci_u32_e64 v12, null, 0, v12, s2
	s_wait_loadcnt 0xc
	v_fma_f64 v[24:25], v[26:27], v[37:38], v[34:35]
	v_fma_f64 v[17:18], v[37:38], 0, v[17:18]
	v_fma_f64 v[34:35], v[28:29], v[37:38], v[93:94]
	v_fma_f64 v[19:20], v[37:38], 0, v[19:20]
	v_fma_f64 v[85:86], v[30:31], v[37:38], v[85:86]
	v_fma_f64 v[89:90], v[37:38], 0, v[89:90]
	v_fma_f64 v[87:88], v[32:33], v[37:38], v[87:88]
	v_fma_f64 v[22:23], v[37:38], 0, v[22:23]
	v_fma_f64 v[24:25], 0x80000000, v[39:40], v[24:25]
	v_fma_f64 v[17:18], v[26:27], v[39:40], v[17:18]
	v_fma_f64 v[26:27], 0x80000000, v[39:40], v[34:35]
	v_fma_f64 v[19:20], v[28:29], v[39:40], v[19:20]
	v_fma_f64 v[28:29], 0x80000000, v[39:40], v[85:86]
	v_fma_f64 v[30:31], v[30:31], v[39:40], v[89:90]
	v_fma_f64 v[34:35], 0x80000000, v[39:40], v[87:88]
	v_fma_f64 v[22:23], v[32:33], v[39:40], v[22:23]
	s_wait_loadcnt 0x9
	v_fma_f64 v[24:25], v[81:82], v[41:42], v[24:25]
	v_fma_f64 v[17:18], v[41:42], 0, v[17:18]
	v_fma_f64 v[26:27], v[83:84], v[41:42], v[26:27]
	v_fma_f64 v[19:20], v[41:42], 0, v[19:20]
	v_fma_f64 v[28:29], v[77:78], v[41:42], v[28:29]
	v_fma_f64 v[30:31], v[41:42], 0, v[30:31]
	v_fma_f64 v[32:33], v[79:80], v[41:42], v[34:35]
	v_fma_f64 v[22:23], v[41:42], 0, v[22:23]
	v_fma_f64 v[24:25], 0x80000000, v[43:44], v[24:25]
	v_fma_f64 v[17:18], v[81:82], v[43:44], v[17:18]
	v_fma_f64 v[26:27], 0x80000000, v[43:44], v[26:27]
	v_fma_f64 v[19:20], v[83:84], v[43:44], v[19:20]
	v_fma_f64 v[28:29], 0x80000000, v[43:44], v[28:29]
	v_fma_f64 v[30:31], v[77:78], v[43:44], v[30:31]
	v_fma_f64 v[32:33], 0x80000000, v[43:44], v[32:33]
	v_fma_f64 v[22:23], v[79:80], v[43:44], v[22:23]
	;; [unrolled: 17-line block ×5, first 2 shown]
	s_wait_alu 0xfffe
	s_and_not1_b32 exec_lo, exec_lo, s7
	s_cbranch_execnz .LBB137_31
; %bb.32:
	s_or_b32 exec_lo, exec_lo, s7
.LBB137_33:
	s_wait_alu 0xfffe
	s_or_b32 exec_lo, exec_lo, s6
.LBB137_34:
	s_wait_alu 0xfffe
	s_or_b32 exec_lo, exec_lo, s3
.LBB137_35:
	v_mbcnt_lo_u32_b32 v44, -1, 0
	s_delay_alu instid0(VALU_DEP_1) | instskip(NEXT) | instid1(VALU_DEP_1)
	v_xor_b32_e32 v9, 8, v44
	v_cmp_gt_i32_e32 vcc_lo, 32, v9
	s_wait_alu 0xfffd
	v_cndmask_b32_e32 v9, v44, v9, vcc_lo
	s_delay_alu instid0(VALU_DEP_1)
	v_lshlrev_b32_e32 v41, 2, v9
	ds_bpermute_b32 v9, v41, v24
	ds_bpermute_b32 v10, v41, v25
	ds_bpermute_b32 v32, v41, v26
	ds_bpermute_b32 v33, v41, v27
	s_wait_dscnt 0x2
	v_add_f64_e32 v[9:10], v[24:25], v[9:10]
	s_wait_dscnt 0x0
	v_add_f64_e32 v[24:25], v[26:27], v[32:33]
	v_xor_b32_e32 v26, 4, v44
	s_delay_alu instid0(VALU_DEP_1)
	v_cmp_gt_i32_e32 vcc_lo, 32, v26
	s_wait_alu 0xfffd
	v_cndmask_b32_e32 v26, v44, v26, vcc_lo
	ds_bpermute_b32 v11, v41, v17
	ds_bpermute_b32 v12, v41, v18
	ds_bpermute_b32 v30, v41, v28
	ds_bpermute_b32 v31, v41, v29
	ds_bpermute_b32 v34, v41, v22
	ds_bpermute_b32 v35, v41, v23
	ds_bpermute_b32 v36, v41, v19
	ds_bpermute_b32 v37, v41, v20
	ds_bpermute_b32 v38, v41, v13
	ds_bpermute_b32 v39, v41, v14
	ds_bpermute_b32 v40, v41, v15
	ds_bpermute_b32 v41, v41, v16
	s_wait_dscnt 0xa
	v_add_f64_e32 v[11:12], v[17:18], v[11:12]
	s_wait_dscnt 0x8
	v_add_f64_e32 v[17:18], v[28:29], v[30:31]
	;; [unrolled: 2-line block ×6, first 2 shown]
	v_lshlrev_b32_e32 v41, 2, v26
	ds_bpermute_b32 v26, v41, v9
	ds_bpermute_b32 v27, v41, v10
	;; [unrolled: 1-line block ×4, first 2 shown]
	s_wait_dscnt 0x2
	v_add_f64_e32 v[9:10], v[9:10], v[26:27]
	ds_bpermute_b32 v28, v41, v11
	ds_bpermute_b32 v29, v41, v12
	ds_bpermute_b32 v30, v41, v17
	ds_bpermute_b32 v31, v41, v18
	ds_bpermute_b32 v34, v41, v22
	ds_bpermute_b32 v35, v41, v23
	ds_bpermute_b32 v36, v41, v19
	ds_bpermute_b32 v37, v41, v20
	ds_bpermute_b32 v38, v41, v13
	ds_bpermute_b32 v39, v41, v14
	ds_bpermute_b32 v40, v41, v15
	ds_bpermute_b32 v41, v41, v16
	s_wait_dscnt 0xc
	v_add_f64_e32 v[24:25], v[24:25], v[32:33]
	s_wait_dscnt 0xa
	v_add_f64_e32 v[11:12], v[11:12], v[28:29]
	s_wait_dscnt 0x8
	v_add_f64_e32 v[17:18], v[17:18], v[30:31]
	s_wait_dscnt 0x6
	v_add_f64_e32 v[22:23], v[22:23], v[34:35]
	s_wait_dscnt 0x4
	v_add_f64_e32 v[19:20], v[19:20], v[36:37]
	s_wait_dscnt 0x2
	v_add_f64_e32 v[26:27], v[13:14], v[38:39]
	v_xor_b32_e32 v13, 2, v44
	s_wait_dscnt 0x0
	v_add_f64_e32 v[30:31], v[15:16], v[40:41]
	s_delay_alu instid0(VALU_DEP_2) | instskip(SKIP_2) | instid1(VALU_DEP_1)
	v_cmp_gt_i32_e32 vcc_lo, 32, v13
	s_wait_alu 0xfffd
	v_cndmask_b32_e32 v13, v44, v13, vcc_lo
	v_lshlrev_b32_e32 v28, 2, v13
	ds_bpermute_b32 v13, v28, v9
	ds_bpermute_b32 v14, v28, v10
	;; [unrolled: 1-line block ×16, first 2 shown]
	s_wait_dscnt 0xe
	v_add_f64_e32 v[9:10], v[9:10], v[13:14]
	s_wait_dscnt 0xc
	v_add_f64_e32 v[24:25], v[24:25], v[34:35]
	;; [unrolled: 2-line block ×5, first 2 shown]
	v_xor_b32_e32 v22, 1, v44
	s_wait_dscnt 0x4
	v_add_f64_e32 v[19:20], v[19:20], v[38:39]
	s_wait_dscnt 0x2
	v_add_f64_e32 v[15:16], v[26:27], v[40:41]
	;; [unrolled: 2-line block ×3, first 2 shown]
	v_cmp_gt_i32_e32 vcc_lo, 32, v22
	s_wait_alu 0xfffd
	v_cndmask_b32_e32 v22, v44, v22, vcc_lo
	v_cmp_eq_u32_e32 vcc_lo, 15, v0
	s_delay_alu instid0(VALU_DEP_2)
	v_lshlrev_b32_e32 v35, 2, v22
	ds_bpermute_b32 v22, v35, v9
	ds_bpermute_b32 v23, v35, v10
	;; [unrolled: 1-line block ×16, first 2 shown]
	s_and_b32 exec_lo, exec_lo, vcc_lo
	s_cbranch_execz .LBB137_8
; %bb.36:
	s_wait_dscnt 0xa
	v_add_f64_e32 v[28:29], v[28:29], v[40:41]
	v_add_f64_e32 v[24:25], v[24:25], v[38:39]
	s_wait_dscnt 0x4
	v_add_f64_e32 v[19:20], v[19:20], v[36:37]
	s_wait_dscnt 0x0
	v_add_f64_e32 v[17:18], v[17:18], v[34:35]
	v_add_f64_e32 v[9:10], v[9:10], v[22:23]
	;; [unrolled: 1-line block ×5, first 2 shown]
	v_cmp_eq_f64_e32 vcc_lo, 0, v[1:2]
	v_cmp_eq_f64_e64 s2, 0, v[3:4]
	s_load_b64 s[0:1], s[0:1], 0x60
	v_lshlrev_b32_e32 v21, 2, v21
	v_mul_f64_e64 v[13:14], v[28:29], -v[7:8]
	v_mul_f64_e32 v[15:16], v[5:6], v[28:29]
	v_mul_f64_e64 v[28:29], v[24:25], -v[7:8]
	v_mul_f64_e32 v[24:25], v[5:6], v[24:25]
	;; [unrolled: 2-line block ×4, first 2 shown]
	s_and_b32 s2, vcc_lo, s2
	v_fma_f64 v[17:18], v[5:6], v[9:10], v[13:14]
	v_fma_f64 v[19:20], v[7:8], v[9:10], v[15:16]
	v_fma_f64 v[13:14], v[5:6], v[11:12], v[28:29]
	v_fma_f64 v[15:16], v[7:8], v[11:12], v[24:25]
	v_fma_f64 v[9:10], v[5:6], v[22:23], v[30:31]
	v_fma_f64 v[11:12], v[7:8], v[22:23], v[32:33]
	v_fma_f64 v[5:6], v[5:6], v[26:27], v[34:35]
	v_fma_f64 v[7:8], v[7:8], v[26:27], v[36:37]
	s_wait_alu 0xfffe
	s_and_saveexec_b32 s3, s2
	s_wait_alu 0xfffe
	s_xor_b32 s2, exec_lo, s3
	s_cbranch_execz .LBB137_38
; %bb.37:
	v_ashrrev_i32_e32 v22, 31, v21
	s_delay_alu instid0(VALU_DEP_1) | instskip(SKIP_1) | instid1(VALU_DEP_1)
	v_lshlrev_b64_e32 v[0:1], 4, v[21:22]
                                        ; implicit-def: $vgpr21
	s_wait_kmcnt 0x0
	v_add_co_u32 v0, vcc_lo, s0, v0
	s_wait_alu 0xfffd
	s_delay_alu instid0(VALU_DEP_2)
	v_add_co_ci_u32_e64 v1, null, s1, v1, vcc_lo
	s_clause 0x3
	global_store_b128 v[0:1], v[17:20], off
	global_store_b128 v[0:1], v[13:16], off offset:16
	global_store_b128 v[0:1], v[9:12], off offset:32
	;; [unrolled: 1-line block ×3, first 2 shown]
                                        ; implicit-def: $vgpr3_vgpr4
                                        ; implicit-def: $vgpr17_vgpr18
                                        ; implicit-def: $vgpr13_vgpr14
                                        ; implicit-def: $vgpr9_vgpr10
                                        ; implicit-def: $vgpr5_vgpr6
.LBB137_38:
	s_wait_alu 0xfffe
	s_and_not1_saveexec_b32 s2, s2
	s_cbranch_execz .LBB137_8
; %bb.39:
	v_ashrrev_i32_e32 v22, 31, v21
	s_delay_alu instid0(VALU_DEP_1) | instskip(SKIP_1) | instid1(VALU_DEP_1)
	v_lshlrev_b64_e32 v[21:22], 4, v[21:22]
	s_wait_kmcnt 0x0
	v_add_co_u32 v37, vcc_lo, s0, v21
	s_wait_alu 0xfffd
	s_delay_alu instid0(VALU_DEP_2)
	v_add_co_ci_u32_e64 v38, null, s1, v22, vcc_lo
	s_clause 0x3
	global_load_b128 v[21:24], v[37:38], off
	global_load_b128 v[25:28], v[37:38], off offset:16
	global_load_b128 v[29:32], v[37:38], off offset:32
	;; [unrolled: 1-line block ×3, first 2 shown]
	s_wait_loadcnt 0x3
	v_fma_f64 v[17:18], v[1:2], v[21:22], v[17:18]
	v_fma_f64 v[19:20], v[3:4], v[21:22], v[19:20]
	s_wait_loadcnt 0x2
	v_fma_f64 v[13:14], v[1:2], v[25:26], v[13:14]
	v_fma_f64 v[15:16], v[3:4], v[25:26], v[15:16]
	;; [unrolled: 3-line block ×4, first 2 shown]
	v_fma_f64 v[5:6], -v[3:4], v[23:24], v[17:18]
	v_fma_f64 v[7:8], v[1:2], v[23:24], v[19:20]
	v_fma_f64 v[9:10], -v[3:4], v[27:28], v[13:14]
	v_fma_f64 v[11:12], v[1:2], v[27:28], v[15:16]
	;; [unrolled: 2-line block ×4, first 2 shown]
	s_clause 0x3
	global_store_b128 v[37:38], v[5:8], off
	global_store_b128 v[37:38], v[9:12], off offset:16
	global_store_b128 v[37:38], v[13:16], off offset:32
	;; [unrolled: 1-line block ×3, first 2 shown]
	s_nop 0
	s_sendmsg sendmsg(MSG_DEALLOC_VGPRS)
	s_endpgm
	.section	.rodata,"a",@progbits
	.p2align	6, 0x0
	.amdhsa_kernel _ZN9rocsparseL18bsrxmvn_4x4_kernelILj128ELj16E21rocsparse_complex_numIdEiidS2_S2_EEvT3_20rocsparse_direction_NS_24const_host_device_scalarIT1_EES3_PKS3_PKT2_SC_S9_PKT4_PKT5_S7_PT6_21rocsparse_index_base_b
		.amdhsa_group_segment_fixed_size 0
		.amdhsa_private_segment_fixed_size 0
		.amdhsa_kernarg_size 112
		.amdhsa_user_sgpr_count 2
		.amdhsa_user_sgpr_dispatch_ptr 0
		.amdhsa_user_sgpr_queue_ptr 0
		.amdhsa_user_sgpr_kernarg_segment_ptr 1
		.amdhsa_user_sgpr_dispatch_id 0
		.amdhsa_user_sgpr_private_segment_size 0
		.amdhsa_wavefront_size32 1
		.amdhsa_uses_dynamic_stack 0
		.amdhsa_enable_private_segment 0
		.amdhsa_system_sgpr_workgroup_id_x 1
		.amdhsa_system_sgpr_workgroup_id_y 0
		.amdhsa_system_sgpr_workgroup_id_z 0
		.amdhsa_system_sgpr_workgroup_info 0
		.amdhsa_system_vgpr_workitem_id 0
		.amdhsa_next_free_vgpr 114
		.amdhsa_next_free_sgpr 14
		.amdhsa_reserve_vcc 1
		.amdhsa_float_round_mode_32 0
		.amdhsa_float_round_mode_16_64 0
		.amdhsa_float_denorm_mode_32 3
		.amdhsa_float_denorm_mode_16_64 3
		.amdhsa_fp16_overflow 0
		.amdhsa_workgroup_processor_mode 1
		.amdhsa_memory_ordered 1
		.amdhsa_forward_progress 1
		.amdhsa_inst_pref_size 89
		.amdhsa_round_robin_scheduling 0
		.amdhsa_exception_fp_ieee_invalid_op 0
		.amdhsa_exception_fp_denorm_src 0
		.amdhsa_exception_fp_ieee_div_zero 0
		.amdhsa_exception_fp_ieee_overflow 0
		.amdhsa_exception_fp_ieee_underflow 0
		.amdhsa_exception_fp_ieee_inexact 0
		.amdhsa_exception_int_div_zero 0
	.end_amdhsa_kernel
	.section	.text._ZN9rocsparseL18bsrxmvn_4x4_kernelILj128ELj16E21rocsparse_complex_numIdEiidS2_S2_EEvT3_20rocsparse_direction_NS_24const_host_device_scalarIT1_EES3_PKS3_PKT2_SC_S9_PKT4_PKT5_S7_PT6_21rocsparse_index_base_b,"axG",@progbits,_ZN9rocsparseL18bsrxmvn_4x4_kernelILj128ELj16E21rocsparse_complex_numIdEiidS2_S2_EEvT3_20rocsparse_direction_NS_24const_host_device_scalarIT1_EES3_PKS3_PKT2_SC_S9_PKT4_PKT5_S7_PT6_21rocsparse_index_base_b,comdat
.Lfunc_end137:
	.size	_ZN9rocsparseL18bsrxmvn_4x4_kernelILj128ELj16E21rocsparse_complex_numIdEiidS2_S2_EEvT3_20rocsparse_direction_NS_24const_host_device_scalarIT1_EES3_PKS3_PKT2_SC_S9_PKT4_PKT5_S7_PT6_21rocsparse_index_base_b, .Lfunc_end137-_ZN9rocsparseL18bsrxmvn_4x4_kernelILj128ELj16E21rocsparse_complex_numIdEiidS2_S2_EEvT3_20rocsparse_direction_NS_24const_host_device_scalarIT1_EES3_PKS3_PKT2_SC_S9_PKT4_PKT5_S7_PT6_21rocsparse_index_base_b
                                        ; -- End function
	.set _ZN9rocsparseL18bsrxmvn_4x4_kernelILj128ELj16E21rocsparse_complex_numIdEiidS2_S2_EEvT3_20rocsparse_direction_NS_24const_host_device_scalarIT1_EES3_PKS3_PKT2_SC_S9_PKT4_PKT5_S7_PT6_21rocsparse_index_base_b.num_vgpr, 114
	.set _ZN9rocsparseL18bsrxmvn_4x4_kernelILj128ELj16E21rocsparse_complex_numIdEiidS2_S2_EEvT3_20rocsparse_direction_NS_24const_host_device_scalarIT1_EES3_PKS3_PKT2_SC_S9_PKT4_PKT5_S7_PT6_21rocsparse_index_base_b.num_agpr, 0
	.set _ZN9rocsparseL18bsrxmvn_4x4_kernelILj128ELj16E21rocsparse_complex_numIdEiidS2_S2_EEvT3_20rocsparse_direction_NS_24const_host_device_scalarIT1_EES3_PKS3_PKT2_SC_S9_PKT4_PKT5_S7_PT6_21rocsparse_index_base_b.numbered_sgpr, 14
	.set _ZN9rocsparseL18bsrxmvn_4x4_kernelILj128ELj16E21rocsparse_complex_numIdEiidS2_S2_EEvT3_20rocsparse_direction_NS_24const_host_device_scalarIT1_EES3_PKS3_PKT2_SC_S9_PKT4_PKT5_S7_PT6_21rocsparse_index_base_b.num_named_barrier, 0
	.set _ZN9rocsparseL18bsrxmvn_4x4_kernelILj128ELj16E21rocsparse_complex_numIdEiidS2_S2_EEvT3_20rocsparse_direction_NS_24const_host_device_scalarIT1_EES3_PKS3_PKT2_SC_S9_PKT4_PKT5_S7_PT6_21rocsparse_index_base_b.private_seg_size, 0
	.set _ZN9rocsparseL18bsrxmvn_4x4_kernelILj128ELj16E21rocsparse_complex_numIdEiidS2_S2_EEvT3_20rocsparse_direction_NS_24const_host_device_scalarIT1_EES3_PKS3_PKT2_SC_S9_PKT4_PKT5_S7_PT6_21rocsparse_index_base_b.uses_vcc, 1
	.set _ZN9rocsparseL18bsrxmvn_4x4_kernelILj128ELj16E21rocsparse_complex_numIdEiidS2_S2_EEvT3_20rocsparse_direction_NS_24const_host_device_scalarIT1_EES3_PKS3_PKT2_SC_S9_PKT4_PKT5_S7_PT6_21rocsparse_index_base_b.uses_flat_scratch, 0
	.set _ZN9rocsparseL18bsrxmvn_4x4_kernelILj128ELj16E21rocsparse_complex_numIdEiidS2_S2_EEvT3_20rocsparse_direction_NS_24const_host_device_scalarIT1_EES3_PKS3_PKT2_SC_S9_PKT4_PKT5_S7_PT6_21rocsparse_index_base_b.has_dyn_sized_stack, 0
	.set _ZN9rocsparseL18bsrxmvn_4x4_kernelILj128ELj16E21rocsparse_complex_numIdEiidS2_S2_EEvT3_20rocsparse_direction_NS_24const_host_device_scalarIT1_EES3_PKS3_PKT2_SC_S9_PKT4_PKT5_S7_PT6_21rocsparse_index_base_b.has_recursion, 0
	.set _ZN9rocsparseL18bsrxmvn_4x4_kernelILj128ELj16E21rocsparse_complex_numIdEiidS2_S2_EEvT3_20rocsparse_direction_NS_24const_host_device_scalarIT1_EES3_PKS3_PKT2_SC_S9_PKT4_PKT5_S7_PT6_21rocsparse_index_base_b.has_indirect_call, 0
	.section	.AMDGPU.csdata,"",@progbits
; Kernel info:
; codeLenInByte = 11268
; TotalNumSgprs: 16
; NumVgprs: 114
; ScratchSize: 0
; MemoryBound: 0
; FloatMode: 240
; IeeeMode: 1
; LDSByteSize: 0 bytes/workgroup (compile time only)
; SGPRBlocks: 0
; VGPRBlocks: 14
; NumSGPRsForWavesPerEU: 16
; NumVGPRsForWavesPerEU: 114
; Occupancy: 12
; WaveLimiterHint : 1
; COMPUTE_PGM_RSRC2:SCRATCH_EN: 0
; COMPUTE_PGM_RSRC2:USER_SGPR: 2
; COMPUTE_PGM_RSRC2:TRAP_HANDLER: 0
; COMPUTE_PGM_RSRC2:TGID_X_EN: 1
; COMPUTE_PGM_RSRC2:TGID_Y_EN: 0
; COMPUTE_PGM_RSRC2:TGID_Z_EN: 0
; COMPUTE_PGM_RSRC2:TIDIG_COMP_CNT: 0
	.section	.text._ZN9rocsparseL18bsrxmvn_4x4_kernelILj128ELj32E21rocsparse_complex_numIdEiidS2_S2_EEvT3_20rocsparse_direction_NS_24const_host_device_scalarIT1_EES3_PKS3_PKT2_SC_S9_PKT4_PKT5_S7_PT6_21rocsparse_index_base_b,"axG",@progbits,_ZN9rocsparseL18bsrxmvn_4x4_kernelILj128ELj32E21rocsparse_complex_numIdEiidS2_S2_EEvT3_20rocsparse_direction_NS_24const_host_device_scalarIT1_EES3_PKS3_PKT2_SC_S9_PKT4_PKT5_S7_PT6_21rocsparse_index_base_b,comdat
	.globl	_ZN9rocsparseL18bsrxmvn_4x4_kernelILj128ELj32E21rocsparse_complex_numIdEiidS2_S2_EEvT3_20rocsparse_direction_NS_24const_host_device_scalarIT1_EES3_PKS3_PKT2_SC_S9_PKT4_PKT5_S7_PT6_21rocsparse_index_base_b ; -- Begin function _ZN9rocsparseL18bsrxmvn_4x4_kernelILj128ELj32E21rocsparse_complex_numIdEiidS2_S2_EEvT3_20rocsparse_direction_NS_24const_host_device_scalarIT1_EES3_PKS3_PKT2_SC_S9_PKT4_PKT5_S7_PT6_21rocsparse_index_base_b
	.p2align	8
	.type	_ZN9rocsparseL18bsrxmvn_4x4_kernelILj128ELj32E21rocsparse_complex_numIdEiidS2_S2_EEvT3_20rocsparse_direction_NS_24const_host_device_scalarIT1_EES3_PKS3_PKT2_SC_S9_PKT4_PKT5_S7_PT6_21rocsparse_index_base_b,@function
_ZN9rocsparseL18bsrxmvn_4x4_kernelILj128ELj32E21rocsparse_complex_numIdEiidS2_S2_EEvT3_20rocsparse_direction_NS_24const_host_device_scalarIT1_EES3_PKS3_PKT2_SC_S9_PKT4_PKT5_S7_PT6_21rocsparse_index_base_b: ; @_ZN9rocsparseL18bsrxmvn_4x4_kernelILj128ELj32E21rocsparse_complex_numIdEiidS2_S2_EEvT3_20rocsparse_direction_NS_24const_host_device_scalarIT1_EES3_PKS3_PKT2_SC_S9_PKT4_PKT5_S7_PT6_21rocsparse_index_base_b
; %bb.0:
	s_clause 0x1
	s_load_b64 s[12:13], s[0:1], 0x68
	s_load_b64 s[2:3], s[0:1], 0x8
	s_add_nc_u64 s[4:5], s[0:1], 8
	s_load_b64 s[6:7], s[0:1], 0x50
	s_wait_kmcnt 0x0
	s_bitcmp1_b32 s13, 0
	s_cselect_b32 s2, s4, s2
	s_cselect_b32 s3, s5, s3
	s_delay_alu instid0(SALU_CYCLE_1)
	v_dual_mov_b32 v1, s2 :: v_dual_mov_b32 v2, s3
	s_add_nc_u64 s[2:3], s[0:1], 0x50
	s_wait_alu 0xfffe
	s_cselect_b32 s2, s2, s6
	s_cselect_b32 s3, s3, s7
	flat_load_b128 v[5:8], v[1:2]
	s_wait_alu 0xfffe
	v_dual_mov_b32 v1, s2 :: v_dual_mov_b32 v2, s3
	flat_load_b128 v[1:4], v[1:2]
	s_wait_loadcnt_dscnt 0x101
	v_cmp_eq_f64_e32 vcc_lo, 0, v[5:6]
	v_cmp_eq_f64_e64 s2, 0, v[7:8]
	s_and_b32 s4, vcc_lo, s2
	s_mov_b32 s2, -1
	s_and_saveexec_b32 s3, s4
	s_cbranch_execz .LBB138_2
; %bb.1:
	s_wait_loadcnt_dscnt 0x0
	v_cmp_neq_f64_e32 vcc_lo, 1.0, v[1:2]
	v_cmp_neq_f64_e64 s2, 0, v[3:4]
	s_wait_alu 0xfffe
	s_or_b32 s2, vcc_lo, s2
	s_wait_alu 0xfffe
	s_or_not1_b32 s2, s2, exec_lo
.LBB138_2:
	s_wait_alu 0xfffe
	s_or_b32 exec_lo, exec_lo, s3
	s_and_saveexec_b32 s3, s2
	s_cbranch_execz .LBB138_8
; %bb.3:
	s_clause 0x1
	s_load_b64 s[4:5], s[0:1], 0x20
	s_load_b64 s[2:3], s[0:1], 0x0
	v_lshrrev_b32_e32 v9, 5, v0
	s_delay_alu instid0(VALU_DEP_1)
	v_lshl_or_b32 v21, ttmp9, 2, v9
	s_wait_kmcnt 0x0
	s_cmp_lg_u64 s[4:5], 0
	s_cbranch_scc0 .LBB138_9
; %bb.4:
	s_load_b32 s6, s[0:1], 0x18
	s_mov_b32 s7, 0
                                        ; implicit-def: $vgpr9
	s_wait_kmcnt 0x0
	v_cmp_gt_i32_e32 vcc_lo, s6, v21
	s_mov_b32 s6, 0
	s_and_saveexec_b32 s8, vcc_lo
	s_delay_alu instid0(SALU_CYCLE_1)
	s_xor_b32 s8, exec_lo, s8
	s_cbranch_execz .LBB138_6
; %bb.5:
	v_ashrrev_i32_e32 v22, 31, v21
	s_mov_b32 s6, exec_lo
	s_delay_alu instid0(VALU_DEP_1) | instskip(NEXT) | instid1(VALU_DEP_1)
	v_lshlrev_b64_e32 v[9:10], 2, v[21:22]
	v_add_co_u32 v9, vcc_lo, s4, v9
	s_delay_alu instid0(VALU_DEP_1)
	v_add_co_ci_u32_e64 v10, null, s5, v10, vcc_lo
	global_load_b32 v9, v[9:10], off
	s_wait_loadcnt 0x0
	v_subrev_nc_u32_e32 v9, s12, v9
.LBB138_6:
	s_or_b32 exec_lo, exec_lo, s8
	s_delay_alu instid0(SALU_CYCLE_1)
	s_and_b32 vcc_lo, exec_lo, s7
	s_wait_alu 0xfffe
	s_cbranch_vccz .LBB138_10
.LBB138_7:
	v_cmp_gt_i32_e32 vcc_lo, s2, v21
	s_and_not1_b32 s2, s6, exec_lo
	s_and_b32 s4, vcc_lo, exec_lo
	s_wait_alu 0xfffe
	s_or_b32 s6, s2, s4
	s_wait_alu 0xfffe
	s_and_b32 exec_lo, exec_lo, s6
	s_cbranch_execnz .LBB138_11
.LBB138_8:
	s_nop 0
	s_sendmsg sendmsg(MSG_DEALLOC_VGPRS)
	s_endpgm
.LBB138_9:
	s_mov_b32 s6, 0
                                        ; implicit-def: $vgpr9
	s_cbranch_execnz .LBB138_7
.LBB138_10:
	v_mov_b32_e32 v21, v9
	s_and_b32 exec_lo, exec_lo, s6
	s_cbranch_execz .LBB138_8
.LBB138_11:
	s_load_b256 s[4:11], s[0:1], 0x28
	s_delay_alu instid0(VALU_DEP_1) | instskip(SKIP_1) | instid1(VALU_DEP_2)
	v_ashrrev_i32_e32 v22, 31, v21
	v_and_b32_e32 v0, 31, v0
	v_lshlrev_b64_e32 v[9:10], 2, v[21:22]
	s_wait_kmcnt 0x0
	s_delay_alu instid0(VALU_DEP_1) | instskip(SKIP_1) | instid1(VALU_DEP_2)
	v_add_co_u32 v11, vcc_lo, s4, v9
	s_wait_alu 0xfffd
	v_add_co_ci_u32_e64 v12, null, s5, v10, vcc_lo
	v_add_co_u32 v9, vcc_lo, s6, v9
	s_wait_alu 0xfffd
	v_add_co_ci_u32_e64 v10, null, s7, v10, vcc_lo
	global_load_b32 v37, v[11:12], off
	v_add_co_u32 v11, vcc_lo, v11, 4
	s_wait_alu 0xfffd
	v_add_co_ci_u32_e64 v12, null, 0, v12, vcc_lo
	s_cmp_eq_u64 s[6:7], 0
	s_load_b64 s[4:5], s[0:1], 0x48
	s_cselect_b32 vcc_lo, -1, 0
	s_cmp_eq_u32 s3, 1
	s_wait_alu 0xfffe
	v_dual_cndmask_b32 v10, v10, v12 :: v_dual_cndmask_b32 v9, v9, v11
	global_load_b32 v13, v[9:10], off
	s_wait_loadcnt 0x1
	v_subrev_nc_u32_e32 v9, s12, v37
	s_delay_alu instid0(VALU_DEP_1) | instskip(NEXT) | instid1(VALU_DEP_1)
	v_add_nc_u32_e32 v9, v9, v0
	v_ashrrev_i32_e32 v10, 31, v9
	s_wait_loadcnt 0x0
	v_subrev_nc_u32_e32 v36, s12, v13
	s_delay_alu instid0(VALU_DEP_2) | instskip(NEXT) | instid1(VALU_DEP_2)
	v_lshlrev_b64_e32 v[11:12], 7, v[9:10]
	v_cmp_lt_i32_e64 s2, v9, v36
	s_delay_alu instid0(VALU_DEP_2) | instskip(SKIP_1) | instid1(VALU_DEP_3)
	v_add_co_u32 v11, vcc_lo, s10, v11
	s_wait_alu 0xfffd
	v_add_co_ci_u32_e64 v12, null, s11, v12, vcc_lo
	s_cbranch_scc1 .LBB138_23
; %bb.12:
	v_dual_mov_b32 v26, 0 :: v_dual_mov_b32 v15, 0
	v_dual_mov_b32 v17, 0 :: v_dual_mov_b32 v24, 0
	;; [unrolled: 1-line block ×8, first 2 shown]
	s_and_saveexec_b32 s6, s2
	s_cbranch_execz .LBB138_22
; %bb.13:
	v_add_nc_u32_e32 v10, v37, v0
	v_not_b32_e32 v13, v37
	v_mov_b32_e32 v22, 0
	v_mov_b32_e32 v28, 0
	v_dual_mov_b32 v26, 0 :: v_dual_mov_b32 v33, v12
	v_subrev_nc_u32_e32 v10, s12, v10
	v_dual_mov_b32 v24, 0 :: v_dual_mov_b32 v29, 0
	v_mov_b32_e32 v25, 0
	s_delay_alu instid0(VALU_DEP_3) | instskip(SKIP_2) | instid1(VALU_DEP_3)
	v_dual_mov_b32 v15, 0 :: v_dual_add_nc_u32 v10, 32, v10
	v_dual_mov_b32 v16, 0 :: v_dual_mov_b32 v19, 0
	v_dual_mov_b32 v20, 0 :: v_dual_mov_b32 v27, 0
	v_max_i32_e32 v10, v10, v36
	v_dual_mov_b32 v32, v11 :: v_dual_mov_b32 v23, 0
	v_mov_b32_e32 v17, 0
	v_mov_b32_e32 v18, 0
	s_delay_alu instid0(VALU_DEP_4) | instskip(SKIP_2) | instid1(VALU_DEP_3)
	v_add3_u32 v10, s12, v10, v13
	v_mov_b32_e32 v13, 0
	v_mov_b32_e32 v14, 0
	v_sub_nc_u32_e32 v10, v10, v0
	s_delay_alu instid0(VALU_DEP_1) | instskip(NEXT) | instid1(VALU_DEP_1)
	v_and_b32_e32 v30, 0x60, v10
	v_cmp_ne_u32_e32 vcc_lo, 0x60, v30
	v_mov_b32_e32 v30, v9
	s_and_saveexec_b32 s3, vcc_lo
	s_cbranch_execz .LBB138_17
; %bb.14:
	v_lshrrev_b32_e32 v13, 5, v10
	v_dual_mov_b32 v17, 0 :: v_dual_mov_b32 v30, v9
	v_mov_b32_e32 v18, 0
	s_delay_alu instid0(VALU_DEP_3) | instskip(SKIP_2) | instid1(VALU_DEP_3)
	v_dual_mov_b32 v24, 0 :: v_dual_add_nc_u32 v13, 1, v13
	v_dual_mov_b32 v28, 0 :: v_dual_mov_b32 v25, 0
	v_dual_mov_b32 v26, 0 :: v_dual_mov_b32 v19, 0
	v_dual_mov_b32 v22, 0 :: v_dual_and_b32 v31, 3, v13
	v_mov_b32_e32 v15, 0
	v_mov_b32_e32 v13, 0
	;; [unrolled: 1-line block ×4, first 2 shown]
	v_dual_mov_b32 v29, 0 :: v_dual_mov_b32 v20, 0
	v_dual_mov_b32 v23, 0 :: v_dual_mov_b32 v16, 0
	v_mov_b32_e32 v14, 0
	v_sub_nc_u32_e32 v34, 0, v31
	v_mov_b32_e32 v32, v11
	s_mov_b32 s7, 0
.LBB138_15:                             ; =>This Inner Loop Header: Depth=1
	v_ashrrev_i32_e32 v31, 31, v30
	s_delay_alu instid0(VALU_DEP_3) | instskip(SKIP_2) | instid1(VALU_DEP_2)
	v_add_co_u32 v34, s10, v34, 1
	s_wait_alu 0xfffe
	s_or_b32 s7, s10, s7
	v_lshlrev_b64_e32 v[38:39], 2, v[30:31]
	v_add_nc_u32_e32 v30, 32, v30
	s_delay_alu instid0(VALU_DEP_2) | instskip(SKIP_1) | instid1(VALU_DEP_3)
	v_add_co_u32 v38, vcc_lo, s8, v38
	s_wait_alu 0xfffd
	v_add_co_ci_u32_e64 v39, null, s9, v39, vcc_lo
	global_load_b32 v31, v[38:39], off
	s_clause 0x7
	global_load_b128 v[38:41], v[32:33], off offset:48
	global_load_b128 v[42:45], v[32:33], off offset:32
	;; [unrolled: 1-line block ×3, first 2 shown]
	global_load_b128 v[50:53], v[32:33], off
	global_load_b128 v[54:57], v[32:33], off offset:112
	global_load_b128 v[58:61], v[32:33], off offset:96
	;; [unrolled: 1-line block ×4, first 2 shown]
	s_wait_loadcnt 0x8
	v_subrev_nc_u32_e32 v31, s12, v31
	s_delay_alu instid0(VALU_DEP_1) | instskip(NEXT) | instid1(VALU_DEP_1)
	v_lshlrev_b32_e32 v70, 2, v31
	v_ashrrev_i32_e32 v71, 31, v70
	s_delay_alu instid0(VALU_DEP_1) | instskip(SKIP_1) | instid1(VALU_DEP_1)
	v_lshlrev_b64_e32 v[70:71], 4, v[70:71]
	s_wait_kmcnt 0x0
	v_add_co_u32 v82, vcc_lo, s4, v70
	s_wait_alu 0xfffd
	s_delay_alu instid0(VALU_DEP_2)
	v_add_co_ci_u32_e64 v83, null, s5, v71, vcc_lo
	v_add_co_u32 v32, vcc_lo, 0x1000, v32
	s_wait_alu 0xfffd
	v_add_co_ci_u32_e64 v33, null, 0, v33, vcc_lo
	s_clause 0x3
	global_load_b128 v[70:73], v[82:83], off
	global_load_b128 v[74:77], v[82:83], off offset:16
	global_load_b128 v[78:81], v[82:83], off offset:32
	;; [unrolled: 1-line block ×3, first 2 shown]
	s_wait_loadcnt 0x3
	v_fma_f64 v[24:25], v[50:51], v[70:71], v[24:25]
	v_fma_f64 v[17:18], v[70:71], 0, v[17:18]
	v_fma_f64 v[28:29], v[42:43], v[70:71], v[28:29]
	v_fma_f64 v[26:27], v[70:71], 0, v[26:27]
	v_fma_f64 v[22:23], v[66:67], v[70:71], v[22:23]
	v_fma_f64 v[19:20], v[70:71], 0, v[19:20]
	v_fma_f64 v[13:14], v[58:59], v[70:71], v[13:14]
	v_fma_f64 v[15:16], v[70:71], 0, v[15:16]
	v_fma_f64 v[24:25], 0x80000000, v[72:73], v[24:25]
	v_fma_f64 v[17:18], v[50:51], v[72:73], v[17:18]
	v_fma_f64 v[28:29], 0x80000000, v[72:73], v[28:29]
	v_fma_f64 v[26:27], v[42:43], v[72:73], v[26:27]
	v_fma_f64 v[22:23], 0x80000000, v[72:73], v[22:23]
	v_fma_f64 v[19:20], v[66:67], v[72:73], v[19:20]
	v_fma_f64 v[13:14], 0x80000000, v[72:73], v[13:14]
	v_fma_f64 v[15:16], v[58:59], v[72:73], v[15:16]
	s_wait_loadcnt 0x2
	v_fma_f64 v[24:25], v[52:53], v[74:75], v[24:25]
	v_fma_f64 v[17:18], v[74:75], 0, v[17:18]
	v_fma_f64 v[28:29], v[44:45], v[74:75], v[28:29]
	v_fma_f64 v[26:27], v[74:75], 0, v[26:27]
	v_fma_f64 v[22:23], v[68:69], v[74:75], v[22:23]
	v_fma_f64 v[19:20], v[74:75], 0, v[19:20]
	v_fma_f64 v[13:14], v[60:61], v[74:75], v[13:14]
	v_fma_f64 v[15:16], v[74:75], 0, v[15:16]
	v_fma_f64 v[24:25], 0x80000000, v[76:77], v[24:25]
	v_fma_f64 v[17:18], v[52:53], v[76:77], v[17:18]
	v_fma_f64 v[28:29], 0x80000000, v[76:77], v[28:29]
	v_fma_f64 v[26:27], v[44:45], v[76:77], v[26:27]
	v_fma_f64 v[22:23], 0x80000000, v[76:77], v[22:23]
	v_fma_f64 v[19:20], v[68:69], v[76:77], v[19:20]
	v_fma_f64 v[13:14], 0x80000000, v[76:77], v[13:14]
	v_fma_f64 v[15:16], v[60:61], v[76:77], v[15:16]
	;; [unrolled: 17-line block ×4, first 2 shown]
	s_wait_alu 0xfffe
	s_and_not1_b32 exec_lo, exec_lo, s7
	s_cbranch_execnz .LBB138_15
; %bb.16:
	s_or_b32 exec_lo, exec_lo, s7
.LBB138_17:
	s_wait_alu 0xfffe
	s_or_b32 exec_lo, exec_lo, s3
	s_delay_alu instid0(SALU_CYCLE_1)
	s_mov_b32 s7, exec_lo
	v_cmpx_lt_u32_e32 0x5f, v10
	s_cbranch_execz .LBB138_21
; %bb.18:
	s_mov_b32 s10, 0
.LBB138_19:                             ; =>This Inner Loop Header: Depth=1
	v_ashrrev_i32_e32 v31, 31, v30
	s_delay_alu instid0(VALU_DEP_1) | instskip(SKIP_1) | instid1(VALU_DEP_2)
	v_lshlrev_b64_e32 v[34:35], 2, v[30:31]
	v_add_nc_u32_e32 v30, 0x80, v30
	v_add_co_u32 v34, vcc_lo, s8, v34
	s_wait_alu 0xfffd
	s_delay_alu instid0(VALU_DEP_3)
	v_add_co_ci_u32_e64 v35, null, s9, v35, vcc_lo
	global_load_b32 v10, v[34:35], off
	s_clause 0x3
	global_load_b128 v[38:41], v[32:33], off offset:32
	global_load_b128 v[42:45], v[32:33], off
	global_load_b128 v[46:49], v[32:33], off offset:96
	global_load_b128 v[50:53], v[32:33], off offset:64
	s_clause 0x2
	global_load_b32 v31, v[34:35], off offset:128
	global_load_b32 v112, v[34:35], off offset:256
	;; [unrolled: 1-line block ×3, first 2 shown]
	s_wait_loadcnt 0x7
	v_subrev_nc_u32_e32 v10, s12, v10
	s_delay_alu instid0(VALU_DEP_1) | instskip(SKIP_2) | instid1(VALU_DEP_2)
	v_lshlrev_b32_e32 v34, 2, v10
	s_wait_loadcnt 0x2
	v_subrev_nc_u32_e32 v10, s12, v31
	v_ashrrev_i32_e32 v35, 31, v34
	s_delay_alu instid0(VALU_DEP_1) | instskip(SKIP_1) | instid1(VALU_DEP_1)
	v_lshlrev_b64_e32 v[34:35], 4, v[34:35]
	s_wait_kmcnt 0x0
	v_add_co_u32 v34, vcc_lo, s4, v34
	s_wait_alu 0xfffd
	s_delay_alu instid0(VALU_DEP_2)
	v_add_co_ci_u32_e64 v35, null, s5, v35, vcc_lo
	s_clause 0x1
	global_load_b128 v[54:57], v[34:35], off
	global_load_b128 v[58:61], v[34:35], off offset:16
	s_clause 0x3
	global_load_b128 v[62:65], v[32:33], off offset:48
	global_load_b128 v[66:69], v[32:33], off offset:16
	global_load_b128 v[70:73], v[32:33], off offset:112
	global_load_b128 v[74:77], v[32:33], off offset:80
	s_clause 0x1
	global_load_b128 v[78:81], v[34:35], off offset:32
	global_load_b128 v[82:85], v[34:35], off offset:48
	s_clause 0x3
	global_load_b128 v[86:89], v[32:33], off offset:4128
	global_load_b128 v[90:93], v[32:33], off offset:4096
	;; [unrolled: 1-line block ×4, first 2 shown]
	v_lshlrev_b32_e32 v34, 2, v10
	s_wait_loadcnt 0xd
	v_subrev_nc_u32_e32 v10, s12, v112
	s_delay_alu instid0(VALU_DEP_2) | instskip(NEXT) | instid1(VALU_DEP_1)
	v_ashrrev_i32_e32 v35, 31, v34
	v_lshlrev_b64_e32 v[34:35], 4, v[34:35]
	s_delay_alu instid0(VALU_DEP_1) | instskip(SKIP_1) | instid1(VALU_DEP_2)
	v_add_co_u32 v34, vcc_lo, s4, v34
	s_wait_alu 0xfffd
	v_add_co_ci_u32_e64 v35, null, s5, v35, vcc_lo
	global_load_b128 v[102:105], v[34:35], off
	s_wait_loadcnt 0xc
	v_fma_f64 v[17:18], v[54:55], 0, v[17:18]
	v_fma_f64 v[26:27], v[54:55], 0, v[26:27]
	;; [unrolled: 1-line block ×16, first 2 shown]
	global_load_b128 v[13:16], v[34:35], off offset:16
	s_wait_loadcnt 0xc
	v_fma_f64 v[17:18], v[58:59], 0, v[17:18]
	v_fma_f64 v[26:27], v[58:59], 0, v[26:27]
	;; [unrolled: 1-line block ×16, first 2 shown]
	s_clause 0x3
	global_load_b128 v[17:20], v[32:33], off offset:4144
	global_load_b128 v[22:25], v[32:33], off offset:4112
	;; [unrolled: 1-line block ×5, first 2 shown]
	s_wait_loadcnt 0xc
	v_fma_f64 v[46:47], v[78:79], 0, v[46:47]
	v_fma_f64 v[50:51], v[78:79], 0, v[50:51]
	;; [unrolled: 1-line block ×16, first 2 shown]
	global_load_b128 v[46:49], v[34:35], off offset:48
	s_wait_loadcnt 0xc
	v_fma_f64 v[34:35], v[82:83], 0, v[66:67]
	v_fma_f64 v[66:67], v[82:83], 0, v[50:51]
	;; [unrolled: 1-line block ×8, first 2 shown]
	v_lshlrev_b32_e32 v82, 2, v10
	s_clause 0x3
	global_load_b128 v[50:53], v[32:33], off offset:8224
	global_load_b128 v[54:57], v[32:33], off offset:8192
	;; [unrolled: 1-line block ×4, first 2 shown]
	v_subrev_nc_u32_e32 v10, s12, v113
	v_ashrrev_i32_e32 v83, 31, v82
	v_fma_f64 v[34:35], v[68:69], v[84:85], v[34:35]
	v_fma_f64 v[66:67], v[64:65], v[84:85], v[66:67]
	;; [unrolled: 1-line block ×8, first 2 shown]
	v_lshlrev_b64_e32 v[62:63], 4, v[82:83]
	s_delay_alu instid0(VALU_DEP_1) | instskip(SKIP_1) | instid1(VALU_DEP_2)
	v_add_co_u32 v108, vcc_lo, s4, v62
	s_wait_alu 0xfffd
	v_add_co_ci_u32_e64 v109, null, s5, v63, vcc_lo
	global_load_b128 v[62:65], v[108:109], off
	s_wait_loadcnt 0xc
	v_fma_f64 v[34:35], v[102:103], 0, v[34:35]
	v_fma_f64 v[66:67], v[102:103], 0, v[66:67]
	;; [unrolled: 1-line block ×16, first 2 shown]
	global_load_b128 v[66:69], v[108:109], off offset:16
	s_wait_loadcnt 0xc
	v_fma_f64 v[34:35], v[13:14], 0, v[34:35]
	v_fma_f64 v[84:85], v[13:14], 0, v[84:85]
	;; [unrolled: 1-line block ×16, first 2 shown]
	s_clause 0x3
	global_load_b128 v[13:16], v[32:33], off offset:8240
	global_load_b128 v[70:73], v[32:33], off offset:8208
	;; [unrolled: 1-line block ×5, first 2 shown]
	s_wait_loadcnt 0xc
	v_fma_f64 v[34:35], v[42:43], 0, v[34:35]
	v_fma_f64 v[90:91], v[42:43], 0, v[90:91]
	;; [unrolled: 1-line block ×16, first 2 shown]
	global_load_b128 v[42:45], v[108:109], off offset:48
	s_wait_loadcnt 0xc
	v_fma_f64 v[22:23], v[46:47], 0, v[22:23]
	v_fma_f64 v[17:18], v[46:47], 0, v[17:18]
	;; [unrolled: 1-line block ×8, first 2 shown]
	v_lshlrev_b32_e32 v46, 2, v10
	s_clause 0x3
	global_load_b128 v[90:93], v[32:33], off offset:12320
	global_load_b128 v[94:97], v[32:33], off offset:12288
	;; [unrolled: 1-line block ×4, first 2 shown]
	v_ashrrev_i32_e32 v47, 31, v46
	v_fma_f64 v[22:23], v[24:25], v[48:49], v[22:23]
	v_fma_f64 v[24:25], v[19:20], v[48:49], v[17:18]
	v_fma_f64 v[34:35], 0x80000000, v[48:49], v[34:35]
	v_fma_f64 v[106:107], 0x80000000, v[48:49], v[106:107]
	v_fma_f64 v[108:109], 0x80000000, v[48:49], v[108:109]
	v_fma_f64 v[38:39], v[40:41], v[48:49], v[38:39]
	v_fma_f64 v[40:41], 0x80000000, v[48:49], v[110:111]
	v_fma_f64 v[26:27], v[28:29], v[48:49], v[26:27]
	v_lshlrev_b64_e32 v[17:18], 4, v[46:47]
	s_delay_alu instid0(VALU_DEP_1) | instskip(SKIP_1) | instid1(VALU_DEP_2)
	v_add_co_u32 v110, vcc_lo, s4, v17
	s_wait_alu 0xfffd
	v_add_co_ci_u32_e64 v111, null, s5, v18, vcc_lo
	v_cmp_ge_i32_e32 vcc_lo, v30, v36
	global_load_b128 v[17:20], v[110:111], off
	s_wait_alu 0xfffe
	s_or_b32 s10, vcc_lo, s10
	s_wait_loadcnt 0xc
	v_fma_f64 v[22:23], v[62:63], 0, v[22:23]
	v_fma_f64 v[24:25], v[62:63], 0, v[24:25]
	v_fma_f64 v[28:29], v[54:55], v[62:63], v[34:35]
	v_fma_f64 v[34:35], v[50:51], v[62:63], v[106:107]
	v_fma_f64 v[46:47], v[78:79], v[62:63], v[108:109]
	v_fma_f64 v[38:39], v[62:63], 0, v[38:39]
	v_fma_f64 v[40:41], v[58:59], v[62:63], v[40:41]
	v_fma_f64 v[26:27], v[62:63], 0, v[26:27]
	v_fma_f64 v[48:49], v[54:55], v[64:65], v[22:23]
	v_fma_f64 v[50:51], v[50:51], v[64:65], v[24:25]
	v_fma_f64 v[28:29], 0x80000000, v[64:65], v[28:29]
	v_fma_f64 v[34:35], 0x80000000, v[64:65], v[34:35]
	v_fma_f64 v[46:47], 0x80000000, v[64:65], v[46:47]
	v_fma_f64 v[38:39], v[78:79], v[64:65], v[38:39]
	v_fma_f64 v[40:41], 0x80000000, v[64:65], v[40:41]
	v_fma_f64 v[26:27], v[58:59], v[64:65], v[26:27]
	global_load_b128 v[22:25], v[110:111], off offset:16
	s_wait_loadcnt 0xc
	v_fma_f64 v[48:49], v[66:67], 0, v[48:49]
	v_fma_f64 v[50:51], v[66:67], 0, v[50:51]
	;; [unrolled: 1-line block ×16, first 2 shown]
	s_clause 0x3
	global_load_b128 v[38:41], v[32:33], off offset:12336
	global_load_b128 v[26:29], v[32:33], off offset:12304
	;; [unrolled: 1-line block ×5, first 2 shown]
	v_add_co_u32 v32, s3, 0x4000, v32
	s_wait_alu 0xf1ff
	v_add_co_ci_u32_e64 v33, null, 0, v33, s3
	s_wait_loadcnt 0xc
	v_fma_f64 v[62:63], v[86:87], 0, v[62:63]
	v_fma_f64 v[64:65], v[86:87], 0, v[64:65]
	;; [unrolled: 1-line block ×16, first 2 shown]
	global_load_b128 v[58:61], v[110:111], off offset:48
	s_wait_loadcnt 0xc
	v_fma_f64 v[62:63], v[42:43], 0, v[62:63]
	v_fma_f64 v[13:14], v[42:43], 0, v[13:14]
	v_fma_f64 v[74:75], v[72:73], v[42:43], v[80:81]
	v_fma_f64 v[34:35], v[15:16], v[42:43], v[34:35]
	v_fma_f64 v[64:65], v[84:85], v[42:43], v[64:65]
	v_fma_f64 v[66:67], v[42:43], 0, v[66:67]
	v_fma_f64 v[68:69], v[76:77], v[42:43], v[68:69]
	v_fma_f64 v[42:43], v[42:43], 0, v[70:71]
	v_fma_f64 v[62:63], v[72:73], v[44:45], v[62:63]
	v_fma_f64 v[13:14], v[15:16], v[44:45], v[13:14]
	v_fma_f64 v[70:71], 0x80000000, v[44:45], v[74:75]
	v_fma_f64 v[34:35], 0x80000000, v[44:45], v[34:35]
	v_fma_f64 v[15:16], 0x80000000, v[44:45], v[64:65]
	v_fma_f64 v[64:65], v[84:85], v[44:45], v[66:67]
	v_fma_f64 v[66:67], 0x80000000, v[44:45], v[68:69]
	v_fma_f64 v[42:43], v[76:77], v[44:45], v[42:43]
	s_wait_loadcnt 0x7
	v_fma_f64 v[62:63], v[17:18], 0, v[62:63]
	v_fma_f64 v[13:14], v[17:18], 0, v[13:14]
	v_fma_f64 v[44:45], v[94:95], v[17:18], v[70:71]
	v_fma_f64 v[34:35], v[90:91], v[17:18], v[34:35]
	v_fma_f64 v[15:16], v[102:103], v[17:18], v[15:16]
	v_fma_f64 v[64:65], v[17:18], 0, v[64:65]
	v_fma_f64 v[66:67], v[98:99], v[17:18], v[66:67]
	v_fma_f64 v[17:18], v[17:18], 0, v[42:43]
	v_fma_f64 v[13:14], v[90:91], v[19:20], v[13:14]
	v_fma_f64 v[42:43], 0x80000000, v[19:20], v[44:45]
	v_fma_f64 v[44:45], v[94:95], v[19:20], v[62:63]
	v_fma_f64 v[34:35], 0x80000000, v[19:20], v[34:35]
	v_fma_f64 v[15:16], 0x80000000, v[19:20], v[15:16]
	v_fma_f64 v[62:63], v[102:103], v[19:20], v[64:65]
	v_fma_f64 v[64:65], 0x80000000, v[19:20], v[66:67]
	v_fma_f64 v[17:18], v[98:99], v[19:20], v[17:18]
	s_wait_loadcnt 0x6
	v_fma_f64 v[13:14], v[22:23], 0, v[13:14]
	v_fma_f64 v[19:20], v[96:97], v[22:23], v[42:43]
	v_fma_f64 v[42:43], v[22:23], 0, v[44:45]
	v_fma_f64 v[34:35], v[92:93], v[22:23], v[34:35]
	v_fma_f64 v[15:16], v[104:105], v[22:23], v[15:16]
	v_fma_f64 v[44:45], v[22:23], 0, v[62:63]
	v_fma_f64 v[62:63], v[100:101], v[22:23], v[64:65]
	v_fma_f64 v[17:18], v[22:23], 0, v[17:18]
	v_fma_f64 v[13:14], v[92:93], v[24:25], v[13:14]
	v_fma_f64 v[19:20], 0x80000000, v[24:25], v[19:20]
	v_fma_f64 v[22:23], v[96:97], v[24:25], v[42:43]
	v_fma_f64 v[34:35], 0x80000000, v[24:25], v[34:35]
	v_fma_f64 v[15:16], 0x80000000, v[24:25], v[15:16]
	v_fma_f64 v[42:43], v[104:105], v[24:25], v[44:45]
	v_fma_f64 v[44:45], 0x80000000, v[24:25], v[62:63]
	v_fma_f64 v[17:18], v[100:101], v[24:25], v[17:18]
	s_wait_loadcnt 0x1
	v_fma_f64 v[13:14], v[54:55], 0, v[13:14]
	v_fma_f64 v[19:20], v[26:27], v[54:55], v[19:20]
	v_fma_f64 v[22:23], v[54:55], 0, v[22:23]
	v_fma_f64 v[24:25], v[38:39], v[54:55], v[34:35]
	v_fma_f64 v[15:16], v[50:51], v[54:55], v[15:16]
	v_fma_f64 v[34:35], v[54:55], 0, v[42:43]
	v_fma_f64 v[42:43], v[46:47], v[54:55], v[44:45]
	v_fma_f64 v[17:18], v[54:55], 0, v[17:18]
	v_fma_f64 v[13:14], v[38:39], v[56:57], v[13:14]
	v_fma_f64 v[19:20], 0x80000000, v[56:57], v[19:20]
	v_fma_f64 v[22:23], v[26:27], v[56:57], v[22:23]
	v_fma_f64 v[24:25], 0x80000000, v[56:57], v[24:25]
	v_fma_f64 v[15:16], 0x80000000, v[56:57], v[15:16]
	v_fma_f64 v[26:27], v[50:51], v[56:57], v[34:35]
	v_fma_f64 v[34:35], 0x80000000, v[56:57], v[42:43]
	v_fma_f64 v[17:18], v[46:47], v[56:57], v[17:18]
	s_wait_loadcnt 0x0
	v_fma_f64 v[13:14], v[58:59], 0, v[13:14]
	v_fma_f64 v[19:20], v[28:29], v[58:59], v[19:20]
	v_fma_f64 v[22:23], v[58:59], 0, v[22:23]
	v_fma_f64 v[38:39], v[40:41], v[58:59], v[24:25]
	v_fma_f64 v[15:16], v[52:53], v[58:59], v[15:16]
	v_fma_f64 v[42:43], v[58:59], 0, v[26:27]
	v_fma_f64 v[34:35], v[48:49], v[58:59], v[34:35]
	v_fma_f64 v[44:45], v[58:59], 0, v[17:18]
	v_fma_f64 v[26:27], v[40:41], v[60:61], v[13:14]
	v_fma_f64 v[24:25], 0x80000000, v[60:61], v[19:20]
	v_fma_f64 v[17:18], v[28:29], v[60:61], v[22:23]
	v_fma_f64 v[28:29], 0x80000000, v[60:61], v[38:39]
	v_fma_f64 v[22:23], 0x80000000, v[60:61], v[15:16]
	v_fma_f64 v[19:20], v[52:53], v[60:61], v[42:43]
	v_fma_f64 v[13:14], 0x80000000, v[60:61], v[34:35]
	v_fma_f64 v[15:16], v[48:49], v[60:61], v[44:45]
	s_wait_alu 0xfffe
	s_and_not1_b32 exec_lo, exec_lo, s10
	s_cbranch_execnz .LBB138_19
; %bb.20:
	s_or_b32 exec_lo, exec_lo, s10
.LBB138_21:
	s_wait_alu 0xfffe
	s_or_b32 exec_lo, exec_lo, s7
.LBB138_22:
	s_wait_alu 0xfffe
	s_or_b32 exec_lo, exec_lo, s6
	s_cbranch_execz .LBB138_24
	s_branch .LBB138_35
.LBB138_23:
                                        ; implicit-def: $vgpr17_vgpr18
                                        ; implicit-def: $vgpr24_vgpr25
                                        ; implicit-def: $vgpr26_vgpr27
                                        ; implicit-def: $vgpr28_vgpr29
                                        ; implicit-def: $vgpr19_vgpr20
                                        ; implicit-def: $vgpr22_vgpr23
                                        ; implicit-def: $vgpr15_vgpr16
                                        ; implicit-def: $vgpr13_vgpr14
.LBB138_24:
	v_dual_mov_b32 v26, 0 :: v_dual_mov_b32 v15, 0
	v_dual_mov_b32 v17, 0 :: v_dual_mov_b32 v24, 0
	;; [unrolled: 1-line block ×8, first 2 shown]
	s_and_saveexec_b32 s3, s2
	s_cbranch_execz .LBB138_34
; %bb.25:
	v_add_nc_u32_e32 v10, v37, v0
	v_not_b32_e32 v13, v37
	v_mov_b32_e32 v22, 0
	v_dual_mov_b32 v28, 0 :: v_dual_mov_b32 v17, 0
	s_delay_alu instid0(VALU_DEP_4) | instskip(SKIP_3) | instid1(VALU_DEP_4)
	v_subrev_nc_u32_e32 v10, s12, v10
	v_mov_b32_e32 v26, 0
	v_dual_mov_b32 v24, 0 :: v_dual_mov_b32 v29, 0
	v_mov_b32_e32 v18, 0
	v_dual_mov_b32 v15, 0 :: v_dual_add_nc_u32 v10, 32, v10
	v_dual_mov_b32 v16, 0 :: v_dual_mov_b32 v19, 0
	v_dual_mov_b32 v20, 0 :: v_dual_mov_b32 v25, 0
	s_delay_alu instid0(VALU_DEP_3) | instskip(SKIP_3) | instid1(VALU_DEP_3)
	v_max_i32_e32 v10, v10, v36
	s_mov_b32 s2, exec_lo
	v_mov_b32_e32 v23, 0
	v_mov_b32_e32 v27, 0
	v_add3_u32 v10, s12, v10, v13
	v_mov_b32_e32 v13, 0
	v_mov_b32_e32 v14, 0
	s_delay_alu instid0(VALU_DEP_3) | instskip(NEXT) | instid1(VALU_DEP_1)
	v_sub_nc_u32_e32 v30, v10, v0
	v_and_b32_e32 v10, 0x60, v30
	s_delay_alu instid0(VALU_DEP_1)
	v_cmpx_ne_u32_e32 0x60, v10
	s_cbranch_execz .LBB138_29
; %bb.26:
	v_lshrrev_b32_e32 v10, 5, v30
	v_mov_b32_e32 v24, 0
	v_mov_b32_e32 v26, 0
	;; [unrolled: 1-line block ×3, first 2 shown]
	v_dual_mov_b32 v22, 0 :: v_dual_mov_b32 v13, 0
	v_dual_mov_b32 v17, 0 :: v_dual_add_nc_u32 v10, 1, v10
	v_dual_mov_b32 v18, 0 :: v_dual_mov_b32 v25, 0
	s_delay_alu instid0(VALU_DEP_2)
	v_dual_mov_b32 v19, 0 :: v_dual_and_b32 v10, 3, v10
	v_dual_mov_b32 v20, 0 :: v_dual_mov_b32 v15, 0
	v_mov_b32_e32 v27, 0
	v_mov_b32_e32 v29, 0
	v_dual_mov_b32 v23, 0 :: v_dual_mov_b32 v16, 0
	v_mov_b32_e32 v14, 0
	v_sub_nc_u32_e32 v31, 0, v10
	s_mov_b32 s6, 0
.LBB138_27:                             ; =>This Inner Loop Header: Depth=1
	v_ashrrev_i32_e32 v10, 31, v9
	s_delay_alu instid0(VALU_DEP_2) | instskip(SKIP_2) | instid1(VALU_DEP_2)
	v_add_co_u32 v31, s7, v31, 1
	s_wait_alu 0xfffe
	s_or_b32 s6, s7, s6
	v_lshlrev_b64_e32 v[32:33], 2, v[9:10]
	v_add_nc_u32_e32 v9, 32, v9
	s_delay_alu instid0(VALU_DEP_2) | instskip(SKIP_1) | instid1(VALU_DEP_3)
	v_add_co_u32 v32, vcc_lo, s8, v32
	s_wait_alu 0xfffd
	v_add_co_ci_u32_e64 v33, null, s9, v33, vcc_lo
	global_load_b32 v10, v[32:33], off
	s_clause 0x1
	global_load_b128 v[32:35], v[11:12], off offset:16
	global_load_b128 v[37:40], v[11:12], off
	s_wait_loadcnt 0x2
	v_subrev_nc_u32_e32 v10, s12, v10
	s_delay_alu instid0(VALU_DEP_1) | instskip(NEXT) | instid1(VALU_DEP_1)
	v_lshlrev_b32_e32 v41, 2, v10
	v_ashrrev_i32_e32 v42, 31, v41
	s_delay_alu instid0(VALU_DEP_1) | instskip(SKIP_1) | instid1(VALU_DEP_1)
	v_lshlrev_b64_e32 v[41:42], 4, v[41:42]
	s_wait_kmcnt 0x0
	v_add_co_u32 v69, vcc_lo, s4, v41
	s_wait_alu 0xfffd
	s_delay_alu instid0(VALU_DEP_2)
	v_add_co_ci_u32_e64 v70, null, s5, v42, vcc_lo
	s_clause 0x1
	global_load_b128 v[41:44], v[69:70], off
	global_load_b128 v[45:48], v[69:70], off offset:16
	s_clause 0x3
	global_load_b128 v[49:52], v[11:12], off offset:32
	global_load_b128 v[53:56], v[11:12], off offset:48
	;; [unrolled: 1-line block ×4, first 2 shown]
	s_clause 0x1
	global_load_b128 v[65:68], v[69:70], off offset:32
	global_load_b128 v[69:72], v[69:70], off offset:48
	s_clause 0x1
	global_load_b128 v[73:76], v[11:12], off offset:96
	global_load_b128 v[77:80], v[11:12], off offset:112
	v_add_co_u32 v11, vcc_lo, 0x1000, v11
	s_wait_alu 0xfffd
	v_add_co_ci_u32_e64 v12, null, 0, v12, vcc_lo
	s_wait_loadcnt 0x9
	v_fma_f64 v[24:25], v[37:38], v[41:42], v[24:25]
	v_fma_f64 v[17:18], v[41:42], 0, v[17:18]
	;; [unrolled: 1-line block ×16, first 2 shown]
	s_wait_loadcnt 0x7
	v_fma_f64 v[24:25], v[49:50], v[45:46], v[24:25]
	v_fma_f64 v[17:18], v[45:46], 0, v[17:18]
	;; [unrolled: 1-line block ×4, first 2 shown]
	s_wait_loadcnt 0x6
	v_fma_f64 v[22:23], v[53:54], v[45:46], v[22:23]
	v_fma_f64 v[19:20], v[45:46], 0, v[19:20]
	;; [unrolled: 1-line block ×12, first 2 shown]
	s_wait_loadcnt 0x3
	v_fma_f64 v[24:25], v[61:62], v[65:66], v[24:25]
	v_fma_f64 v[17:18], v[65:66], 0, v[17:18]
	;; [unrolled: 1-line block ×16, first 2 shown]
	s_wait_loadcnt 0x1
	v_fma_f64 v[24:25], v[73:74], v[69:70], v[24:25]
	v_fma_f64 v[17:18], v[69:70], 0, v[17:18]
	;; [unrolled: 1-line block ×4, first 2 shown]
	s_wait_loadcnt 0x0
	v_fma_f64 v[22:23], v[77:78], v[69:70], v[22:23]
	v_fma_f64 v[19:20], v[69:70], 0, v[19:20]
	;; [unrolled: 1-line block ×12, first 2 shown]
	s_wait_alu 0xfffe
	s_and_not1_b32 exec_lo, exec_lo, s6
	s_cbranch_execnz .LBB138_27
; %bb.28:
	s_or_b32 exec_lo, exec_lo, s6
.LBB138_29:
	s_wait_alu 0xfffe
	s_or_b32 exec_lo, exec_lo, s2
	s_delay_alu instid0(SALU_CYCLE_1)
	s_mov_b32 s6, exec_lo
	v_cmpx_lt_u32_e32 0x5f, v30
	s_cbranch_execz .LBB138_33
; %bb.30:
	s_mov_b32 s7, 0
.LBB138_31:                             ; =>This Inner Loop Header: Depth=1
	v_ashrrev_i32_e32 v10, 31, v9
	s_delay_alu instid0(VALU_DEP_1) | instskip(SKIP_1) | instid1(VALU_DEP_2)
	v_lshlrev_b64_e32 v[30:31], 2, v[9:10]
	v_add_nc_u32_e32 v9, 0x80, v9
	v_add_co_u32 v34, vcc_lo, s8, v30
	s_wait_alu 0xfffd
	s_delay_alu instid0(VALU_DEP_3)
	v_add_co_ci_u32_e64 v35, null, s9, v31, vcc_lo
	global_load_b32 v10, v[34:35], off
	s_clause 0x1
	global_load_b128 v[30:33], v[11:12], off offset:16
	global_load_b128 v[37:40], v[11:12], off
	s_clause 0x2
	global_load_b32 v89, v[34:35], off offset:128
	global_load_b32 v97, v[34:35], off offset:256
	;; [unrolled: 1-line block ×3, first 2 shown]
	s_wait_loadcnt 0x5
	v_subrev_nc_u32_e32 v10, s12, v10
	s_delay_alu instid0(VALU_DEP_1) | instskip(SKIP_2) | instid1(VALU_DEP_2)
	v_lshlrev_b32_e32 v34, 2, v10
	s_wait_loadcnt 0x2
	v_subrev_nc_u32_e32 v10, s12, v89
	v_ashrrev_i32_e32 v35, 31, v34
	s_delay_alu instid0(VALU_DEP_1) | instskip(SKIP_1) | instid1(VALU_DEP_1)
	v_lshlrev_b64_e32 v[34:35], 4, v[34:35]
	s_wait_kmcnt 0x0
	v_add_co_u32 v34, vcc_lo, s4, v34
	s_wait_alu 0xfffd
	s_delay_alu instid0(VALU_DEP_2)
	v_add_co_ci_u32_e64 v35, null, s5, v35, vcc_lo
	global_load_b128 v[41:44], v[34:35], off
	s_clause 0x1
	global_load_b128 v[45:48], v[11:12], off offset:32
	global_load_b128 v[49:52], v[11:12], off offset:48
	global_load_b128 v[53:56], v[34:35], off offset:16
	s_clause 0x1
	global_load_b128 v[57:60], v[11:12], off offset:80
	global_load_b128 v[61:64], v[11:12], off offset:64
	global_load_b128 v[65:68], v[34:35], off offset:32
	;; [unrolled: 4-line block ×3, first 2 shown]
	s_clause 0x1
	global_load_b128 v[81:84], v[11:12], off offset:4112
	global_load_b128 v[85:88], v[11:12], off offset:4096
	v_lshlrev_b32_e32 v34, 2, v10
	s_wait_loadcnt 0xd
	v_subrev_nc_u32_e32 v10, s12, v97
	s_delay_alu instid0(VALU_DEP_2) | instskip(NEXT) | instid1(VALU_DEP_2)
	v_ashrrev_i32_e32 v35, 31, v34
	v_lshlrev_b32_e32 v97, 2, v10
	s_wait_loadcnt 0xc
	v_subrev_nc_u32_e32 v10, s12, v99
	s_delay_alu instid0(VALU_DEP_3) | instskip(NEXT) | instid1(VALU_DEP_3)
	v_lshlrev_b64_e32 v[34:35], 4, v[34:35]
	v_ashrrev_i32_e32 v98, 31, v97
	s_delay_alu instid0(VALU_DEP_2) | instskip(SKIP_1) | instid1(VALU_DEP_3)
	v_add_co_u32 v34, vcc_lo, s4, v34
	s_wait_alu 0xfffd
	v_add_co_ci_u32_e64 v35, null, s5, v35, vcc_lo
	global_load_b128 v[89:92], v[34:35], off
	s_wait_loadcnt 0xc
	v_fma_f64 v[24:25], v[37:38], v[41:42], v[24:25]
	v_fma_f64 v[17:18], v[41:42], 0, v[17:18]
	v_fma_f64 v[28:29], v[39:40], v[41:42], v[28:29]
	v_fma_f64 v[26:27], v[41:42], 0, v[26:27]
	v_fma_f64 v[22:23], v[30:31], v[41:42], v[22:23]
	v_fma_f64 v[19:20], v[41:42], 0, v[19:20]
	v_fma_f64 v[13:14], v[32:33], v[41:42], v[13:14]
	v_fma_f64 v[15:16], v[41:42], 0, v[15:16]
	v_fma_f64 v[41:42], 0x80000000, v[43:44], v[24:25]
	v_fma_f64 v[37:38], v[37:38], v[43:44], v[17:18]
	v_fma_f64 v[28:29], 0x80000000, v[43:44], v[28:29]
	v_fma_f64 v[26:27], v[39:40], v[43:44], v[26:27]
	v_fma_f64 v[39:40], 0x80000000, v[43:44], v[22:23]
	v_fma_f64 v[30:31], v[30:31], v[43:44], v[19:20]
	v_fma_f64 v[93:94], 0x80000000, v[43:44], v[13:14]
	v_fma_f64 v[32:33], v[32:33], v[43:44], v[15:16]
	s_clause 0x1
	global_load_b128 v[13:16], v[11:12], off offset:4128
	global_load_b128 v[17:20], v[11:12], off offset:4144
	global_load_b128 v[22:25], v[34:35], off offset:16
	s_wait_loadcnt 0xc
	v_fma_f64 v[41:42], v[45:46], v[53:54], v[41:42]
	v_fma_f64 v[37:38], v[53:54], 0, v[37:38]
	v_fma_f64 v[28:29], v[47:48], v[53:54], v[28:29]
	v_fma_f64 v[26:27], v[53:54], 0, v[26:27]
	v_fma_f64 v[39:40], v[49:50], v[53:54], v[39:40]
	v_fma_f64 v[30:31], v[53:54], 0, v[30:31]
	v_fma_f64 v[43:44], v[51:52], v[53:54], v[93:94]
	v_fma_f64 v[32:33], v[53:54], 0, v[32:33]
	v_fma_f64 v[41:42], 0x80000000, v[55:56], v[41:42]
	v_fma_f64 v[45:46], v[45:46], v[55:56], v[37:38]
	v_fma_f64 v[53:54], 0x80000000, v[55:56], v[28:29]
	v_fma_f64 v[47:48], v[47:48], v[55:56], v[26:27]
	v_fma_f64 v[93:94], 0x80000000, v[55:56], v[39:40]
	v_fma_f64 v[49:50], v[49:50], v[55:56], v[30:31]
	v_fma_f64 v[43:44], 0x80000000, v[55:56], v[43:44]
	v_fma_f64 v[51:52], v[51:52], v[55:56], v[32:33]
	s_clause 0x1
	global_load_b128 v[26:29], v[11:12], off offset:4176
	global_load_b128 v[30:33], v[11:12], off offset:4160
	global_load_b128 v[37:40], v[34:35], off offset:32
	;; [unrolled: 21-line block ×3, first 2 shown]
	s_wait_loadcnt 0xc
	v_fma_f64 v[34:35], v[69:70], v[77:78], v[65:66]
	v_fma_f64 v[61:62], v[77:78], 0, v[61:62]
	;; [unrolled: 1-line block ×8, first 2 shown]
	s_clause 0x1
	global_load_b128 v[53:56], v[11:12], off offset:8208
	global_load_b128 v[57:60], v[11:12], off offset:8192
	v_fma_f64 v[34:35], 0x80000000, v[79:80], v[34:35]
	v_fma_f64 v[69:70], v[69:70], v[79:80], v[61:62]
	;; [unrolled: 1-line block ×8, first 2 shown]
	v_lshlrev_b64_e32 v[61:62], 4, v[97:98]
	s_delay_alu instid0(VALU_DEP_1) | instskip(SKIP_1) | instid1(VALU_DEP_2)
	v_add_co_u32 v77, vcc_lo, s4, v61
	s_wait_alu 0xfffd
	v_add_co_ci_u32_e64 v78, null, s5, v62, vcc_lo
	global_load_b128 v[61:64], v[77:78], off
	s_wait_loadcnt 0xc
	v_fma_f64 v[34:35], v[85:86], v[89:90], v[34:35]
	v_fma_f64 v[69:70], v[89:90], 0, v[69:70]
	v_fma_f64 v[65:66], v[87:88], v[89:90], v[65:66]
	v_fma_f64 v[71:72], v[89:90], 0, v[71:72]
	v_fma_f64 v[67:68], v[81:82], v[89:90], v[67:68]
	v_fma_f64 v[73:74], v[89:90], 0, v[73:74]
	v_fma_f64 v[79:80], v[83:84], v[89:90], v[93:94]
	v_fma_f64 v[75:76], v[89:90], 0, v[75:76]
	v_fma_f64 v[34:35], 0x80000000, v[91:92], v[34:35]
	v_fma_f64 v[85:86], v[85:86], v[91:92], v[69:70]
	v_fma_f64 v[89:90], 0x80000000, v[91:92], v[65:66]
	v_fma_f64 v[87:88], v[87:88], v[91:92], v[71:72]
	v_fma_f64 v[93:94], 0x80000000, v[91:92], v[67:68]
	v_fma_f64 v[81:82], v[81:82], v[91:92], v[73:74]
	v_fma_f64 v[79:80], 0x80000000, v[91:92], v[79:80]
	v_fma_f64 v[83:84], v[83:84], v[91:92], v[75:76]
	s_clause 0x1
	global_load_b128 v[65:68], v[11:12], off offset:8224
	global_load_b128 v[69:72], v[11:12], off offset:8240
	global_load_b128 v[73:76], v[77:78], off offset:16
	s_wait_loadcnt 0xc
	v_fma_f64 v[34:35], v[13:14], v[22:23], v[34:35]
	v_fma_f64 v[85:86], v[22:23], 0, v[85:86]
	v_fma_f64 v[89:90], v[15:16], v[22:23], v[89:90]
	v_fma_f64 v[87:88], v[22:23], 0, v[87:88]
	v_fma_f64 v[91:92], v[17:18], v[22:23], v[93:94]
	v_fma_f64 v[81:82], v[22:23], 0, v[81:82]
	v_fma_f64 v[79:80], v[19:20], v[22:23], v[79:80]
	v_fma_f64 v[22:23], v[22:23], 0, v[83:84]
	v_fma_f64 v[34:35], 0x80000000, v[24:25], v[34:35]
	v_fma_f64 v[83:84], v[13:14], v[24:25], v[85:86]
	v_fma_f64 v[85:86], 0x80000000, v[24:25], v[89:90]
	v_fma_f64 v[87:88], v[15:16], v[24:25], v[87:88]
	v_fma_f64 v[89:90], 0x80000000, v[24:25], v[91:92]
	v_fma_f64 v[81:82], v[17:18], v[24:25], v[81:82]
	v_fma_f64 v[79:80], 0x80000000, v[24:25], v[79:80]
	v_fma_f64 v[91:92], v[19:20], v[24:25], v[22:23]
	s_clause 0x1
	global_load_b128 v[13:16], v[11:12], off offset:8272
	global_load_b128 v[17:20], v[11:12], off offset:8256
	global_load_b128 v[22:25], v[77:78], off offset:32
	;; [unrolled: 21-line block ×3, first 2 shown]
	s_wait_loadcnt 0xc
	v_fma_f64 v[34:35], v[41:42], v[49:50], v[34:35]
	v_fma_f64 v[93:94], v[49:50], 0, v[83:84]
	;; [unrolled: 1-line block ×8, first 2 shown]
	v_lshlrev_b32_e32 v91, 2, v10
	s_clause 0x1
	global_load_b128 v[77:80], v[11:12], off offset:12304
	global_load_b128 v[81:84], v[11:12], off offset:12288
	v_ashrrev_i32_e32 v92, 31, v91
	v_fma_f64 v[34:35], 0x80000000, v[51:52], v[34:35]
	v_fma_f64 v[93:94], v[41:42], v[51:52], v[93:94]
	;; [unrolled: 1-line block ×8, first 2 shown]
	v_lshlrev_b64_e32 v[41:42], 4, v[91:92]
	s_delay_alu instid0(VALU_DEP_1) | instskip(SKIP_1) | instid1(VALU_DEP_2)
	v_add_co_u32 v91, vcc_lo, s4, v41
	s_wait_alu 0xfffd
	v_add_co_ci_u32_e64 v92, null, s5, v42, vcc_lo
	v_cmp_ge_i32_e32 vcc_lo, v9, v36
	global_load_b128 v[41:44], v[91:92], off
	s_wait_alu 0xfffe
	s_or_b32 s7, vcc_lo, s7
	s_wait_loadcnt 0xc
	v_fma_f64 v[34:35], v[57:58], v[61:62], v[34:35]
	v_fma_f64 v[49:50], v[61:62], 0, v[93:94]
	v_fma_f64 v[51:52], v[59:60], v[61:62], v[85:86]
	v_fma_f64 v[85:86], v[61:62], 0, v[87:88]
	v_fma_f64 v[87:88], v[53:54], v[61:62], v[89:90]
	v_fma_f64 v[45:46], v[61:62], 0, v[45:46]
	v_fma_f64 v[89:90], v[55:56], v[61:62], v[95:96]
	v_fma_f64 v[47:48], v[61:62], 0, v[47:48]
	v_fma_f64 v[34:35], 0x80000000, v[63:64], v[34:35]
	v_fma_f64 v[57:58], v[57:58], v[63:64], v[49:50]
	v_fma_f64 v[61:62], 0x80000000, v[63:64], v[51:52]
	v_fma_f64 v[59:60], v[59:60], v[63:64], v[85:86]
	v_fma_f64 v[85:86], 0x80000000, v[63:64], v[87:88]
	v_fma_f64 v[87:88], v[53:54], v[63:64], v[45:46]
	v_fma_f64 v[89:90], 0x80000000, v[63:64], v[89:90]
	v_fma_f64 v[63:64], v[55:56], v[63:64], v[47:48]
	s_clause 0x1
	global_load_b128 v[45:48], v[11:12], off offset:12320
	global_load_b128 v[49:52], v[11:12], off offset:12336
	global_load_b128 v[53:56], v[91:92], off offset:16
	s_wait_loadcnt 0xc
	v_fma_f64 v[34:35], v[65:66], v[73:74], v[34:35]
	v_fma_f64 v[57:58], v[73:74], 0, v[57:58]
	v_fma_f64 v[61:62], v[67:68], v[73:74], v[61:62]
	v_fma_f64 v[59:60], v[73:74], 0, v[59:60]
	v_fma_f64 v[85:86], v[69:70], v[73:74], v[85:86]
	v_fma_f64 v[87:88], v[73:74], 0, v[87:88]
	v_fma_f64 v[89:90], v[71:72], v[73:74], v[89:90]
	v_fma_f64 v[63:64], v[73:74], 0, v[63:64]
	v_fma_f64 v[34:35], 0x80000000, v[75:76], v[34:35]
	v_fma_f64 v[73:74], v[65:66], v[75:76], v[57:58]
	v_fma_f64 v[93:94], 0x80000000, v[75:76], v[61:62]
	v_fma_f64 v[95:96], v[67:68], v[75:76], v[59:60]
	v_fma_f64 v[85:86], 0x80000000, v[75:76], v[85:86]
	v_fma_f64 v[69:70], v[69:70], v[75:76], v[87:88]
	v_fma_f64 v[87:88], 0x80000000, v[75:76], v[89:90]
	v_fma_f64 v[71:72], v[71:72], v[75:76], v[63:64]
	s_clause 0x1
	global_load_b128 v[57:60], v[11:12], off offset:12368
	global_load_b128 v[61:64], v[11:12], off offset:12352
	global_load_b128 v[65:68], v[91:92], off offset:32
	;; [unrolled: 21-line block ×3, first 2 shown]
	v_add_co_u32 v11, s2, 0x4000, v11
	s_wait_alu 0xf1ff
	v_add_co_ci_u32_e64 v12, null, 0, v12, s2
	s_wait_loadcnt 0xc
	v_fma_f64 v[24:25], v[26:27], v[37:38], v[34:35]
	v_fma_f64 v[17:18], v[37:38], 0, v[17:18]
	v_fma_f64 v[34:35], v[28:29], v[37:38], v[93:94]
	v_fma_f64 v[19:20], v[37:38], 0, v[19:20]
	v_fma_f64 v[85:86], v[30:31], v[37:38], v[85:86]
	v_fma_f64 v[89:90], v[37:38], 0, v[89:90]
	v_fma_f64 v[87:88], v[32:33], v[37:38], v[87:88]
	v_fma_f64 v[22:23], v[37:38], 0, v[22:23]
	v_fma_f64 v[24:25], 0x80000000, v[39:40], v[24:25]
	v_fma_f64 v[17:18], v[26:27], v[39:40], v[17:18]
	v_fma_f64 v[26:27], 0x80000000, v[39:40], v[34:35]
	v_fma_f64 v[19:20], v[28:29], v[39:40], v[19:20]
	v_fma_f64 v[28:29], 0x80000000, v[39:40], v[85:86]
	v_fma_f64 v[30:31], v[30:31], v[39:40], v[89:90]
	v_fma_f64 v[34:35], 0x80000000, v[39:40], v[87:88]
	v_fma_f64 v[22:23], v[32:33], v[39:40], v[22:23]
	s_wait_loadcnt 0x9
	v_fma_f64 v[24:25], v[81:82], v[41:42], v[24:25]
	v_fma_f64 v[17:18], v[41:42], 0, v[17:18]
	v_fma_f64 v[26:27], v[83:84], v[41:42], v[26:27]
	v_fma_f64 v[19:20], v[41:42], 0, v[19:20]
	v_fma_f64 v[28:29], v[77:78], v[41:42], v[28:29]
	v_fma_f64 v[30:31], v[41:42], 0, v[30:31]
	v_fma_f64 v[32:33], v[79:80], v[41:42], v[34:35]
	v_fma_f64 v[22:23], v[41:42], 0, v[22:23]
	v_fma_f64 v[24:25], 0x80000000, v[43:44], v[24:25]
	v_fma_f64 v[17:18], v[81:82], v[43:44], v[17:18]
	v_fma_f64 v[26:27], 0x80000000, v[43:44], v[26:27]
	v_fma_f64 v[19:20], v[83:84], v[43:44], v[19:20]
	v_fma_f64 v[28:29], 0x80000000, v[43:44], v[28:29]
	v_fma_f64 v[30:31], v[77:78], v[43:44], v[30:31]
	v_fma_f64 v[32:33], 0x80000000, v[43:44], v[32:33]
	v_fma_f64 v[22:23], v[79:80], v[43:44], v[22:23]
	;; [unrolled: 17-line block ×5, first 2 shown]
	s_wait_alu 0xfffe
	s_and_not1_b32 exec_lo, exec_lo, s7
	s_cbranch_execnz .LBB138_31
; %bb.32:
	s_or_b32 exec_lo, exec_lo, s7
.LBB138_33:
	s_wait_alu 0xfffe
	s_or_b32 exec_lo, exec_lo, s6
.LBB138_34:
	s_wait_alu 0xfffe
	s_or_b32 exec_lo, exec_lo, s3
.LBB138_35:
	v_mbcnt_lo_u32_b32 v44, -1, 0
	s_delay_alu instid0(VALU_DEP_1) | instskip(NEXT) | instid1(VALU_DEP_1)
	v_xor_b32_e32 v9, 16, v44
	v_cmp_gt_i32_e32 vcc_lo, 32, v9
	s_wait_alu 0xfffd
	v_cndmask_b32_e32 v9, v44, v9, vcc_lo
	s_delay_alu instid0(VALU_DEP_1)
	v_lshlrev_b32_e32 v41, 2, v9
	ds_bpermute_b32 v9, v41, v24
	ds_bpermute_b32 v10, v41, v25
	ds_bpermute_b32 v32, v41, v26
	ds_bpermute_b32 v33, v41, v27
	s_wait_dscnt 0x2
	v_add_f64_e32 v[9:10], v[24:25], v[9:10]
	s_wait_dscnt 0x0
	v_add_f64_e32 v[24:25], v[26:27], v[32:33]
	v_xor_b32_e32 v26, 8, v44
	s_delay_alu instid0(VALU_DEP_1)
	v_cmp_gt_i32_e32 vcc_lo, 32, v26
	s_wait_alu 0xfffd
	v_cndmask_b32_e32 v26, v44, v26, vcc_lo
	ds_bpermute_b32 v11, v41, v17
	ds_bpermute_b32 v12, v41, v18
	;; [unrolled: 1-line block ×12, first 2 shown]
	s_wait_dscnt 0xa
	v_add_f64_e32 v[11:12], v[17:18], v[11:12]
	s_wait_dscnt 0x8
	v_add_f64_e32 v[17:18], v[28:29], v[30:31]
	;; [unrolled: 2-line block ×6, first 2 shown]
	v_lshlrev_b32_e32 v41, 2, v26
	ds_bpermute_b32 v26, v41, v9
	ds_bpermute_b32 v27, v41, v10
	;; [unrolled: 1-line block ×4, first 2 shown]
	s_wait_dscnt 0x2
	v_add_f64_e32 v[9:10], v[9:10], v[26:27]
	ds_bpermute_b32 v28, v41, v11
	ds_bpermute_b32 v29, v41, v12
	;; [unrolled: 1-line block ×12, first 2 shown]
	s_wait_dscnt 0xc
	v_add_f64_e32 v[24:25], v[24:25], v[32:33]
	v_xor_b32_e32 v26, 4, v44
	s_delay_alu instid0(VALU_DEP_1)
	v_cmp_gt_i32_e32 vcc_lo, 32, v26
	s_wait_dscnt 0xa
	v_add_f64_e32 v[11:12], v[11:12], v[28:29]
	s_wait_dscnt 0x8
	v_add_f64_e32 v[17:18], v[17:18], v[30:31]
	s_wait_alu 0xfffd
	v_cndmask_b32_e32 v26, v44, v26, vcc_lo
	s_wait_dscnt 0x6
	v_add_f64_e32 v[22:23], v[22:23], v[34:35]
	s_wait_dscnt 0x4
	v_add_f64_e32 v[19:20], v[19:20], v[36:37]
	;; [unrolled: 2-line block ×4, first 2 shown]
	v_lshlrev_b32_e32 v41, 2, v26
	ds_bpermute_b32 v26, v41, v9
	ds_bpermute_b32 v27, v41, v10
	;; [unrolled: 1-line block ×4, first 2 shown]
	s_wait_dscnt 0x2
	v_add_f64_e32 v[9:10], v[9:10], v[26:27]
	ds_bpermute_b32 v28, v41, v11
	ds_bpermute_b32 v29, v41, v12
	;; [unrolled: 1-line block ×12, first 2 shown]
	s_wait_dscnt 0xc
	v_add_f64_e32 v[24:25], v[24:25], v[32:33]
	s_wait_dscnt 0xa
	v_add_f64_e32 v[11:12], v[11:12], v[28:29]
	;; [unrolled: 2-line block ×6, first 2 shown]
	v_xor_b32_e32 v13, 2, v44
	s_wait_dscnt 0x0
	v_add_f64_e32 v[30:31], v[15:16], v[40:41]
	s_delay_alu instid0(VALU_DEP_2) | instskip(SKIP_2) | instid1(VALU_DEP_1)
	v_cmp_gt_i32_e32 vcc_lo, 32, v13
	s_wait_alu 0xfffd
	v_cndmask_b32_e32 v13, v44, v13, vcc_lo
	v_lshlrev_b32_e32 v28, 2, v13
	ds_bpermute_b32 v13, v28, v9
	ds_bpermute_b32 v14, v28, v10
	;; [unrolled: 1-line block ×16, first 2 shown]
	s_wait_dscnt 0xe
	v_add_f64_e32 v[9:10], v[9:10], v[13:14]
	s_wait_dscnt 0xc
	v_add_f64_e32 v[24:25], v[24:25], v[34:35]
	;; [unrolled: 2-line block ×5, first 2 shown]
	v_xor_b32_e32 v22, 1, v44
	s_wait_dscnt 0x4
	v_add_f64_e32 v[19:20], v[19:20], v[38:39]
	s_wait_dscnt 0x2
	v_add_f64_e32 v[15:16], v[26:27], v[40:41]
	;; [unrolled: 2-line block ×3, first 2 shown]
	v_cmp_gt_i32_e32 vcc_lo, 32, v22
	s_wait_alu 0xfffd
	v_cndmask_b32_e32 v22, v44, v22, vcc_lo
	v_cmp_eq_u32_e32 vcc_lo, 31, v0
	s_delay_alu instid0(VALU_DEP_2)
	v_lshlrev_b32_e32 v35, 2, v22
	ds_bpermute_b32 v22, v35, v9
	ds_bpermute_b32 v23, v35, v10
	;; [unrolled: 1-line block ×16, first 2 shown]
	s_and_b32 exec_lo, exec_lo, vcc_lo
	s_cbranch_execz .LBB138_8
; %bb.36:
	s_wait_dscnt 0xa
	v_add_f64_e32 v[28:29], v[28:29], v[40:41]
	v_add_f64_e32 v[24:25], v[24:25], v[38:39]
	s_wait_dscnt 0x4
	v_add_f64_e32 v[19:20], v[19:20], v[36:37]
	s_wait_dscnt 0x0
	v_add_f64_e32 v[17:18], v[17:18], v[34:35]
	v_add_f64_e32 v[9:10], v[9:10], v[22:23]
	;; [unrolled: 1-line block ×5, first 2 shown]
	v_cmp_eq_f64_e32 vcc_lo, 0, v[1:2]
	v_cmp_eq_f64_e64 s2, 0, v[3:4]
	s_load_b64 s[0:1], s[0:1], 0x60
	v_lshlrev_b32_e32 v21, 2, v21
	v_mul_f64_e64 v[13:14], v[28:29], -v[7:8]
	v_mul_f64_e32 v[15:16], v[5:6], v[28:29]
	v_mul_f64_e64 v[28:29], v[24:25], -v[7:8]
	v_mul_f64_e32 v[24:25], v[5:6], v[24:25]
	;; [unrolled: 2-line block ×4, first 2 shown]
	s_and_b32 s2, vcc_lo, s2
	v_fma_f64 v[17:18], v[5:6], v[9:10], v[13:14]
	v_fma_f64 v[19:20], v[7:8], v[9:10], v[15:16]
	;; [unrolled: 1-line block ×8, first 2 shown]
	s_wait_alu 0xfffe
	s_and_saveexec_b32 s3, s2
	s_wait_alu 0xfffe
	s_xor_b32 s2, exec_lo, s3
	s_cbranch_execz .LBB138_38
; %bb.37:
	v_ashrrev_i32_e32 v22, 31, v21
	s_delay_alu instid0(VALU_DEP_1) | instskip(SKIP_1) | instid1(VALU_DEP_1)
	v_lshlrev_b64_e32 v[0:1], 4, v[21:22]
                                        ; implicit-def: $vgpr21
	s_wait_kmcnt 0x0
	v_add_co_u32 v0, vcc_lo, s0, v0
	s_wait_alu 0xfffd
	s_delay_alu instid0(VALU_DEP_2)
	v_add_co_ci_u32_e64 v1, null, s1, v1, vcc_lo
	s_clause 0x3
	global_store_b128 v[0:1], v[17:20], off
	global_store_b128 v[0:1], v[13:16], off offset:16
	global_store_b128 v[0:1], v[9:12], off offset:32
	;; [unrolled: 1-line block ×3, first 2 shown]
                                        ; implicit-def: $vgpr3_vgpr4
                                        ; implicit-def: $vgpr17_vgpr18
                                        ; implicit-def: $vgpr13_vgpr14
                                        ; implicit-def: $vgpr9_vgpr10
                                        ; implicit-def: $vgpr5_vgpr6
.LBB138_38:
	s_wait_alu 0xfffe
	s_and_not1_saveexec_b32 s2, s2
	s_cbranch_execz .LBB138_8
; %bb.39:
	v_ashrrev_i32_e32 v22, 31, v21
	s_delay_alu instid0(VALU_DEP_1) | instskip(SKIP_1) | instid1(VALU_DEP_1)
	v_lshlrev_b64_e32 v[21:22], 4, v[21:22]
	s_wait_kmcnt 0x0
	v_add_co_u32 v37, vcc_lo, s0, v21
	s_wait_alu 0xfffd
	s_delay_alu instid0(VALU_DEP_2)
	v_add_co_ci_u32_e64 v38, null, s1, v22, vcc_lo
	s_clause 0x3
	global_load_b128 v[21:24], v[37:38], off
	global_load_b128 v[25:28], v[37:38], off offset:16
	global_load_b128 v[29:32], v[37:38], off offset:32
	;; [unrolled: 1-line block ×3, first 2 shown]
	s_wait_loadcnt 0x3
	v_fma_f64 v[17:18], v[1:2], v[21:22], v[17:18]
	v_fma_f64 v[19:20], v[3:4], v[21:22], v[19:20]
	s_wait_loadcnt 0x2
	v_fma_f64 v[13:14], v[1:2], v[25:26], v[13:14]
	v_fma_f64 v[15:16], v[3:4], v[25:26], v[15:16]
	;; [unrolled: 3-line block ×4, first 2 shown]
	v_fma_f64 v[5:6], -v[3:4], v[23:24], v[17:18]
	v_fma_f64 v[7:8], v[1:2], v[23:24], v[19:20]
	v_fma_f64 v[9:10], -v[3:4], v[27:28], v[13:14]
	v_fma_f64 v[11:12], v[1:2], v[27:28], v[15:16]
	;; [unrolled: 2-line block ×4, first 2 shown]
	s_clause 0x3
	global_store_b128 v[37:38], v[5:8], off
	global_store_b128 v[37:38], v[9:12], off offset:16
	global_store_b128 v[37:38], v[13:16], off offset:32
	;; [unrolled: 1-line block ×3, first 2 shown]
	s_nop 0
	s_sendmsg sendmsg(MSG_DEALLOC_VGPRS)
	s_endpgm
	.section	.rodata,"a",@progbits
	.p2align	6, 0x0
	.amdhsa_kernel _ZN9rocsparseL18bsrxmvn_4x4_kernelILj128ELj32E21rocsparse_complex_numIdEiidS2_S2_EEvT3_20rocsparse_direction_NS_24const_host_device_scalarIT1_EES3_PKS3_PKT2_SC_S9_PKT4_PKT5_S7_PT6_21rocsparse_index_base_b
		.amdhsa_group_segment_fixed_size 0
		.amdhsa_private_segment_fixed_size 0
		.amdhsa_kernarg_size 112
		.amdhsa_user_sgpr_count 2
		.amdhsa_user_sgpr_dispatch_ptr 0
		.amdhsa_user_sgpr_queue_ptr 0
		.amdhsa_user_sgpr_kernarg_segment_ptr 1
		.amdhsa_user_sgpr_dispatch_id 0
		.amdhsa_user_sgpr_private_segment_size 0
		.amdhsa_wavefront_size32 1
		.amdhsa_uses_dynamic_stack 0
		.amdhsa_enable_private_segment 0
		.amdhsa_system_sgpr_workgroup_id_x 1
		.amdhsa_system_sgpr_workgroup_id_y 0
		.amdhsa_system_sgpr_workgroup_id_z 0
		.amdhsa_system_sgpr_workgroup_info 0
		.amdhsa_system_vgpr_workitem_id 0
		.amdhsa_next_free_vgpr 114
		.amdhsa_next_free_sgpr 14
		.amdhsa_reserve_vcc 1
		.amdhsa_float_round_mode_32 0
		.amdhsa_float_round_mode_16_64 0
		.amdhsa_float_denorm_mode_32 3
		.amdhsa_float_denorm_mode_16_64 3
		.amdhsa_fp16_overflow 0
		.amdhsa_workgroup_processor_mode 1
		.amdhsa_memory_ordered 1
		.amdhsa_forward_progress 1
		.amdhsa_inst_pref_size 90
		.amdhsa_round_robin_scheduling 0
		.amdhsa_exception_fp_ieee_invalid_op 0
		.amdhsa_exception_fp_denorm_src 0
		.amdhsa_exception_fp_ieee_div_zero 0
		.amdhsa_exception_fp_ieee_overflow 0
		.amdhsa_exception_fp_ieee_underflow 0
		.amdhsa_exception_fp_ieee_inexact 0
		.amdhsa_exception_int_div_zero 0
	.end_amdhsa_kernel
	.section	.text._ZN9rocsparseL18bsrxmvn_4x4_kernelILj128ELj32E21rocsparse_complex_numIdEiidS2_S2_EEvT3_20rocsparse_direction_NS_24const_host_device_scalarIT1_EES3_PKS3_PKT2_SC_S9_PKT4_PKT5_S7_PT6_21rocsparse_index_base_b,"axG",@progbits,_ZN9rocsparseL18bsrxmvn_4x4_kernelILj128ELj32E21rocsparse_complex_numIdEiidS2_S2_EEvT3_20rocsparse_direction_NS_24const_host_device_scalarIT1_EES3_PKS3_PKT2_SC_S9_PKT4_PKT5_S7_PT6_21rocsparse_index_base_b,comdat
.Lfunc_end138:
	.size	_ZN9rocsparseL18bsrxmvn_4x4_kernelILj128ELj32E21rocsparse_complex_numIdEiidS2_S2_EEvT3_20rocsparse_direction_NS_24const_host_device_scalarIT1_EES3_PKS3_PKT2_SC_S9_PKT4_PKT5_S7_PT6_21rocsparse_index_base_b, .Lfunc_end138-_ZN9rocsparseL18bsrxmvn_4x4_kernelILj128ELj32E21rocsparse_complex_numIdEiidS2_S2_EEvT3_20rocsparse_direction_NS_24const_host_device_scalarIT1_EES3_PKS3_PKT2_SC_S9_PKT4_PKT5_S7_PT6_21rocsparse_index_base_b
                                        ; -- End function
	.set _ZN9rocsparseL18bsrxmvn_4x4_kernelILj128ELj32E21rocsparse_complex_numIdEiidS2_S2_EEvT3_20rocsparse_direction_NS_24const_host_device_scalarIT1_EES3_PKS3_PKT2_SC_S9_PKT4_PKT5_S7_PT6_21rocsparse_index_base_b.num_vgpr, 114
	.set _ZN9rocsparseL18bsrxmvn_4x4_kernelILj128ELj32E21rocsparse_complex_numIdEiidS2_S2_EEvT3_20rocsparse_direction_NS_24const_host_device_scalarIT1_EES3_PKS3_PKT2_SC_S9_PKT4_PKT5_S7_PT6_21rocsparse_index_base_b.num_agpr, 0
	.set _ZN9rocsparseL18bsrxmvn_4x4_kernelILj128ELj32E21rocsparse_complex_numIdEiidS2_S2_EEvT3_20rocsparse_direction_NS_24const_host_device_scalarIT1_EES3_PKS3_PKT2_SC_S9_PKT4_PKT5_S7_PT6_21rocsparse_index_base_b.numbered_sgpr, 14
	.set _ZN9rocsparseL18bsrxmvn_4x4_kernelILj128ELj32E21rocsparse_complex_numIdEiidS2_S2_EEvT3_20rocsparse_direction_NS_24const_host_device_scalarIT1_EES3_PKS3_PKT2_SC_S9_PKT4_PKT5_S7_PT6_21rocsparse_index_base_b.num_named_barrier, 0
	.set _ZN9rocsparseL18bsrxmvn_4x4_kernelILj128ELj32E21rocsparse_complex_numIdEiidS2_S2_EEvT3_20rocsparse_direction_NS_24const_host_device_scalarIT1_EES3_PKS3_PKT2_SC_S9_PKT4_PKT5_S7_PT6_21rocsparse_index_base_b.private_seg_size, 0
	.set _ZN9rocsparseL18bsrxmvn_4x4_kernelILj128ELj32E21rocsparse_complex_numIdEiidS2_S2_EEvT3_20rocsparse_direction_NS_24const_host_device_scalarIT1_EES3_PKS3_PKT2_SC_S9_PKT4_PKT5_S7_PT6_21rocsparse_index_base_b.uses_vcc, 1
	.set _ZN9rocsparseL18bsrxmvn_4x4_kernelILj128ELj32E21rocsparse_complex_numIdEiidS2_S2_EEvT3_20rocsparse_direction_NS_24const_host_device_scalarIT1_EES3_PKS3_PKT2_SC_S9_PKT4_PKT5_S7_PT6_21rocsparse_index_base_b.uses_flat_scratch, 0
	.set _ZN9rocsparseL18bsrxmvn_4x4_kernelILj128ELj32E21rocsparse_complex_numIdEiidS2_S2_EEvT3_20rocsparse_direction_NS_24const_host_device_scalarIT1_EES3_PKS3_PKT2_SC_S9_PKT4_PKT5_S7_PT6_21rocsparse_index_base_b.has_dyn_sized_stack, 0
	.set _ZN9rocsparseL18bsrxmvn_4x4_kernelILj128ELj32E21rocsparse_complex_numIdEiidS2_S2_EEvT3_20rocsparse_direction_NS_24const_host_device_scalarIT1_EES3_PKS3_PKT2_SC_S9_PKT4_PKT5_S7_PT6_21rocsparse_index_base_b.has_recursion, 0
	.set _ZN9rocsparseL18bsrxmvn_4x4_kernelILj128ELj32E21rocsparse_complex_numIdEiidS2_S2_EEvT3_20rocsparse_direction_NS_24const_host_device_scalarIT1_EES3_PKS3_PKT2_SC_S9_PKT4_PKT5_S7_PT6_21rocsparse_index_base_b.has_indirect_call, 0
	.section	.AMDGPU.csdata,"",@progbits
; Kernel info:
; codeLenInByte = 11516
; TotalNumSgprs: 16
; NumVgprs: 114
; ScratchSize: 0
; MemoryBound: 0
; FloatMode: 240
; IeeeMode: 1
; LDSByteSize: 0 bytes/workgroup (compile time only)
; SGPRBlocks: 0
; VGPRBlocks: 14
; NumSGPRsForWavesPerEU: 16
; NumVGPRsForWavesPerEU: 114
; Occupancy: 12
; WaveLimiterHint : 1
; COMPUTE_PGM_RSRC2:SCRATCH_EN: 0
; COMPUTE_PGM_RSRC2:USER_SGPR: 2
; COMPUTE_PGM_RSRC2:TRAP_HANDLER: 0
; COMPUTE_PGM_RSRC2:TGID_X_EN: 1
; COMPUTE_PGM_RSRC2:TGID_Y_EN: 0
; COMPUTE_PGM_RSRC2:TGID_Z_EN: 0
; COMPUTE_PGM_RSRC2:TIDIG_COMP_CNT: 0
	.section	.text._ZN9rocsparseL18bsrxmvn_4x4_kernelILj128ELj64E21rocsparse_complex_numIdEiidS2_S2_EEvT3_20rocsparse_direction_NS_24const_host_device_scalarIT1_EES3_PKS3_PKT2_SC_S9_PKT4_PKT5_S7_PT6_21rocsparse_index_base_b,"axG",@progbits,_ZN9rocsparseL18bsrxmvn_4x4_kernelILj128ELj64E21rocsparse_complex_numIdEiidS2_S2_EEvT3_20rocsparse_direction_NS_24const_host_device_scalarIT1_EES3_PKS3_PKT2_SC_S9_PKT4_PKT5_S7_PT6_21rocsparse_index_base_b,comdat
	.globl	_ZN9rocsparseL18bsrxmvn_4x4_kernelILj128ELj64E21rocsparse_complex_numIdEiidS2_S2_EEvT3_20rocsparse_direction_NS_24const_host_device_scalarIT1_EES3_PKS3_PKT2_SC_S9_PKT4_PKT5_S7_PT6_21rocsparse_index_base_b ; -- Begin function _ZN9rocsparseL18bsrxmvn_4x4_kernelILj128ELj64E21rocsparse_complex_numIdEiidS2_S2_EEvT3_20rocsparse_direction_NS_24const_host_device_scalarIT1_EES3_PKS3_PKT2_SC_S9_PKT4_PKT5_S7_PT6_21rocsparse_index_base_b
	.p2align	8
	.type	_ZN9rocsparseL18bsrxmvn_4x4_kernelILj128ELj64E21rocsparse_complex_numIdEiidS2_S2_EEvT3_20rocsparse_direction_NS_24const_host_device_scalarIT1_EES3_PKS3_PKT2_SC_S9_PKT4_PKT5_S7_PT6_21rocsparse_index_base_b,@function
_ZN9rocsparseL18bsrxmvn_4x4_kernelILj128ELj64E21rocsparse_complex_numIdEiidS2_S2_EEvT3_20rocsparse_direction_NS_24const_host_device_scalarIT1_EES3_PKS3_PKT2_SC_S9_PKT4_PKT5_S7_PT6_21rocsparse_index_base_b: ; @_ZN9rocsparseL18bsrxmvn_4x4_kernelILj128ELj64E21rocsparse_complex_numIdEiidS2_S2_EEvT3_20rocsparse_direction_NS_24const_host_device_scalarIT1_EES3_PKS3_PKT2_SC_S9_PKT4_PKT5_S7_PT6_21rocsparse_index_base_b
; %bb.0:
	s_clause 0x1
	s_load_b64 s[12:13], s[0:1], 0x68
	s_load_b64 s[2:3], s[0:1], 0x8
	s_add_nc_u64 s[4:5], s[0:1], 8
	s_load_b64 s[6:7], s[0:1], 0x50
	s_wait_kmcnt 0x0
	s_bitcmp1_b32 s13, 0
	s_cselect_b32 s2, s4, s2
	s_cselect_b32 s3, s5, s3
	s_delay_alu instid0(SALU_CYCLE_1)
	v_dual_mov_b32 v1, s2 :: v_dual_mov_b32 v2, s3
	s_add_nc_u64 s[2:3], s[0:1], 0x50
	s_wait_alu 0xfffe
	s_cselect_b32 s2, s2, s6
	s_cselect_b32 s3, s3, s7
	flat_load_b128 v[5:8], v[1:2]
	s_wait_alu 0xfffe
	v_dual_mov_b32 v1, s2 :: v_dual_mov_b32 v2, s3
	flat_load_b128 v[1:4], v[1:2]
	s_wait_loadcnt_dscnt 0x101
	v_cmp_eq_f64_e32 vcc_lo, 0, v[5:6]
	v_cmp_eq_f64_e64 s2, 0, v[7:8]
	s_and_b32 s4, vcc_lo, s2
	s_mov_b32 s2, -1
	s_and_saveexec_b32 s3, s4
	s_cbranch_execz .LBB139_2
; %bb.1:
	s_wait_loadcnt_dscnt 0x0
	v_cmp_neq_f64_e32 vcc_lo, 1.0, v[1:2]
	v_cmp_neq_f64_e64 s2, 0, v[3:4]
	s_wait_alu 0xfffe
	s_or_b32 s2, vcc_lo, s2
	s_wait_alu 0xfffe
	s_or_not1_b32 s2, s2, exec_lo
.LBB139_2:
	s_wait_alu 0xfffe
	s_or_b32 exec_lo, exec_lo, s3
	s_and_saveexec_b32 s3, s2
	s_cbranch_execz .LBB139_8
; %bb.3:
	s_clause 0x1
	s_load_b64 s[4:5], s[0:1], 0x20
	s_load_b64 s[2:3], s[0:1], 0x0
	v_lshrrev_b32_e32 v9, 6, v0
	s_delay_alu instid0(VALU_DEP_1)
	v_lshl_or_b32 v21, ttmp9, 1, v9
	s_wait_kmcnt 0x0
	s_cmp_lg_u64 s[4:5], 0
	s_cbranch_scc0 .LBB139_9
; %bb.4:
	s_load_b32 s6, s[0:1], 0x18
	s_mov_b32 s7, 0
                                        ; implicit-def: $vgpr9
	s_wait_kmcnt 0x0
	v_cmp_gt_i32_e32 vcc_lo, s6, v21
	s_mov_b32 s6, 0
	s_and_saveexec_b32 s8, vcc_lo
	s_delay_alu instid0(SALU_CYCLE_1)
	s_xor_b32 s8, exec_lo, s8
	s_cbranch_execz .LBB139_6
; %bb.5:
	v_ashrrev_i32_e32 v22, 31, v21
	s_mov_b32 s6, exec_lo
	s_delay_alu instid0(VALU_DEP_1) | instskip(NEXT) | instid1(VALU_DEP_1)
	v_lshlrev_b64_e32 v[9:10], 2, v[21:22]
	v_add_co_u32 v9, vcc_lo, s4, v9
	s_delay_alu instid0(VALU_DEP_1)
	v_add_co_ci_u32_e64 v10, null, s5, v10, vcc_lo
	global_load_b32 v9, v[9:10], off
	s_wait_loadcnt 0x0
	v_subrev_nc_u32_e32 v9, s12, v9
.LBB139_6:
	s_or_b32 exec_lo, exec_lo, s8
	s_delay_alu instid0(SALU_CYCLE_1)
	s_and_b32 vcc_lo, exec_lo, s7
	s_wait_alu 0xfffe
	s_cbranch_vccz .LBB139_10
.LBB139_7:
	v_cmp_gt_i32_e32 vcc_lo, s2, v21
	s_and_not1_b32 s2, s6, exec_lo
	s_and_b32 s4, vcc_lo, exec_lo
	s_wait_alu 0xfffe
	s_or_b32 s6, s2, s4
	s_wait_alu 0xfffe
	s_and_b32 exec_lo, exec_lo, s6
	s_cbranch_execnz .LBB139_11
.LBB139_8:
	s_nop 0
	s_sendmsg sendmsg(MSG_DEALLOC_VGPRS)
	s_endpgm
.LBB139_9:
	s_mov_b32 s6, 0
                                        ; implicit-def: $vgpr9
	s_cbranch_execnz .LBB139_7
.LBB139_10:
	v_mov_b32_e32 v21, v9
	s_and_b32 exec_lo, exec_lo, s6
	s_cbranch_execz .LBB139_8
.LBB139_11:
	s_load_b256 s[4:11], s[0:1], 0x28
	s_delay_alu instid0(VALU_DEP_1) | instskip(SKIP_1) | instid1(VALU_DEP_2)
	v_ashrrev_i32_e32 v22, 31, v21
	v_and_b32_e32 v0, 63, v0
	v_lshlrev_b64_e32 v[9:10], 2, v[21:22]
	s_wait_kmcnt 0x0
	s_delay_alu instid0(VALU_DEP_1) | instskip(SKIP_1) | instid1(VALU_DEP_2)
	v_add_co_u32 v11, vcc_lo, s4, v9
	s_wait_alu 0xfffd
	v_add_co_ci_u32_e64 v12, null, s5, v10, vcc_lo
	v_add_co_u32 v9, vcc_lo, s6, v9
	s_wait_alu 0xfffd
	v_add_co_ci_u32_e64 v10, null, s7, v10, vcc_lo
	global_load_b32 v37, v[11:12], off
	v_add_co_u32 v11, vcc_lo, v11, 4
	s_wait_alu 0xfffd
	v_add_co_ci_u32_e64 v12, null, 0, v12, vcc_lo
	s_cmp_eq_u64 s[6:7], 0
	s_load_b64 s[4:5], s[0:1], 0x48
	s_cselect_b32 vcc_lo, -1, 0
	s_cmp_eq_u32 s3, 1
	s_wait_alu 0xfffe
	v_dual_cndmask_b32 v10, v10, v12 :: v_dual_cndmask_b32 v9, v9, v11
	global_load_b32 v13, v[9:10], off
	s_wait_loadcnt 0x1
	v_subrev_nc_u32_e32 v9, s12, v37
	s_delay_alu instid0(VALU_DEP_1) | instskip(NEXT) | instid1(VALU_DEP_1)
	v_add_nc_u32_e32 v9, v9, v0
	v_ashrrev_i32_e32 v10, 31, v9
	s_wait_loadcnt 0x0
	v_subrev_nc_u32_e32 v36, s12, v13
	s_delay_alu instid0(VALU_DEP_2) | instskip(NEXT) | instid1(VALU_DEP_2)
	v_lshlrev_b64_e32 v[11:12], 7, v[9:10]
	v_cmp_lt_i32_e64 s2, v9, v36
	s_delay_alu instid0(VALU_DEP_2) | instskip(SKIP_1) | instid1(VALU_DEP_3)
	v_add_co_u32 v11, vcc_lo, s10, v11
	s_wait_alu 0xfffd
	v_add_co_ci_u32_e64 v12, null, s11, v12, vcc_lo
	s_cbranch_scc1 .LBB139_23
; %bb.12:
	v_dual_mov_b32 v26, 0 :: v_dual_mov_b32 v15, 0
	v_dual_mov_b32 v17, 0 :: v_dual_mov_b32 v24, 0
	;; [unrolled: 1-line block ×8, first 2 shown]
	s_and_saveexec_b32 s6, s2
	s_cbranch_execz .LBB139_22
; %bb.13:
	v_add_nc_u32_e32 v10, v37, v0
	v_not_b32_e32 v13, v37
	v_mov_b32_e32 v22, 0
	v_mov_b32_e32 v28, 0
	v_dual_mov_b32 v26, 0 :: v_dual_mov_b32 v33, v12
	v_subrev_nc_u32_e32 v10, s12, v10
	v_dual_mov_b32 v24, 0 :: v_dual_mov_b32 v29, 0
	v_mov_b32_e32 v25, 0
	s_delay_alu instid0(VALU_DEP_3) | instskip(SKIP_2) | instid1(VALU_DEP_3)
	v_dual_mov_b32 v15, 0 :: v_dual_add_nc_u32 v10, 64, v10
	v_dual_mov_b32 v16, 0 :: v_dual_mov_b32 v19, 0
	v_dual_mov_b32 v20, 0 :: v_dual_mov_b32 v27, 0
	v_max_i32_e32 v10, v10, v36
	v_dual_mov_b32 v32, v11 :: v_dual_mov_b32 v23, 0
	v_mov_b32_e32 v17, 0
	v_mov_b32_e32 v18, 0
	s_delay_alu instid0(VALU_DEP_4) | instskip(SKIP_2) | instid1(VALU_DEP_3)
	v_add3_u32 v10, s12, v10, v13
	v_mov_b32_e32 v13, 0
	v_mov_b32_e32 v14, 0
	v_sub_nc_u32_e32 v10, v10, v0
	s_delay_alu instid0(VALU_DEP_1) | instskip(NEXT) | instid1(VALU_DEP_1)
	v_and_b32_e32 v30, 0xc0, v10
	v_cmp_ne_u32_e32 vcc_lo, 0xc0, v30
	v_mov_b32_e32 v30, v9
	s_and_saveexec_b32 s3, vcc_lo
	s_cbranch_execz .LBB139_17
; %bb.14:
	v_lshrrev_b32_e32 v13, 6, v10
	v_dual_mov_b32 v17, 0 :: v_dual_mov_b32 v30, v9
	v_mov_b32_e32 v18, 0
	s_delay_alu instid0(VALU_DEP_3) | instskip(SKIP_2) | instid1(VALU_DEP_3)
	v_dual_mov_b32 v24, 0 :: v_dual_add_nc_u32 v13, 1, v13
	v_dual_mov_b32 v28, 0 :: v_dual_mov_b32 v25, 0
	v_dual_mov_b32 v26, 0 :: v_dual_mov_b32 v19, 0
	v_dual_mov_b32 v22, 0 :: v_dual_and_b32 v31, 3, v13
	v_mov_b32_e32 v15, 0
	v_mov_b32_e32 v13, 0
	;; [unrolled: 1-line block ×4, first 2 shown]
	v_dual_mov_b32 v29, 0 :: v_dual_mov_b32 v20, 0
	v_dual_mov_b32 v23, 0 :: v_dual_mov_b32 v16, 0
	v_mov_b32_e32 v14, 0
	v_sub_nc_u32_e32 v34, 0, v31
	v_mov_b32_e32 v32, v11
	s_mov_b32 s7, 0
.LBB139_15:                             ; =>This Inner Loop Header: Depth=1
	v_ashrrev_i32_e32 v31, 31, v30
	s_delay_alu instid0(VALU_DEP_3) | instskip(SKIP_2) | instid1(VALU_DEP_2)
	v_add_co_u32 v34, s10, v34, 1
	s_wait_alu 0xfffe
	s_or_b32 s7, s10, s7
	v_lshlrev_b64_e32 v[38:39], 2, v[30:31]
	v_add_nc_u32_e32 v30, 64, v30
	s_delay_alu instid0(VALU_DEP_2) | instskip(SKIP_1) | instid1(VALU_DEP_3)
	v_add_co_u32 v38, vcc_lo, s8, v38
	s_wait_alu 0xfffd
	v_add_co_ci_u32_e64 v39, null, s9, v39, vcc_lo
	global_load_b32 v31, v[38:39], off
	s_clause 0x7
	global_load_b128 v[38:41], v[32:33], off offset:48
	global_load_b128 v[42:45], v[32:33], off offset:32
	;; [unrolled: 1-line block ×3, first 2 shown]
	global_load_b128 v[50:53], v[32:33], off
	global_load_b128 v[54:57], v[32:33], off offset:112
	global_load_b128 v[58:61], v[32:33], off offset:96
	;; [unrolled: 1-line block ×4, first 2 shown]
	s_wait_loadcnt 0x8
	v_subrev_nc_u32_e32 v31, s12, v31
	s_delay_alu instid0(VALU_DEP_1) | instskip(NEXT) | instid1(VALU_DEP_1)
	v_lshlrev_b32_e32 v70, 2, v31
	v_ashrrev_i32_e32 v71, 31, v70
	s_delay_alu instid0(VALU_DEP_1) | instskip(SKIP_1) | instid1(VALU_DEP_1)
	v_lshlrev_b64_e32 v[70:71], 4, v[70:71]
	s_wait_kmcnt 0x0
	v_add_co_u32 v82, vcc_lo, s4, v70
	s_wait_alu 0xfffd
	s_delay_alu instid0(VALU_DEP_2)
	v_add_co_ci_u32_e64 v83, null, s5, v71, vcc_lo
	v_add_co_u32 v32, vcc_lo, 0x2000, v32
	s_wait_alu 0xfffd
	v_add_co_ci_u32_e64 v33, null, 0, v33, vcc_lo
	s_clause 0x3
	global_load_b128 v[70:73], v[82:83], off
	global_load_b128 v[74:77], v[82:83], off offset:16
	global_load_b128 v[78:81], v[82:83], off offset:32
	;; [unrolled: 1-line block ×3, first 2 shown]
	s_wait_loadcnt 0x3
	v_fma_f64 v[24:25], v[50:51], v[70:71], v[24:25]
	v_fma_f64 v[17:18], v[70:71], 0, v[17:18]
	v_fma_f64 v[28:29], v[42:43], v[70:71], v[28:29]
	v_fma_f64 v[26:27], v[70:71], 0, v[26:27]
	v_fma_f64 v[22:23], v[66:67], v[70:71], v[22:23]
	v_fma_f64 v[19:20], v[70:71], 0, v[19:20]
	v_fma_f64 v[13:14], v[58:59], v[70:71], v[13:14]
	v_fma_f64 v[15:16], v[70:71], 0, v[15:16]
	v_fma_f64 v[24:25], 0x80000000, v[72:73], v[24:25]
	v_fma_f64 v[17:18], v[50:51], v[72:73], v[17:18]
	v_fma_f64 v[28:29], 0x80000000, v[72:73], v[28:29]
	v_fma_f64 v[26:27], v[42:43], v[72:73], v[26:27]
	v_fma_f64 v[22:23], 0x80000000, v[72:73], v[22:23]
	v_fma_f64 v[19:20], v[66:67], v[72:73], v[19:20]
	v_fma_f64 v[13:14], 0x80000000, v[72:73], v[13:14]
	v_fma_f64 v[15:16], v[58:59], v[72:73], v[15:16]
	s_wait_loadcnt 0x2
	v_fma_f64 v[24:25], v[52:53], v[74:75], v[24:25]
	v_fma_f64 v[17:18], v[74:75], 0, v[17:18]
	v_fma_f64 v[28:29], v[44:45], v[74:75], v[28:29]
	v_fma_f64 v[26:27], v[74:75], 0, v[26:27]
	v_fma_f64 v[22:23], v[68:69], v[74:75], v[22:23]
	v_fma_f64 v[19:20], v[74:75], 0, v[19:20]
	v_fma_f64 v[13:14], v[60:61], v[74:75], v[13:14]
	v_fma_f64 v[15:16], v[74:75], 0, v[15:16]
	v_fma_f64 v[24:25], 0x80000000, v[76:77], v[24:25]
	v_fma_f64 v[17:18], v[52:53], v[76:77], v[17:18]
	v_fma_f64 v[28:29], 0x80000000, v[76:77], v[28:29]
	v_fma_f64 v[26:27], v[44:45], v[76:77], v[26:27]
	v_fma_f64 v[22:23], 0x80000000, v[76:77], v[22:23]
	v_fma_f64 v[19:20], v[68:69], v[76:77], v[19:20]
	v_fma_f64 v[13:14], 0x80000000, v[76:77], v[13:14]
	v_fma_f64 v[15:16], v[60:61], v[76:77], v[15:16]
	;; [unrolled: 17-line block ×4, first 2 shown]
	s_wait_alu 0xfffe
	s_and_not1_b32 exec_lo, exec_lo, s7
	s_cbranch_execnz .LBB139_15
; %bb.16:
	s_or_b32 exec_lo, exec_lo, s7
.LBB139_17:
	s_wait_alu 0xfffe
	s_or_b32 exec_lo, exec_lo, s3
	s_delay_alu instid0(SALU_CYCLE_1)
	s_mov_b32 s7, exec_lo
	v_cmpx_lt_u32_e32 0xbf, v10
	s_cbranch_execz .LBB139_21
; %bb.18:
	s_mov_b32 s10, 0
.LBB139_19:                             ; =>This Inner Loop Header: Depth=1
	v_ashrrev_i32_e32 v31, 31, v30
	s_delay_alu instid0(VALU_DEP_1) | instskip(SKIP_1) | instid1(VALU_DEP_2)
	v_lshlrev_b64_e32 v[34:35], 2, v[30:31]
	v_add_nc_u32_e32 v30, 0x100, v30
	v_add_co_u32 v34, vcc_lo, s8, v34
	s_wait_alu 0xfffd
	s_delay_alu instid0(VALU_DEP_3)
	v_add_co_ci_u32_e64 v35, null, s9, v35, vcc_lo
	global_load_b32 v10, v[34:35], off
	s_clause 0x3
	global_load_b128 v[38:41], v[32:33], off offset:32
	global_load_b128 v[42:45], v[32:33], off
	global_load_b128 v[46:49], v[32:33], off offset:96
	global_load_b128 v[50:53], v[32:33], off offset:64
	s_clause 0x2
	global_load_b32 v31, v[34:35], off offset:256
	global_load_b32 v112, v[34:35], off offset:512
	;; [unrolled: 1-line block ×3, first 2 shown]
	s_wait_loadcnt 0x7
	v_subrev_nc_u32_e32 v10, s12, v10
	s_delay_alu instid0(VALU_DEP_1) | instskip(SKIP_2) | instid1(VALU_DEP_2)
	v_lshlrev_b32_e32 v34, 2, v10
	s_wait_loadcnt 0x2
	v_subrev_nc_u32_e32 v10, s12, v31
	v_ashrrev_i32_e32 v35, 31, v34
	s_delay_alu instid0(VALU_DEP_1) | instskip(SKIP_1) | instid1(VALU_DEP_1)
	v_lshlrev_b64_e32 v[34:35], 4, v[34:35]
	s_wait_kmcnt 0x0
	v_add_co_u32 v34, vcc_lo, s4, v34
	s_wait_alu 0xfffd
	s_delay_alu instid0(VALU_DEP_2)
	v_add_co_ci_u32_e64 v35, null, s5, v35, vcc_lo
	s_clause 0x1
	global_load_b128 v[54:57], v[34:35], off
	global_load_b128 v[58:61], v[34:35], off offset:16
	s_clause 0x3
	global_load_b128 v[62:65], v[32:33], off offset:48
	global_load_b128 v[66:69], v[32:33], off offset:16
	;; [unrolled: 1-line block ×4, first 2 shown]
	s_clause 0x1
	global_load_b128 v[78:81], v[34:35], off offset:32
	global_load_b128 v[82:85], v[34:35], off offset:48
	s_clause 0x3
	global_load_b128 v[86:89], v[32:33], off offset:8224
	global_load_b128 v[90:93], v[32:33], off offset:8192
	;; [unrolled: 1-line block ×4, first 2 shown]
	v_lshlrev_b32_e32 v34, 2, v10
	s_wait_loadcnt 0xd
	v_subrev_nc_u32_e32 v10, s12, v112
	s_delay_alu instid0(VALU_DEP_2) | instskip(NEXT) | instid1(VALU_DEP_1)
	v_ashrrev_i32_e32 v35, 31, v34
	v_lshlrev_b64_e32 v[34:35], 4, v[34:35]
	s_delay_alu instid0(VALU_DEP_1) | instskip(SKIP_1) | instid1(VALU_DEP_2)
	v_add_co_u32 v34, vcc_lo, s4, v34
	s_wait_alu 0xfffd
	v_add_co_ci_u32_e64 v35, null, s5, v35, vcc_lo
	global_load_b128 v[102:105], v[34:35], off
	s_wait_loadcnt 0xc
	v_fma_f64 v[17:18], v[54:55], 0, v[17:18]
	v_fma_f64 v[26:27], v[54:55], 0, v[26:27]
	v_fma_f64 v[24:25], v[42:43], v[54:55], v[24:25]
	v_fma_f64 v[28:29], v[38:39], v[54:55], v[28:29]
	v_fma_f64 v[22:23], v[50:51], v[54:55], v[22:23]
	v_fma_f64 v[19:20], v[54:55], 0, v[19:20]
	v_fma_f64 v[13:14], v[46:47], v[54:55], v[13:14]
	v_fma_f64 v[15:16], v[54:55], 0, v[15:16]
	v_fma_f64 v[17:18], v[42:43], v[56:57], v[17:18]
	v_fma_f64 v[26:27], v[38:39], v[56:57], v[26:27]
	v_fma_f64 v[24:25], 0x80000000, v[56:57], v[24:25]
	v_fma_f64 v[28:29], 0x80000000, v[56:57], v[28:29]
	v_fma_f64 v[22:23], 0x80000000, v[56:57], v[22:23]
	v_fma_f64 v[19:20], v[50:51], v[56:57], v[19:20]
	v_fma_f64 v[38:39], 0x80000000, v[56:57], v[13:14]
	v_fma_f64 v[42:43], v[46:47], v[56:57], v[15:16]
	global_load_b128 v[13:16], v[34:35], off offset:16
	s_wait_loadcnt 0xc
	v_fma_f64 v[17:18], v[58:59], 0, v[17:18]
	v_fma_f64 v[26:27], v[58:59], 0, v[26:27]
	;; [unrolled: 1-line block ×16, first 2 shown]
	s_clause 0x3
	global_load_b128 v[17:20], v[32:33], off offset:8240
	global_load_b128 v[22:25], v[32:33], off offset:8208
	;; [unrolled: 1-line block ×5, first 2 shown]
	s_wait_loadcnt 0xc
	v_fma_f64 v[46:47], v[78:79], 0, v[46:47]
	v_fma_f64 v[50:51], v[78:79], 0, v[50:51]
	;; [unrolled: 1-line block ×16, first 2 shown]
	global_load_b128 v[46:49], v[34:35], off offset:48
	s_wait_loadcnt 0xc
	v_fma_f64 v[34:35], v[82:83], 0, v[66:67]
	v_fma_f64 v[66:67], v[82:83], 0, v[50:51]
	;; [unrolled: 1-line block ×8, first 2 shown]
	v_lshlrev_b32_e32 v82, 2, v10
	s_clause 0x3
	global_load_b128 v[50:53], v[32:33], off offset:16416
	global_load_b128 v[54:57], v[32:33], off offset:16384
	;; [unrolled: 1-line block ×4, first 2 shown]
	v_subrev_nc_u32_e32 v10, s12, v113
	v_ashrrev_i32_e32 v83, 31, v82
	v_fma_f64 v[34:35], v[68:69], v[84:85], v[34:35]
	v_fma_f64 v[66:67], v[64:65], v[84:85], v[66:67]
	;; [unrolled: 1-line block ×8, first 2 shown]
	v_lshlrev_b64_e32 v[62:63], 4, v[82:83]
	s_delay_alu instid0(VALU_DEP_1) | instskip(SKIP_1) | instid1(VALU_DEP_2)
	v_add_co_u32 v108, vcc_lo, s4, v62
	s_wait_alu 0xfffd
	v_add_co_ci_u32_e64 v109, null, s5, v63, vcc_lo
	global_load_b128 v[62:65], v[108:109], off
	s_wait_loadcnt 0xc
	v_fma_f64 v[34:35], v[102:103], 0, v[34:35]
	v_fma_f64 v[66:67], v[102:103], 0, v[66:67]
	;; [unrolled: 1-line block ×16, first 2 shown]
	global_load_b128 v[66:69], v[108:109], off offset:16
	s_wait_loadcnt 0xc
	v_fma_f64 v[34:35], v[13:14], 0, v[34:35]
	v_fma_f64 v[84:85], v[13:14], 0, v[84:85]
	v_fma_f64 v[86:87], v[92:93], v[13:14], v[86:87]
	v_fma_f64 v[70:71], v[88:89], v[13:14], v[70:71]
	v_fma_f64 v[74:75], v[100:101], v[13:14], v[74:75]
	v_fma_f64 v[76:77], v[13:14], 0, v[76:77]
	v_fma_f64 v[82:83], v[96:97], v[13:14], v[82:83]
	v_fma_f64 v[13:14], v[13:14], 0, v[72:73]
	v_fma_f64 v[34:35], v[92:93], v[15:16], v[34:35]
	v_fma_f64 v[90:91], v[88:89], v[15:16], v[84:85]
	v_fma_f64 v[92:93], 0x80000000, v[15:16], v[86:87]
	v_fma_f64 v[94:95], 0x80000000, v[15:16], v[70:71]
	v_fma_f64 v[98:99], 0x80000000, v[15:16], v[74:75]
	v_fma_f64 v[100:101], v[100:101], v[15:16], v[76:77]
	v_fma_f64 v[102:103], 0x80000000, v[15:16], v[82:83]
	v_fma_f64 v[96:97], v[96:97], v[15:16], v[13:14]
	s_clause 0x3
	global_load_b128 v[13:16], v[32:33], off offset:16432
	global_load_b128 v[70:73], v[32:33], off offset:16400
	;; [unrolled: 1-line block ×5, first 2 shown]
	s_wait_loadcnt 0xc
	v_fma_f64 v[34:35], v[42:43], 0, v[34:35]
	v_fma_f64 v[90:91], v[42:43], 0, v[90:91]
	;; [unrolled: 1-line block ×16, first 2 shown]
	global_load_b128 v[42:45], v[108:109], off offset:48
	s_wait_loadcnt 0xc
	v_fma_f64 v[22:23], v[46:47], 0, v[22:23]
	v_fma_f64 v[17:18], v[46:47], 0, v[17:18]
	;; [unrolled: 1-line block ×8, first 2 shown]
	v_lshlrev_b32_e32 v46, 2, v10
	s_clause 0x3
	global_load_b128 v[90:93], v[32:33], off offset:24608
	global_load_b128 v[94:97], v[32:33], off offset:24576
	;; [unrolled: 1-line block ×4, first 2 shown]
	v_ashrrev_i32_e32 v47, 31, v46
	v_fma_f64 v[22:23], v[24:25], v[48:49], v[22:23]
	v_fma_f64 v[24:25], v[19:20], v[48:49], v[17:18]
	v_fma_f64 v[34:35], 0x80000000, v[48:49], v[34:35]
	v_fma_f64 v[106:107], 0x80000000, v[48:49], v[106:107]
	v_fma_f64 v[108:109], 0x80000000, v[48:49], v[108:109]
	v_fma_f64 v[38:39], v[40:41], v[48:49], v[38:39]
	v_fma_f64 v[40:41], 0x80000000, v[48:49], v[110:111]
	v_fma_f64 v[26:27], v[28:29], v[48:49], v[26:27]
	v_lshlrev_b64_e32 v[17:18], 4, v[46:47]
	s_delay_alu instid0(VALU_DEP_1) | instskip(SKIP_1) | instid1(VALU_DEP_2)
	v_add_co_u32 v110, vcc_lo, s4, v17
	s_wait_alu 0xfffd
	v_add_co_ci_u32_e64 v111, null, s5, v18, vcc_lo
	v_cmp_ge_i32_e32 vcc_lo, v30, v36
	global_load_b128 v[17:20], v[110:111], off
	s_wait_alu 0xfffe
	s_or_b32 s10, vcc_lo, s10
	s_wait_loadcnt 0xc
	v_fma_f64 v[22:23], v[62:63], 0, v[22:23]
	v_fma_f64 v[24:25], v[62:63], 0, v[24:25]
	;; [unrolled: 1-line block ×16, first 2 shown]
	global_load_b128 v[22:25], v[110:111], off offset:16
	s_wait_loadcnt 0xc
	v_fma_f64 v[48:49], v[66:67], 0, v[48:49]
	v_fma_f64 v[50:51], v[66:67], 0, v[50:51]
	;; [unrolled: 1-line block ×16, first 2 shown]
	s_clause 0x3
	global_load_b128 v[38:41], v[32:33], off offset:24624
	global_load_b128 v[26:29], v[32:33], off offset:24592
	;; [unrolled: 1-line block ×5, first 2 shown]
	v_add_co_u32 v32, s3, 0x8000, v32
	s_wait_alu 0xf1ff
	v_add_co_ci_u32_e64 v33, null, 0, v33, s3
	s_wait_loadcnt 0xc
	v_fma_f64 v[62:63], v[86:87], 0, v[62:63]
	v_fma_f64 v[64:65], v[86:87], 0, v[64:65]
	;; [unrolled: 1-line block ×16, first 2 shown]
	global_load_b128 v[58:61], v[110:111], off offset:48
	s_wait_loadcnt 0xc
	v_fma_f64 v[62:63], v[42:43], 0, v[62:63]
	v_fma_f64 v[13:14], v[42:43], 0, v[13:14]
	v_fma_f64 v[74:75], v[72:73], v[42:43], v[80:81]
	v_fma_f64 v[34:35], v[15:16], v[42:43], v[34:35]
	v_fma_f64 v[64:65], v[84:85], v[42:43], v[64:65]
	v_fma_f64 v[66:67], v[42:43], 0, v[66:67]
	v_fma_f64 v[68:69], v[76:77], v[42:43], v[68:69]
	v_fma_f64 v[42:43], v[42:43], 0, v[70:71]
	v_fma_f64 v[62:63], v[72:73], v[44:45], v[62:63]
	v_fma_f64 v[13:14], v[15:16], v[44:45], v[13:14]
	v_fma_f64 v[70:71], 0x80000000, v[44:45], v[74:75]
	v_fma_f64 v[34:35], 0x80000000, v[44:45], v[34:35]
	v_fma_f64 v[15:16], 0x80000000, v[44:45], v[64:65]
	v_fma_f64 v[64:65], v[84:85], v[44:45], v[66:67]
	v_fma_f64 v[66:67], 0x80000000, v[44:45], v[68:69]
	v_fma_f64 v[42:43], v[76:77], v[44:45], v[42:43]
	s_wait_loadcnt 0x7
	v_fma_f64 v[62:63], v[17:18], 0, v[62:63]
	v_fma_f64 v[13:14], v[17:18], 0, v[13:14]
	v_fma_f64 v[44:45], v[94:95], v[17:18], v[70:71]
	v_fma_f64 v[34:35], v[90:91], v[17:18], v[34:35]
	v_fma_f64 v[15:16], v[102:103], v[17:18], v[15:16]
	v_fma_f64 v[64:65], v[17:18], 0, v[64:65]
	v_fma_f64 v[66:67], v[98:99], v[17:18], v[66:67]
	v_fma_f64 v[17:18], v[17:18], 0, v[42:43]
	v_fma_f64 v[13:14], v[90:91], v[19:20], v[13:14]
	v_fma_f64 v[42:43], 0x80000000, v[19:20], v[44:45]
	v_fma_f64 v[44:45], v[94:95], v[19:20], v[62:63]
	v_fma_f64 v[34:35], 0x80000000, v[19:20], v[34:35]
	v_fma_f64 v[15:16], 0x80000000, v[19:20], v[15:16]
	v_fma_f64 v[62:63], v[102:103], v[19:20], v[64:65]
	v_fma_f64 v[64:65], 0x80000000, v[19:20], v[66:67]
	v_fma_f64 v[17:18], v[98:99], v[19:20], v[17:18]
	;; [unrolled: 17-line block ×5, first 2 shown]
	s_wait_alu 0xfffe
	s_and_not1_b32 exec_lo, exec_lo, s10
	s_cbranch_execnz .LBB139_19
; %bb.20:
	s_or_b32 exec_lo, exec_lo, s10
.LBB139_21:
	s_wait_alu 0xfffe
	s_or_b32 exec_lo, exec_lo, s7
.LBB139_22:
	s_wait_alu 0xfffe
	s_or_b32 exec_lo, exec_lo, s6
	s_cbranch_execz .LBB139_24
	s_branch .LBB139_35
.LBB139_23:
                                        ; implicit-def: $vgpr17_vgpr18
                                        ; implicit-def: $vgpr24_vgpr25
                                        ; implicit-def: $vgpr26_vgpr27
                                        ; implicit-def: $vgpr28_vgpr29
                                        ; implicit-def: $vgpr19_vgpr20
                                        ; implicit-def: $vgpr22_vgpr23
                                        ; implicit-def: $vgpr15_vgpr16
                                        ; implicit-def: $vgpr13_vgpr14
.LBB139_24:
	v_dual_mov_b32 v26, 0 :: v_dual_mov_b32 v15, 0
	v_dual_mov_b32 v17, 0 :: v_dual_mov_b32 v24, 0
	;; [unrolled: 1-line block ×8, first 2 shown]
	s_and_saveexec_b32 s3, s2
	s_cbranch_execz .LBB139_34
; %bb.25:
	v_add_nc_u32_e32 v10, v37, v0
	v_not_b32_e32 v13, v37
	v_mov_b32_e32 v22, 0
	v_dual_mov_b32 v28, 0 :: v_dual_mov_b32 v17, 0
	s_delay_alu instid0(VALU_DEP_4) | instskip(SKIP_3) | instid1(VALU_DEP_4)
	v_subrev_nc_u32_e32 v10, s12, v10
	v_mov_b32_e32 v26, 0
	v_dual_mov_b32 v24, 0 :: v_dual_mov_b32 v29, 0
	v_mov_b32_e32 v18, 0
	v_dual_mov_b32 v15, 0 :: v_dual_add_nc_u32 v10, 64, v10
	v_dual_mov_b32 v16, 0 :: v_dual_mov_b32 v19, 0
	v_dual_mov_b32 v20, 0 :: v_dual_mov_b32 v25, 0
	s_delay_alu instid0(VALU_DEP_3) | instskip(SKIP_3) | instid1(VALU_DEP_3)
	v_max_i32_e32 v10, v10, v36
	s_mov_b32 s2, exec_lo
	v_mov_b32_e32 v23, 0
	v_mov_b32_e32 v27, 0
	v_add3_u32 v10, s12, v10, v13
	v_mov_b32_e32 v13, 0
	v_mov_b32_e32 v14, 0
	s_delay_alu instid0(VALU_DEP_3) | instskip(NEXT) | instid1(VALU_DEP_1)
	v_sub_nc_u32_e32 v30, v10, v0
	v_and_b32_e32 v10, 0xc0, v30
	s_delay_alu instid0(VALU_DEP_1)
	v_cmpx_ne_u32_e32 0xc0, v10
	s_cbranch_execz .LBB139_29
; %bb.26:
	v_lshrrev_b32_e32 v10, 6, v30
	v_mov_b32_e32 v24, 0
	v_mov_b32_e32 v26, 0
	;; [unrolled: 1-line block ×3, first 2 shown]
	v_dual_mov_b32 v22, 0 :: v_dual_mov_b32 v13, 0
	v_dual_mov_b32 v17, 0 :: v_dual_add_nc_u32 v10, 1, v10
	v_dual_mov_b32 v18, 0 :: v_dual_mov_b32 v25, 0
	s_delay_alu instid0(VALU_DEP_2)
	v_dual_mov_b32 v19, 0 :: v_dual_and_b32 v10, 3, v10
	v_dual_mov_b32 v20, 0 :: v_dual_mov_b32 v15, 0
	v_mov_b32_e32 v27, 0
	v_mov_b32_e32 v29, 0
	v_dual_mov_b32 v23, 0 :: v_dual_mov_b32 v16, 0
	v_mov_b32_e32 v14, 0
	v_sub_nc_u32_e32 v31, 0, v10
	s_mov_b32 s6, 0
.LBB139_27:                             ; =>This Inner Loop Header: Depth=1
	v_ashrrev_i32_e32 v10, 31, v9
	s_delay_alu instid0(VALU_DEP_2) | instskip(SKIP_2) | instid1(VALU_DEP_2)
	v_add_co_u32 v31, s7, v31, 1
	s_wait_alu 0xfffe
	s_or_b32 s6, s7, s6
	v_lshlrev_b64_e32 v[32:33], 2, v[9:10]
	v_add_nc_u32_e32 v9, 64, v9
	s_delay_alu instid0(VALU_DEP_2) | instskip(SKIP_1) | instid1(VALU_DEP_3)
	v_add_co_u32 v32, vcc_lo, s8, v32
	s_wait_alu 0xfffd
	v_add_co_ci_u32_e64 v33, null, s9, v33, vcc_lo
	global_load_b32 v10, v[32:33], off
	s_clause 0x1
	global_load_b128 v[32:35], v[11:12], off offset:16
	global_load_b128 v[37:40], v[11:12], off
	s_wait_loadcnt 0x2
	v_subrev_nc_u32_e32 v10, s12, v10
	s_delay_alu instid0(VALU_DEP_1) | instskip(NEXT) | instid1(VALU_DEP_1)
	v_lshlrev_b32_e32 v41, 2, v10
	v_ashrrev_i32_e32 v42, 31, v41
	s_delay_alu instid0(VALU_DEP_1) | instskip(SKIP_1) | instid1(VALU_DEP_1)
	v_lshlrev_b64_e32 v[41:42], 4, v[41:42]
	s_wait_kmcnt 0x0
	v_add_co_u32 v69, vcc_lo, s4, v41
	s_wait_alu 0xfffd
	s_delay_alu instid0(VALU_DEP_2)
	v_add_co_ci_u32_e64 v70, null, s5, v42, vcc_lo
	s_clause 0x1
	global_load_b128 v[41:44], v[69:70], off
	global_load_b128 v[45:48], v[69:70], off offset:16
	s_clause 0x3
	global_load_b128 v[49:52], v[11:12], off offset:32
	global_load_b128 v[53:56], v[11:12], off offset:48
	;; [unrolled: 1-line block ×4, first 2 shown]
	s_clause 0x1
	global_load_b128 v[65:68], v[69:70], off offset:32
	global_load_b128 v[69:72], v[69:70], off offset:48
	s_clause 0x1
	global_load_b128 v[73:76], v[11:12], off offset:96
	global_load_b128 v[77:80], v[11:12], off offset:112
	v_add_co_u32 v11, vcc_lo, 0x2000, v11
	s_wait_alu 0xfffd
	v_add_co_ci_u32_e64 v12, null, 0, v12, vcc_lo
	s_wait_loadcnt 0x9
	v_fma_f64 v[24:25], v[37:38], v[41:42], v[24:25]
	v_fma_f64 v[17:18], v[41:42], 0, v[17:18]
	;; [unrolled: 1-line block ×16, first 2 shown]
	s_wait_loadcnt 0x7
	v_fma_f64 v[24:25], v[49:50], v[45:46], v[24:25]
	v_fma_f64 v[17:18], v[45:46], 0, v[17:18]
	;; [unrolled: 1-line block ×4, first 2 shown]
	s_wait_loadcnt 0x6
	v_fma_f64 v[22:23], v[53:54], v[45:46], v[22:23]
	v_fma_f64 v[19:20], v[45:46], 0, v[19:20]
	;; [unrolled: 1-line block ×12, first 2 shown]
	s_wait_loadcnt 0x3
	v_fma_f64 v[24:25], v[61:62], v[65:66], v[24:25]
	v_fma_f64 v[17:18], v[65:66], 0, v[17:18]
	;; [unrolled: 1-line block ×16, first 2 shown]
	s_wait_loadcnt 0x1
	v_fma_f64 v[24:25], v[73:74], v[69:70], v[24:25]
	v_fma_f64 v[17:18], v[69:70], 0, v[17:18]
	;; [unrolled: 1-line block ×4, first 2 shown]
	s_wait_loadcnt 0x0
	v_fma_f64 v[22:23], v[77:78], v[69:70], v[22:23]
	v_fma_f64 v[19:20], v[69:70], 0, v[19:20]
	;; [unrolled: 1-line block ×12, first 2 shown]
	s_wait_alu 0xfffe
	s_and_not1_b32 exec_lo, exec_lo, s6
	s_cbranch_execnz .LBB139_27
; %bb.28:
	s_or_b32 exec_lo, exec_lo, s6
.LBB139_29:
	s_wait_alu 0xfffe
	s_or_b32 exec_lo, exec_lo, s2
	s_delay_alu instid0(SALU_CYCLE_1)
	s_mov_b32 s6, exec_lo
	v_cmpx_lt_u32_e32 0xbf, v30
	s_cbranch_execz .LBB139_33
; %bb.30:
	s_mov_b32 s7, 0
.LBB139_31:                             ; =>This Inner Loop Header: Depth=1
	v_ashrrev_i32_e32 v10, 31, v9
	s_delay_alu instid0(VALU_DEP_1) | instskip(SKIP_1) | instid1(VALU_DEP_2)
	v_lshlrev_b64_e32 v[30:31], 2, v[9:10]
	v_add_nc_u32_e32 v9, 0x100, v9
	v_add_co_u32 v34, vcc_lo, s8, v30
	s_wait_alu 0xfffd
	s_delay_alu instid0(VALU_DEP_3)
	v_add_co_ci_u32_e64 v35, null, s9, v31, vcc_lo
	global_load_b32 v10, v[34:35], off
	s_clause 0x1
	global_load_b128 v[30:33], v[11:12], off offset:16
	global_load_b128 v[37:40], v[11:12], off
	s_clause 0x2
	global_load_b32 v89, v[34:35], off offset:256
	global_load_b32 v97, v[34:35], off offset:512
	;; [unrolled: 1-line block ×3, first 2 shown]
	s_wait_loadcnt 0x5
	v_subrev_nc_u32_e32 v10, s12, v10
	s_delay_alu instid0(VALU_DEP_1) | instskip(SKIP_2) | instid1(VALU_DEP_2)
	v_lshlrev_b32_e32 v34, 2, v10
	s_wait_loadcnt 0x2
	v_subrev_nc_u32_e32 v10, s12, v89
	v_ashrrev_i32_e32 v35, 31, v34
	s_delay_alu instid0(VALU_DEP_1) | instskip(SKIP_1) | instid1(VALU_DEP_1)
	v_lshlrev_b64_e32 v[34:35], 4, v[34:35]
	s_wait_kmcnt 0x0
	v_add_co_u32 v34, vcc_lo, s4, v34
	s_wait_alu 0xfffd
	s_delay_alu instid0(VALU_DEP_2)
	v_add_co_ci_u32_e64 v35, null, s5, v35, vcc_lo
	global_load_b128 v[41:44], v[34:35], off
	s_clause 0x1
	global_load_b128 v[45:48], v[11:12], off offset:32
	global_load_b128 v[49:52], v[11:12], off offset:48
	global_load_b128 v[53:56], v[34:35], off offset:16
	s_clause 0x1
	global_load_b128 v[57:60], v[11:12], off offset:80
	global_load_b128 v[61:64], v[11:12], off offset:64
	global_load_b128 v[65:68], v[34:35], off offset:32
	;; [unrolled: 4-line block ×3, first 2 shown]
	s_clause 0x1
	global_load_b128 v[81:84], v[11:12], off offset:8208
	global_load_b128 v[85:88], v[11:12], off offset:8192
	v_lshlrev_b32_e32 v34, 2, v10
	s_wait_loadcnt 0xd
	v_subrev_nc_u32_e32 v10, s12, v97
	s_delay_alu instid0(VALU_DEP_2) | instskip(NEXT) | instid1(VALU_DEP_2)
	v_ashrrev_i32_e32 v35, 31, v34
	v_lshlrev_b32_e32 v97, 2, v10
	s_wait_loadcnt 0xc
	v_subrev_nc_u32_e32 v10, s12, v99
	s_delay_alu instid0(VALU_DEP_3) | instskip(NEXT) | instid1(VALU_DEP_3)
	v_lshlrev_b64_e32 v[34:35], 4, v[34:35]
	v_ashrrev_i32_e32 v98, 31, v97
	s_delay_alu instid0(VALU_DEP_2) | instskip(SKIP_1) | instid1(VALU_DEP_3)
	v_add_co_u32 v34, vcc_lo, s4, v34
	s_wait_alu 0xfffd
	v_add_co_ci_u32_e64 v35, null, s5, v35, vcc_lo
	global_load_b128 v[89:92], v[34:35], off
	s_wait_loadcnt 0xc
	v_fma_f64 v[24:25], v[37:38], v[41:42], v[24:25]
	v_fma_f64 v[17:18], v[41:42], 0, v[17:18]
	v_fma_f64 v[28:29], v[39:40], v[41:42], v[28:29]
	v_fma_f64 v[26:27], v[41:42], 0, v[26:27]
	v_fma_f64 v[22:23], v[30:31], v[41:42], v[22:23]
	v_fma_f64 v[19:20], v[41:42], 0, v[19:20]
	v_fma_f64 v[13:14], v[32:33], v[41:42], v[13:14]
	v_fma_f64 v[15:16], v[41:42], 0, v[15:16]
	v_fma_f64 v[41:42], 0x80000000, v[43:44], v[24:25]
	v_fma_f64 v[37:38], v[37:38], v[43:44], v[17:18]
	v_fma_f64 v[28:29], 0x80000000, v[43:44], v[28:29]
	v_fma_f64 v[26:27], v[39:40], v[43:44], v[26:27]
	v_fma_f64 v[39:40], 0x80000000, v[43:44], v[22:23]
	v_fma_f64 v[30:31], v[30:31], v[43:44], v[19:20]
	v_fma_f64 v[93:94], 0x80000000, v[43:44], v[13:14]
	v_fma_f64 v[32:33], v[32:33], v[43:44], v[15:16]
	s_clause 0x1
	global_load_b128 v[13:16], v[11:12], off offset:8224
	global_load_b128 v[17:20], v[11:12], off offset:8240
	global_load_b128 v[22:25], v[34:35], off offset:16
	s_wait_loadcnt 0xc
	v_fma_f64 v[41:42], v[45:46], v[53:54], v[41:42]
	v_fma_f64 v[37:38], v[53:54], 0, v[37:38]
	v_fma_f64 v[28:29], v[47:48], v[53:54], v[28:29]
	v_fma_f64 v[26:27], v[53:54], 0, v[26:27]
	v_fma_f64 v[39:40], v[49:50], v[53:54], v[39:40]
	v_fma_f64 v[30:31], v[53:54], 0, v[30:31]
	v_fma_f64 v[43:44], v[51:52], v[53:54], v[93:94]
	v_fma_f64 v[32:33], v[53:54], 0, v[32:33]
	v_fma_f64 v[41:42], 0x80000000, v[55:56], v[41:42]
	v_fma_f64 v[45:46], v[45:46], v[55:56], v[37:38]
	v_fma_f64 v[53:54], 0x80000000, v[55:56], v[28:29]
	v_fma_f64 v[47:48], v[47:48], v[55:56], v[26:27]
	v_fma_f64 v[93:94], 0x80000000, v[55:56], v[39:40]
	v_fma_f64 v[49:50], v[49:50], v[55:56], v[30:31]
	v_fma_f64 v[43:44], 0x80000000, v[55:56], v[43:44]
	v_fma_f64 v[51:52], v[51:52], v[55:56], v[32:33]
	s_clause 0x1
	global_load_b128 v[26:29], v[11:12], off offset:8272
	global_load_b128 v[30:33], v[11:12], off offset:8256
	global_load_b128 v[37:40], v[34:35], off offset:32
	;; [unrolled: 21-line block ×3, first 2 shown]
	s_wait_loadcnt 0xc
	v_fma_f64 v[34:35], v[69:70], v[77:78], v[65:66]
	v_fma_f64 v[61:62], v[77:78], 0, v[61:62]
	;; [unrolled: 1-line block ×8, first 2 shown]
	s_clause 0x1
	global_load_b128 v[53:56], v[11:12], off offset:16400
	global_load_b128 v[57:60], v[11:12], off offset:16384
	v_fma_f64 v[34:35], 0x80000000, v[79:80], v[34:35]
	v_fma_f64 v[69:70], v[69:70], v[79:80], v[61:62]
	;; [unrolled: 1-line block ×8, first 2 shown]
	v_lshlrev_b64_e32 v[61:62], 4, v[97:98]
	s_delay_alu instid0(VALU_DEP_1) | instskip(SKIP_1) | instid1(VALU_DEP_2)
	v_add_co_u32 v77, vcc_lo, s4, v61
	s_wait_alu 0xfffd
	v_add_co_ci_u32_e64 v78, null, s5, v62, vcc_lo
	global_load_b128 v[61:64], v[77:78], off
	s_wait_loadcnt 0xc
	v_fma_f64 v[34:35], v[85:86], v[89:90], v[34:35]
	v_fma_f64 v[69:70], v[89:90], 0, v[69:70]
	v_fma_f64 v[65:66], v[87:88], v[89:90], v[65:66]
	v_fma_f64 v[71:72], v[89:90], 0, v[71:72]
	v_fma_f64 v[67:68], v[81:82], v[89:90], v[67:68]
	v_fma_f64 v[73:74], v[89:90], 0, v[73:74]
	v_fma_f64 v[79:80], v[83:84], v[89:90], v[93:94]
	v_fma_f64 v[75:76], v[89:90], 0, v[75:76]
	v_fma_f64 v[34:35], 0x80000000, v[91:92], v[34:35]
	v_fma_f64 v[85:86], v[85:86], v[91:92], v[69:70]
	v_fma_f64 v[89:90], 0x80000000, v[91:92], v[65:66]
	v_fma_f64 v[87:88], v[87:88], v[91:92], v[71:72]
	v_fma_f64 v[93:94], 0x80000000, v[91:92], v[67:68]
	v_fma_f64 v[81:82], v[81:82], v[91:92], v[73:74]
	v_fma_f64 v[79:80], 0x80000000, v[91:92], v[79:80]
	v_fma_f64 v[83:84], v[83:84], v[91:92], v[75:76]
	s_clause 0x1
	global_load_b128 v[65:68], v[11:12], off offset:16416
	global_load_b128 v[69:72], v[11:12], off offset:16432
	global_load_b128 v[73:76], v[77:78], off offset:16
	s_wait_loadcnt 0xc
	v_fma_f64 v[34:35], v[13:14], v[22:23], v[34:35]
	v_fma_f64 v[85:86], v[22:23], 0, v[85:86]
	v_fma_f64 v[89:90], v[15:16], v[22:23], v[89:90]
	v_fma_f64 v[87:88], v[22:23], 0, v[87:88]
	v_fma_f64 v[91:92], v[17:18], v[22:23], v[93:94]
	v_fma_f64 v[81:82], v[22:23], 0, v[81:82]
	v_fma_f64 v[79:80], v[19:20], v[22:23], v[79:80]
	v_fma_f64 v[22:23], v[22:23], 0, v[83:84]
	v_fma_f64 v[34:35], 0x80000000, v[24:25], v[34:35]
	v_fma_f64 v[83:84], v[13:14], v[24:25], v[85:86]
	v_fma_f64 v[85:86], 0x80000000, v[24:25], v[89:90]
	v_fma_f64 v[87:88], v[15:16], v[24:25], v[87:88]
	v_fma_f64 v[89:90], 0x80000000, v[24:25], v[91:92]
	v_fma_f64 v[81:82], v[17:18], v[24:25], v[81:82]
	v_fma_f64 v[79:80], 0x80000000, v[24:25], v[79:80]
	v_fma_f64 v[91:92], v[19:20], v[24:25], v[22:23]
	s_clause 0x1
	global_load_b128 v[13:16], v[11:12], off offset:16464
	global_load_b128 v[17:20], v[11:12], off offset:16448
	global_load_b128 v[22:25], v[77:78], off offset:32
	;; [unrolled: 21-line block ×3, first 2 shown]
	s_wait_loadcnt 0xc
	v_fma_f64 v[34:35], v[41:42], v[49:50], v[34:35]
	v_fma_f64 v[93:94], v[49:50], 0, v[83:84]
	;; [unrolled: 1-line block ×8, first 2 shown]
	v_lshlrev_b32_e32 v91, 2, v10
	s_clause 0x1
	global_load_b128 v[77:80], v[11:12], off offset:24592
	global_load_b128 v[81:84], v[11:12], off offset:24576
	v_ashrrev_i32_e32 v92, 31, v91
	v_fma_f64 v[34:35], 0x80000000, v[51:52], v[34:35]
	v_fma_f64 v[93:94], v[41:42], v[51:52], v[93:94]
	;; [unrolled: 1-line block ×8, first 2 shown]
	v_lshlrev_b64_e32 v[41:42], 4, v[91:92]
	s_delay_alu instid0(VALU_DEP_1) | instskip(SKIP_1) | instid1(VALU_DEP_2)
	v_add_co_u32 v91, vcc_lo, s4, v41
	s_wait_alu 0xfffd
	v_add_co_ci_u32_e64 v92, null, s5, v42, vcc_lo
	v_cmp_ge_i32_e32 vcc_lo, v9, v36
	global_load_b128 v[41:44], v[91:92], off
	s_wait_alu 0xfffe
	s_or_b32 s7, vcc_lo, s7
	s_wait_loadcnt 0xc
	v_fma_f64 v[34:35], v[57:58], v[61:62], v[34:35]
	v_fma_f64 v[49:50], v[61:62], 0, v[93:94]
	v_fma_f64 v[51:52], v[59:60], v[61:62], v[85:86]
	v_fma_f64 v[85:86], v[61:62], 0, v[87:88]
	v_fma_f64 v[87:88], v[53:54], v[61:62], v[89:90]
	v_fma_f64 v[45:46], v[61:62], 0, v[45:46]
	v_fma_f64 v[89:90], v[55:56], v[61:62], v[95:96]
	v_fma_f64 v[47:48], v[61:62], 0, v[47:48]
	v_fma_f64 v[34:35], 0x80000000, v[63:64], v[34:35]
	v_fma_f64 v[57:58], v[57:58], v[63:64], v[49:50]
	v_fma_f64 v[61:62], 0x80000000, v[63:64], v[51:52]
	v_fma_f64 v[59:60], v[59:60], v[63:64], v[85:86]
	v_fma_f64 v[85:86], 0x80000000, v[63:64], v[87:88]
	v_fma_f64 v[87:88], v[53:54], v[63:64], v[45:46]
	v_fma_f64 v[89:90], 0x80000000, v[63:64], v[89:90]
	v_fma_f64 v[63:64], v[55:56], v[63:64], v[47:48]
	s_clause 0x1
	global_load_b128 v[45:48], v[11:12], off offset:24608
	global_load_b128 v[49:52], v[11:12], off offset:24624
	global_load_b128 v[53:56], v[91:92], off offset:16
	s_wait_loadcnt 0xc
	v_fma_f64 v[34:35], v[65:66], v[73:74], v[34:35]
	v_fma_f64 v[57:58], v[73:74], 0, v[57:58]
	v_fma_f64 v[61:62], v[67:68], v[73:74], v[61:62]
	v_fma_f64 v[59:60], v[73:74], 0, v[59:60]
	v_fma_f64 v[85:86], v[69:70], v[73:74], v[85:86]
	v_fma_f64 v[87:88], v[73:74], 0, v[87:88]
	v_fma_f64 v[89:90], v[71:72], v[73:74], v[89:90]
	v_fma_f64 v[63:64], v[73:74], 0, v[63:64]
	v_fma_f64 v[34:35], 0x80000000, v[75:76], v[34:35]
	v_fma_f64 v[73:74], v[65:66], v[75:76], v[57:58]
	v_fma_f64 v[93:94], 0x80000000, v[75:76], v[61:62]
	v_fma_f64 v[95:96], v[67:68], v[75:76], v[59:60]
	v_fma_f64 v[85:86], 0x80000000, v[75:76], v[85:86]
	v_fma_f64 v[69:70], v[69:70], v[75:76], v[87:88]
	v_fma_f64 v[87:88], 0x80000000, v[75:76], v[89:90]
	v_fma_f64 v[71:72], v[71:72], v[75:76], v[63:64]
	s_clause 0x1
	global_load_b128 v[57:60], v[11:12], off offset:24656
	global_load_b128 v[61:64], v[11:12], off offset:24640
	global_load_b128 v[65:68], v[91:92], off offset:32
	;; [unrolled: 21-line block ×3, first 2 shown]
	v_add_co_u32 v11, s2, 0x8000, v11
	s_wait_alu 0xf1ff
	v_add_co_ci_u32_e64 v12, null, 0, v12, s2
	s_wait_loadcnt 0xc
	v_fma_f64 v[24:25], v[26:27], v[37:38], v[34:35]
	v_fma_f64 v[17:18], v[37:38], 0, v[17:18]
	v_fma_f64 v[34:35], v[28:29], v[37:38], v[93:94]
	v_fma_f64 v[19:20], v[37:38], 0, v[19:20]
	v_fma_f64 v[85:86], v[30:31], v[37:38], v[85:86]
	v_fma_f64 v[89:90], v[37:38], 0, v[89:90]
	v_fma_f64 v[87:88], v[32:33], v[37:38], v[87:88]
	v_fma_f64 v[22:23], v[37:38], 0, v[22:23]
	v_fma_f64 v[24:25], 0x80000000, v[39:40], v[24:25]
	v_fma_f64 v[17:18], v[26:27], v[39:40], v[17:18]
	v_fma_f64 v[26:27], 0x80000000, v[39:40], v[34:35]
	v_fma_f64 v[19:20], v[28:29], v[39:40], v[19:20]
	v_fma_f64 v[28:29], 0x80000000, v[39:40], v[85:86]
	v_fma_f64 v[30:31], v[30:31], v[39:40], v[89:90]
	v_fma_f64 v[34:35], 0x80000000, v[39:40], v[87:88]
	v_fma_f64 v[22:23], v[32:33], v[39:40], v[22:23]
	s_wait_loadcnt 0x9
	v_fma_f64 v[24:25], v[81:82], v[41:42], v[24:25]
	v_fma_f64 v[17:18], v[41:42], 0, v[17:18]
	v_fma_f64 v[26:27], v[83:84], v[41:42], v[26:27]
	v_fma_f64 v[19:20], v[41:42], 0, v[19:20]
	v_fma_f64 v[28:29], v[77:78], v[41:42], v[28:29]
	v_fma_f64 v[30:31], v[41:42], 0, v[30:31]
	v_fma_f64 v[32:33], v[79:80], v[41:42], v[34:35]
	v_fma_f64 v[22:23], v[41:42], 0, v[22:23]
	v_fma_f64 v[24:25], 0x80000000, v[43:44], v[24:25]
	v_fma_f64 v[17:18], v[81:82], v[43:44], v[17:18]
	v_fma_f64 v[26:27], 0x80000000, v[43:44], v[26:27]
	v_fma_f64 v[19:20], v[83:84], v[43:44], v[19:20]
	v_fma_f64 v[28:29], 0x80000000, v[43:44], v[28:29]
	v_fma_f64 v[30:31], v[77:78], v[43:44], v[30:31]
	v_fma_f64 v[32:33], 0x80000000, v[43:44], v[32:33]
	v_fma_f64 v[22:23], v[79:80], v[43:44], v[22:23]
	;; [unrolled: 17-line block ×5, first 2 shown]
	s_wait_alu 0xfffe
	s_and_not1_b32 exec_lo, exec_lo, s7
	s_cbranch_execnz .LBB139_31
; %bb.32:
	s_or_b32 exec_lo, exec_lo, s7
.LBB139_33:
	s_wait_alu 0xfffe
	s_or_b32 exec_lo, exec_lo, s6
.LBB139_34:
	s_wait_alu 0xfffe
	s_or_b32 exec_lo, exec_lo, s3
.LBB139_35:
	v_mbcnt_lo_u32_b32 v44, -1, 0
	s_delay_alu instid0(VALU_DEP_1) | instskip(NEXT) | instid1(VALU_DEP_1)
	v_or_b32_e32 v9, 32, v44
	v_cmp_gt_i32_e32 vcc_lo, 32, v9
	s_wait_alu 0xfffd
	v_cndmask_b32_e32 v9, v44, v9, vcc_lo
	s_delay_alu instid0(VALU_DEP_1)
	v_lshlrev_b32_e32 v41, 2, v9
	ds_bpermute_b32 v9, v41, v24
	ds_bpermute_b32 v10, v41, v25
	;; [unrolled: 1-line block ×4, first 2 shown]
	s_wait_dscnt 0x2
	v_add_f64_e32 v[9:10], v[24:25], v[9:10]
	s_wait_dscnt 0x0
	v_add_f64_e32 v[24:25], v[26:27], v[32:33]
	v_xor_b32_e32 v26, 16, v44
	s_delay_alu instid0(VALU_DEP_1)
	v_cmp_gt_i32_e32 vcc_lo, 32, v26
	s_wait_alu 0xfffd
	v_cndmask_b32_e32 v26, v44, v26, vcc_lo
	ds_bpermute_b32 v11, v41, v17
	ds_bpermute_b32 v12, v41, v18
	;; [unrolled: 1-line block ×12, first 2 shown]
	s_wait_dscnt 0xa
	v_add_f64_e32 v[11:12], v[17:18], v[11:12]
	s_wait_dscnt 0x8
	v_add_f64_e32 v[17:18], v[28:29], v[30:31]
	;; [unrolled: 2-line block ×6, first 2 shown]
	v_lshlrev_b32_e32 v41, 2, v26
	ds_bpermute_b32 v26, v41, v9
	ds_bpermute_b32 v27, v41, v10
	;; [unrolled: 1-line block ×4, first 2 shown]
	s_wait_dscnt 0x2
	v_add_f64_e32 v[9:10], v[9:10], v[26:27]
	ds_bpermute_b32 v28, v41, v11
	ds_bpermute_b32 v29, v41, v12
	;; [unrolled: 1-line block ×12, first 2 shown]
	s_wait_dscnt 0xc
	v_add_f64_e32 v[24:25], v[24:25], v[32:33]
	v_xor_b32_e32 v26, 8, v44
	s_delay_alu instid0(VALU_DEP_1)
	v_cmp_gt_i32_e32 vcc_lo, 32, v26
	s_wait_dscnt 0xa
	v_add_f64_e32 v[11:12], v[11:12], v[28:29]
	s_wait_dscnt 0x8
	v_add_f64_e32 v[17:18], v[17:18], v[30:31]
	s_wait_alu 0xfffd
	v_cndmask_b32_e32 v26, v44, v26, vcc_lo
	s_wait_dscnt 0x6
	v_add_f64_e32 v[22:23], v[22:23], v[34:35]
	s_wait_dscnt 0x4
	v_add_f64_e32 v[19:20], v[19:20], v[36:37]
	;; [unrolled: 2-line block ×4, first 2 shown]
	v_lshlrev_b32_e32 v41, 2, v26
	ds_bpermute_b32 v26, v41, v9
	ds_bpermute_b32 v27, v41, v10
	;; [unrolled: 1-line block ×4, first 2 shown]
	s_wait_dscnt 0x2
	v_add_f64_e32 v[9:10], v[9:10], v[26:27]
	ds_bpermute_b32 v28, v41, v11
	ds_bpermute_b32 v29, v41, v12
	;; [unrolled: 1-line block ×12, first 2 shown]
	s_wait_dscnt 0xc
	v_add_f64_e32 v[24:25], v[24:25], v[32:33]
	v_xor_b32_e32 v26, 4, v44
	s_delay_alu instid0(VALU_DEP_1)
	v_cmp_gt_i32_e32 vcc_lo, 32, v26
	s_wait_dscnt 0xa
	v_add_f64_e32 v[11:12], v[11:12], v[28:29]
	s_wait_dscnt 0x8
	v_add_f64_e32 v[17:18], v[17:18], v[30:31]
	s_wait_alu 0xfffd
	v_cndmask_b32_e32 v26, v44, v26, vcc_lo
	s_wait_dscnt 0x6
	v_add_f64_e32 v[22:23], v[22:23], v[34:35]
	s_wait_dscnt 0x4
	v_add_f64_e32 v[19:20], v[19:20], v[36:37]
	;; [unrolled: 2-line block ×4, first 2 shown]
	v_lshlrev_b32_e32 v41, 2, v26
	ds_bpermute_b32 v26, v41, v9
	ds_bpermute_b32 v27, v41, v10
	;; [unrolled: 1-line block ×4, first 2 shown]
	s_wait_dscnt 0x2
	v_add_f64_e32 v[9:10], v[9:10], v[26:27]
	ds_bpermute_b32 v28, v41, v11
	ds_bpermute_b32 v29, v41, v12
	;; [unrolled: 1-line block ×12, first 2 shown]
	s_wait_dscnt 0xc
	v_add_f64_e32 v[24:25], v[24:25], v[32:33]
	s_wait_dscnt 0xa
	v_add_f64_e32 v[11:12], v[11:12], v[28:29]
	;; [unrolled: 2-line block ×6, first 2 shown]
	v_xor_b32_e32 v13, 2, v44
	s_wait_dscnt 0x0
	v_add_f64_e32 v[30:31], v[15:16], v[40:41]
	s_delay_alu instid0(VALU_DEP_2) | instskip(SKIP_2) | instid1(VALU_DEP_1)
	v_cmp_gt_i32_e32 vcc_lo, 32, v13
	s_wait_alu 0xfffd
	v_cndmask_b32_e32 v13, v44, v13, vcc_lo
	v_lshlrev_b32_e32 v28, 2, v13
	ds_bpermute_b32 v13, v28, v9
	ds_bpermute_b32 v14, v28, v10
	;; [unrolled: 1-line block ×16, first 2 shown]
	s_wait_dscnt 0xe
	v_add_f64_e32 v[9:10], v[9:10], v[13:14]
	s_wait_dscnt 0xc
	v_add_f64_e32 v[24:25], v[24:25], v[34:35]
	;; [unrolled: 2-line block ×5, first 2 shown]
	v_xor_b32_e32 v22, 1, v44
	s_wait_dscnt 0x4
	v_add_f64_e32 v[19:20], v[19:20], v[38:39]
	s_wait_dscnt 0x2
	v_add_f64_e32 v[15:16], v[26:27], v[40:41]
	;; [unrolled: 2-line block ×3, first 2 shown]
	v_cmp_gt_i32_e32 vcc_lo, 32, v22
	s_wait_alu 0xfffd
	v_cndmask_b32_e32 v22, v44, v22, vcc_lo
	v_cmp_eq_u32_e32 vcc_lo, 63, v0
	s_delay_alu instid0(VALU_DEP_2)
	v_lshlrev_b32_e32 v35, 2, v22
	ds_bpermute_b32 v22, v35, v9
	ds_bpermute_b32 v23, v35, v10
	;; [unrolled: 1-line block ×16, first 2 shown]
	s_and_b32 exec_lo, exec_lo, vcc_lo
	s_cbranch_execz .LBB139_8
; %bb.36:
	s_wait_dscnt 0xa
	v_add_f64_e32 v[28:29], v[28:29], v[40:41]
	v_add_f64_e32 v[24:25], v[24:25], v[38:39]
	s_wait_dscnt 0x4
	v_add_f64_e32 v[19:20], v[19:20], v[36:37]
	s_wait_dscnt 0x0
	v_add_f64_e32 v[17:18], v[17:18], v[34:35]
	v_add_f64_e32 v[9:10], v[9:10], v[22:23]
	;; [unrolled: 1-line block ×5, first 2 shown]
	v_cmp_eq_f64_e32 vcc_lo, 0, v[1:2]
	v_cmp_eq_f64_e64 s2, 0, v[3:4]
	s_load_b64 s[0:1], s[0:1], 0x60
	v_lshlrev_b32_e32 v21, 2, v21
	v_mul_f64_e64 v[13:14], v[28:29], -v[7:8]
	v_mul_f64_e32 v[15:16], v[5:6], v[28:29]
	v_mul_f64_e64 v[28:29], v[24:25], -v[7:8]
	v_mul_f64_e32 v[24:25], v[5:6], v[24:25]
	;; [unrolled: 2-line block ×4, first 2 shown]
	s_and_b32 s2, vcc_lo, s2
	v_fma_f64 v[17:18], v[5:6], v[9:10], v[13:14]
	v_fma_f64 v[19:20], v[7:8], v[9:10], v[15:16]
	;; [unrolled: 1-line block ×8, first 2 shown]
	s_wait_alu 0xfffe
	s_and_saveexec_b32 s3, s2
	s_wait_alu 0xfffe
	s_xor_b32 s2, exec_lo, s3
	s_cbranch_execz .LBB139_38
; %bb.37:
	v_ashrrev_i32_e32 v22, 31, v21
	s_delay_alu instid0(VALU_DEP_1) | instskip(SKIP_1) | instid1(VALU_DEP_1)
	v_lshlrev_b64_e32 v[0:1], 4, v[21:22]
                                        ; implicit-def: $vgpr21
	s_wait_kmcnt 0x0
	v_add_co_u32 v0, vcc_lo, s0, v0
	s_wait_alu 0xfffd
	s_delay_alu instid0(VALU_DEP_2)
	v_add_co_ci_u32_e64 v1, null, s1, v1, vcc_lo
	s_clause 0x3
	global_store_b128 v[0:1], v[17:20], off
	global_store_b128 v[0:1], v[13:16], off offset:16
	global_store_b128 v[0:1], v[9:12], off offset:32
	;; [unrolled: 1-line block ×3, first 2 shown]
                                        ; implicit-def: $vgpr3_vgpr4
                                        ; implicit-def: $vgpr17_vgpr18
                                        ; implicit-def: $vgpr13_vgpr14
                                        ; implicit-def: $vgpr9_vgpr10
                                        ; implicit-def: $vgpr5_vgpr6
.LBB139_38:
	s_wait_alu 0xfffe
	s_and_not1_saveexec_b32 s2, s2
	s_cbranch_execz .LBB139_8
; %bb.39:
	v_ashrrev_i32_e32 v22, 31, v21
	s_delay_alu instid0(VALU_DEP_1) | instskip(SKIP_1) | instid1(VALU_DEP_1)
	v_lshlrev_b64_e32 v[21:22], 4, v[21:22]
	s_wait_kmcnt 0x0
	v_add_co_u32 v37, vcc_lo, s0, v21
	s_wait_alu 0xfffd
	s_delay_alu instid0(VALU_DEP_2)
	v_add_co_ci_u32_e64 v38, null, s1, v22, vcc_lo
	s_clause 0x3
	global_load_b128 v[21:24], v[37:38], off
	global_load_b128 v[25:28], v[37:38], off offset:16
	global_load_b128 v[29:32], v[37:38], off offset:32
	;; [unrolled: 1-line block ×3, first 2 shown]
	s_wait_loadcnt 0x3
	v_fma_f64 v[17:18], v[1:2], v[21:22], v[17:18]
	v_fma_f64 v[19:20], v[3:4], v[21:22], v[19:20]
	s_wait_loadcnt 0x2
	v_fma_f64 v[13:14], v[1:2], v[25:26], v[13:14]
	v_fma_f64 v[15:16], v[3:4], v[25:26], v[15:16]
	;; [unrolled: 3-line block ×4, first 2 shown]
	v_fma_f64 v[5:6], -v[3:4], v[23:24], v[17:18]
	v_fma_f64 v[7:8], v[1:2], v[23:24], v[19:20]
	v_fma_f64 v[9:10], -v[3:4], v[27:28], v[13:14]
	v_fma_f64 v[11:12], v[1:2], v[27:28], v[15:16]
	;; [unrolled: 2-line block ×4, first 2 shown]
	s_clause 0x3
	global_store_b128 v[37:38], v[5:8], off
	global_store_b128 v[37:38], v[9:12], off offset:16
	global_store_b128 v[37:38], v[13:16], off offset:32
	;; [unrolled: 1-line block ×3, first 2 shown]
	s_nop 0
	s_sendmsg sendmsg(MSG_DEALLOC_VGPRS)
	s_endpgm
	.section	.rodata,"a",@progbits
	.p2align	6, 0x0
	.amdhsa_kernel _ZN9rocsparseL18bsrxmvn_4x4_kernelILj128ELj64E21rocsparse_complex_numIdEiidS2_S2_EEvT3_20rocsparse_direction_NS_24const_host_device_scalarIT1_EES3_PKS3_PKT2_SC_S9_PKT4_PKT5_S7_PT6_21rocsparse_index_base_b
		.amdhsa_group_segment_fixed_size 0
		.amdhsa_private_segment_fixed_size 0
		.amdhsa_kernarg_size 112
		.amdhsa_user_sgpr_count 2
		.amdhsa_user_sgpr_dispatch_ptr 0
		.amdhsa_user_sgpr_queue_ptr 0
		.amdhsa_user_sgpr_kernarg_segment_ptr 1
		.amdhsa_user_sgpr_dispatch_id 0
		.amdhsa_user_sgpr_private_segment_size 0
		.amdhsa_wavefront_size32 1
		.amdhsa_uses_dynamic_stack 0
		.amdhsa_enable_private_segment 0
		.amdhsa_system_sgpr_workgroup_id_x 1
		.amdhsa_system_sgpr_workgroup_id_y 0
		.amdhsa_system_sgpr_workgroup_id_z 0
		.amdhsa_system_sgpr_workgroup_info 0
		.amdhsa_system_vgpr_workitem_id 0
		.amdhsa_next_free_vgpr 114
		.amdhsa_next_free_sgpr 14
		.amdhsa_reserve_vcc 1
		.amdhsa_float_round_mode_32 0
		.amdhsa_float_round_mode_16_64 0
		.amdhsa_float_denorm_mode_32 3
		.amdhsa_float_denorm_mode_16_64 3
		.amdhsa_fp16_overflow 0
		.amdhsa_workgroup_processor_mode 1
		.amdhsa_memory_ordered 1
		.amdhsa_forward_progress 1
		.amdhsa_inst_pref_size 92
		.amdhsa_round_robin_scheduling 0
		.amdhsa_exception_fp_ieee_invalid_op 0
		.amdhsa_exception_fp_denorm_src 0
		.amdhsa_exception_fp_ieee_div_zero 0
		.amdhsa_exception_fp_ieee_overflow 0
		.amdhsa_exception_fp_ieee_underflow 0
		.amdhsa_exception_fp_ieee_inexact 0
		.amdhsa_exception_int_div_zero 0
	.end_amdhsa_kernel
	.section	.text._ZN9rocsparseL18bsrxmvn_4x4_kernelILj128ELj64E21rocsparse_complex_numIdEiidS2_S2_EEvT3_20rocsparse_direction_NS_24const_host_device_scalarIT1_EES3_PKS3_PKT2_SC_S9_PKT4_PKT5_S7_PT6_21rocsparse_index_base_b,"axG",@progbits,_ZN9rocsparseL18bsrxmvn_4x4_kernelILj128ELj64E21rocsparse_complex_numIdEiidS2_S2_EEvT3_20rocsparse_direction_NS_24const_host_device_scalarIT1_EES3_PKS3_PKT2_SC_S9_PKT4_PKT5_S7_PT6_21rocsparse_index_base_b,comdat
.Lfunc_end139:
	.size	_ZN9rocsparseL18bsrxmvn_4x4_kernelILj128ELj64E21rocsparse_complex_numIdEiidS2_S2_EEvT3_20rocsparse_direction_NS_24const_host_device_scalarIT1_EES3_PKS3_PKT2_SC_S9_PKT4_PKT5_S7_PT6_21rocsparse_index_base_b, .Lfunc_end139-_ZN9rocsparseL18bsrxmvn_4x4_kernelILj128ELj64E21rocsparse_complex_numIdEiidS2_S2_EEvT3_20rocsparse_direction_NS_24const_host_device_scalarIT1_EES3_PKS3_PKT2_SC_S9_PKT4_PKT5_S7_PT6_21rocsparse_index_base_b
                                        ; -- End function
	.set _ZN9rocsparseL18bsrxmvn_4x4_kernelILj128ELj64E21rocsparse_complex_numIdEiidS2_S2_EEvT3_20rocsparse_direction_NS_24const_host_device_scalarIT1_EES3_PKS3_PKT2_SC_S9_PKT4_PKT5_S7_PT6_21rocsparse_index_base_b.num_vgpr, 114
	.set _ZN9rocsparseL18bsrxmvn_4x4_kernelILj128ELj64E21rocsparse_complex_numIdEiidS2_S2_EEvT3_20rocsparse_direction_NS_24const_host_device_scalarIT1_EES3_PKS3_PKT2_SC_S9_PKT4_PKT5_S7_PT6_21rocsparse_index_base_b.num_agpr, 0
	.set _ZN9rocsparseL18bsrxmvn_4x4_kernelILj128ELj64E21rocsparse_complex_numIdEiidS2_S2_EEvT3_20rocsparse_direction_NS_24const_host_device_scalarIT1_EES3_PKS3_PKT2_SC_S9_PKT4_PKT5_S7_PT6_21rocsparse_index_base_b.numbered_sgpr, 14
	.set _ZN9rocsparseL18bsrxmvn_4x4_kernelILj128ELj64E21rocsparse_complex_numIdEiidS2_S2_EEvT3_20rocsparse_direction_NS_24const_host_device_scalarIT1_EES3_PKS3_PKT2_SC_S9_PKT4_PKT5_S7_PT6_21rocsparse_index_base_b.num_named_barrier, 0
	.set _ZN9rocsparseL18bsrxmvn_4x4_kernelILj128ELj64E21rocsparse_complex_numIdEiidS2_S2_EEvT3_20rocsparse_direction_NS_24const_host_device_scalarIT1_EES3_PKS3_PKT2_SC_S9_PKT4_PKT5_S7_PT6_21rocsparse_index_base_b.private_seg_size, 0
	.set _ZN9rocsparseL18bsrxmvn_4x4_kernelILj128ELj64E21rocsparse_complex_numIdEiidS2_S2_EEvT3_20rocsparse_direction_NS_24const_host_device_scalarIT1_EES3_PKS3_PKT2_SC_S9_PKT4_PKT5_S7_PT6_21rocsparse_index_base_b.uses_vcc, 1
	.set _ZN9rocsparseL18bsrxmvn_4x4_kernelILj128ELj64E21rocsparse_complex_numIdEiidS2_S2_EEvT3_20rocsparse_direction_NS_24const_host_device_scalarIT1_EES3_PKS3_PKT2_SC_S9_PKT4_PKT5_S7_PT6_21rocsparse_index_base_b.uses_flat_scratch, 0
	.set _ZN9rocsparseL18bsrxmvn_4x4_kernelILj128ELj64E21rocsparse_complex_numIdEiidS2_S2_EEvT3_20rocsparse_direction_NS_24const_host_device_scalarIT1_EES3_PKS3_PKT2_SC_S9_PKT4_PKT5_S7_PT6_21rocsparse_index_base_b.has_dyn_sized_stack, 0
	.set _ZN9rocsparseL18bsrxmvn_4x4_kernelILj128ELj64E21rocsparse_complex_numIdEiidS2_S2_EEvT3_20rocsparse_direction_NS_24const_host_device_scalarIT1_EES3_PKS3_PKT2_SC_S9_PKT4_PKT5_S7_PT6_21rocsparse_index_base_b.has_recursion, 0
	.set _ZN9rocsparseL18bsrxmvn_4x4_kernelILj128ELj64E21rocsparse_complex_numIdEiidS2_S2_EEvT3_20rocsparse_direction_NS_24const_host_device_scalarIT1_EES3_PKS3_PKT2_SC_S9_PKT4_PKT5_S7_PT6_21rocsparse_index_base_b.has_indirect_call, 0
	.section	.AMDGPU.csdata,"",@progbits
; Kernel info:
; codeLenInByte = 11732
; TotalNumSgprs: 16
; NumVgprs: 114
; ScratchSize: 0
; MemoryBound: 0
; FloatMode: 240
; IeeeMode: 1
; LDSByteSize: 0 bytes/workgroup (compile time only)
; SGPRBlocks: 0
; VGPRBlocks: 14
; NumSGPRsForWavesPerEU: 16
; NumVGPRsForWavesPerEU: 114
; Occupancy: 12
; WaveLimiterHint : 1
; COMPUTE_PGM_RSRC2:SCRATCH_EN: 0
; COMPUTE_PGM_RSRC2:USER_SGPR: 2
; COMPUTE_PGM_RSRC2:TRAP_HANDLER: 0
; COMPUTE_PGM_RSRC2:TGID_X_EN: 1
; COMPUTE_PGM_RSRC2:TGID_Y_EN: 0
; COMPUTE_PGM_RSRC2:TGID_Z_EN: 0
; COMPUTE_PGM_RSRC2:TIDIG_COMP_CNT: 0
	.section	.text._ZN9rocsparseL18bsrxmvn_4x4_kernelILj128ELj4E21rocsparse_complex_numIdElidS2_S2_EEvT3_20rocsparse_direction_NS_24const_host_device_scalarIT1_EES3_PKS3_PKT2_SC_S9_PKT4_PKT5_S7_PT6_21rocsparse_index_base_b,"axG",@progbits,_ZN9rocsparseL18bsrxmvn_4x4_kernelILj128ELj4E21rocsparse_complex_numIdElidS2_S2_EEvT3_20rocsparse_direction_NS_24const_host_device_scalarIT1_EES3_PKS3_PKT2_SC_S9_PKT4_PKT5_S7_PT6_21rocsparse_index_base_b,comdat
	.globl	_ZN9rocsparseL18bsrxmvn_4x4_kernelILj128ELj4E21rocsparse_complex_numIdElidS2_S2_EEvT3_20rocsparse_direction_NS_24const_host_device_scalarIT1_EES3_PKS3_PKT2_SC_S9_PKT4_PKT5_S7_PT6_21rocsparse_index_base_b ; -- Begin function _ZN9rocsparseL18bsrxmvn_4x4_kernelILj128ELj4E21rocsparse_complex_numIdElidS2_S2_EEvT3_20rocsparse_direction_NS_24const_host_device_scalarIT1_EES3_PKS3_PKT2_SC_S9_PKT4_PKT5_S7_PT6_21rocsparse_index_base_b
	.p2align	8
	.type	_ZN9rocsparseL18bsrxmvn_4x4_kernelILj128ELj4E21rocsparse_complex_numIdElidS2_S2_EEvT3_20rocsparse_direction_NS_24const_host_device_scalarIT1_EES3_PKS3_PKT2_SC_S9_PKT4_PKT5_S7_PT6_21rocsparse_index_base_b,@function
_ZN9rocsparseL18bsrxmvn_4x4_kernelILj128ELj4E21rocsparse_complex_numIdElidS2_S2_EEvT3_20rocsparse_direction_NS_24const_host_device_scalarIT1_EES3_PKS3_PKT2_SC_S9_PKT4_PKT5_S7_PT6_21rocsparse_index_base_b: ; @_ZN9rocsparseL18bsrxmvn_4x4_kernelILj128ELj4E21rocsparse_complex_numIdElidS2_S2_EEvT3_20rocsparse_direction_NS_24const_host_device_scalarIT1_EES3_PKS3_PKT2_SC_S9_PKT4_PKT5_S7_PT6_21rocsparse_index_base_b
; %bb.0:
	s_clause 0x1
	s_load_b64 s[12:13], s[0:1], 0x68
	s_load_b64 s[2:3], s[0:1], 0x8
	s_add_nc_u64 s[4:5], s[0:1], 8
	s_load_b64 s[6:7], s[0:1], 0x50
	s_wait_kmcnt 0x0
	s_bitcmp1_b32 s13, 0
	s_cselect_b32 s2, s4, s2
	s_cselect_b32 s3, s5, s3
	s_delay_alu instid0(SALU_CYCLE_1)
	v_dual_mov_b32 v1, s2 :: v_dual_mov_b32 v2, s3
	s_add_nc_u64 s[2:3], s[0:1], 0x50
	s_wait_alu 0xfffe
	s_cselect_b32 s2, s2, s6
	s_cselect_b32 s3, s3, s7
	flat_load_b128 v[5:8], v[1:2]
	s_wait_alu 0xfffe
	v_dual_mov_b32 v1, s2 :: v_dual_mov_b32 v2, s3
	flat_load_b128 v[1:4], v[1:2]
	s_wait_loadcnt_dscnt 0x101
	v_cmp_eq_f64_e32 vcc_lo, 0, v[5:6]
	v_cmp_eq_f64_e64 s2, 0, v[7:8]
	s_and_b32 s4, vcc_lo, s2
	s_mov_b32 s2, -1
	s_and_saveexec_b32 s3, s4
	s_cbranch_execz .LBB140_2
; %bb.1:
	s_wait_loadcnt_dscnt 0x0
	v_cmp_neq_f64_e32 vcc_lo, 1.0, v[1:2]
	v_cmp_neq_f64_e64 s2, 0, v[3:4]
	s_wait_alu 0xfffe
	s_or_b32 s2, vcc_lo, s2
	s_wait_alu 0xfffe
	s_or_not1_b32 s2, s2, exec_lo
.LBB140_2:
	s_wait_alu 0xfffe
	s_or_b32 exec_lo, exec_lo, s3
	s_and_saveexec_b32 s3, s2
	s_cbranch_execz .LBB140_8
; %bb.3:
	s_clause 0x1
	s_load_b64 s[4:5], s[0:1], 0x20
	s_load_b64 s[2:3], s[0:1], 0x0
	v_lshrrev_b32_e32 v9, 2, v0
	s_delay_alu instid0(VALU_DEP_1)
	v_lshl_or_b32 v21, ttmp9, 5, v9
	s_wait_kmcnt 0x0
	s_cmp_lg_u64 s[4:5], 0
	s_cbranch_scc0 .LBB140_9
; %bb.4:
	s_load_b32 s6, s[0:1], 0x18
	s_mov_b32 s7, 0
                                        ; implicit-def: $vgpr9
	s_wait_kmcnt 0x0
	v_cmp_gt_i32_e32 vcc_lo, s6, v21
	s_mov_b32 s6, 0
	s_and_saveexec_b32 s8, vcc_lo
	s_delay_alu instid0(SALU_CYCLE_1)
	s_xor_b32 s8, exec_lo, s8
	s_cbranch_execz .LBB140_6
; %bb.5:
	v_ashrrev_i32_e32 v22, 31, v21
	s_mov_b32 s6, exec_lo
	s_delay_alu instid0(VALU_DEP_1) | instskip(NEXT) | instid1(VALU_DEP_1)
	v_lshlrev_b64_e32 v[9:10], 2, v[21:22]
	v_add_co_u32 v9, vcc_lo, s4, v9
	s_delay_alu instid0(VALU_DEP_1)
	v_add_co_ci_u32_e64 v10, null, s5, v10, vcc_lo
	global_load_b32 v9, v[9:10], off
	s_wait_loadcnt 0x0
	v_subrev_nc_u32_e32 v9, s12, v9
.LBB140_6:
	s_or_b32 exec_lo, exec_lo, s8
	s_delay_alu instid0(SALU_CYCLE_1)
	s_and_b32 vcc_lo, exec_lo, s7
	s_wait_alu 0xfffe
	s_cbranch_vccz .LBB140_10
.LBB140_7:
	v_cmp_gt_i32_e32 vcc_lo, s2, v21
	s_and_not1_b32 s2, s6, exec_lo
	s_and_b32 s4, vcc_lo, exec_lo
	s_wait_alu 0xfffe
	s_or_b32 s6, s2, s4
	s_wait_alu 0xfffe
	s_and_b32 exec_lo, exec_lo, s6
	s_cbranch_execnz .LBB140_11
.LBB140_8:
	s_nop 0
	s_sendmsg sendmsg(MSG_DEALLOC_VGPRS)
	s_endpgm
.LBB140_9:
	s_mov_b32 s6, 0
                                        ; implicit-def: $vgpr9
	s_cbranch_execnz .LBB140_7
.LBB140_10:
	v_mov_b32_e32 v21, v9
	s_and_b32 exec_lo, exec_lo, s6
	s_cbranch_execz .LBB140_8
.LBB140_11:
	s_load_b256 s[4:11], s[0:1], 0x28
	s_delay_alu instid0(VALU_DEP_1) | instskip(SKIP_1) | instid1(VALU_DEP_2)
	v_ashrrev_i32_e32 v22, 31, v21
	v_and_b32_e32 v0, 3, v0
	v_lshlrev_b64_e32 v[9:10], 3, v[21:22]
	s_wait_kmcnt 0x0
	s_delay_alu instid0(VALU_DEP_1) | instskip(SKIP_1) | instid1(VALU_DEP_2)
	v_add_co_u32 v11, vcc_lo, s4, v9
	s_wait_alu 0xfffd
	v_add_co_ci_u32_e64 v12, null, s5, v10, vcc_lo
	v_add_co_u32 v9, vcc_lo, s6, v9
	s_wait_alu 0xfffd
	v_add_co_ci_u32_e64 v10, null, s7, v10, vcc_lo
	v_add_co_u32 v13, vcc_lo, v11, 8
	global_load_b64 v[32:33], v[11:12], off
	s_wait_alu 0xfffd
	v_add_co_ci_u32_e64 v14, null, 0, v12, vcc_lo
	s_cmp_eq_u64 s[6:7], 0
	s_load_b64 s[4:5], s[0:1], 0x48
	s_cselect_b32 vcc_lo, -1, 0
	s_cmp_eq_u32 s3, 1
	s_wait_alu 0xfffe
	v_dual_cndmask_b32 v10, v10, v14 :: v_dual_cndmask_b32 v9, v9, v13
	global_load_b64 v[11:12], v[9:10], off
	s_wait_loadcnt 0x1
	v_sub_co_u32 v9, vcc_lo, v32, s12
	s_wait_alu 0xfffd
	v_subrev_co_ci_u32_e64 v10, null, 0, v33, vcc_lo
	s_delay_alu instid0(VALU_DEP_2) | instskip(SKIP_1) | instid1(VALU_DEP_2)
	v_add_co_u32 v9, vcc_lo, v9, v0
	s_wait_alu 0xfffd
	v_add_co_ci_u32_e64 v10, null, 0, v10, vcc_lo
	s_delay_alu instid0(VALU_DEP_1) | instskip(SKIP_4) | instid1(VALU_DEP_3)
	v_lshlrev_b64_e32 v[13:14], 7, v[9:10]
	s_wait_loadcnt 0x0
	v_sub_co_u32 v11, vcc_lo, v11, s12
	s_wait_alu 0xfffd
	v_subrev_co_ci_u32_e64 v12, null, 0, v12, vcc_lo
	v_add_co_u32 v13, vcc_lo, s10, v13
	s_delay_alu instid0(VALU_DEP_2)
	v_cmp_lt_i64_e64 s2, v[9:10], v[11:12]
	s_wait_alu 0xfffd
	v_add_co_ci_u32_e64 v14, null, s11, v14, vcc_lo
	s_cbranch_scc1 .LBB140_23
; %bb.12:
	v_mov_b32_e32 v28, 0
	v_dual_mov_b32 v26, 0 :: v_dual_mov_b32 v17, 0
	v_dual_mov_b32 v19, 0 :: v_dual_mov_b32 v22, 0
	;; [unrolled: 1-line block ×6, first 2 shown]
	v_mov_b32_e32 v31, 0
	v_dual_mov_b32 v25, 0 :: v_dual_mov_b32 v16, 0
	s_and_saveexec_b32 s6, s2
	s_cbranch_execz .LBB140_22
; %bb.13:
	v_or_b32_e32 v15, 4, v0
	v_not_b32_e32 v20, v32
	v_not_b32_e32 v19, v33
	v_dual_mov_b32 v35, 0 :: v_dual_mov_b32 v28, 0
	s_delay_alu instid0(VALU_DEP_4) | instskip(SKIP_3) | instid1(VALU_DEP_3)
	v_sub_co_u32 v15, s3, v15, s12
	s_wait_alu 0xf1ff
	v_sub_co_ci_u32_e64 v16, null, 0, 0, s3
	v_sub_co_u32 v22, s3, s12, v0
	v_add_co_u32 v17, vcc_lo, v15, v32
	s_wait_alu 0xfffd
	s_delay_alu instid0(VALU_DEP_3) | instskip(SKIP_3) | instid1(VALU_DEP_3)
	v_add_co_ci_u32_e64 v18, null, v16, v33, vcc_lo
	s_wait_alu 0xf1ff
	v_sub_co_ci_u32_e64 v23, null, 0, 0, s3
	v_add_co_u32 v20, s3, v22, v20
	v_cmp_gt_i64_e32 vcc_lo, v[17:18], v[11:12]
	v_mov_b32_e32 v15, 0
	s_wait_alu 0xf1ff
	v_add_co_ci_u32_e64 v19, null, v23, v19, s3
	v_mov_b32_e32 v16, 0
	v_mov_b32_e32 v26, 0
	s_wait_alu 0xfffd
	v_cndmask_b32_e32 v24, v11, v17, vcc_lo
	v_dual_cndmask_b32 v22, v12, v18 :: v_dual_mov_b32 v17, 0
	v_mov_b32_e32 v30, 0
	v_mov_b32_e32 v18, 0
	s_delay_alu instid0(VALU_DEP_4) | instskip(SKIP_2) | instid1(VALU_DEP_2)
	v_add_co_u32 v38, vcc_lo, v20, v24
	s_wait_alu 0xfffd
	v_add_co_ci_u32_e64 v39, null, v19, v22, vcc_lo
	v_dual_mov_b32 v19, 0 :: v_dual_and_b32 v34, 12, v38
	v_dual_mov_b32 v29, 0 :: v_dual_mov_b32 v24, 0
	v_dual_mov_b32 v27, 0 :: v_dual_mov_b32 v22, 0
	;; [unrolled: 1-line block ×3, first 2 shown]
	s_delay_alu instid0(VALU_DEP_4)
	v_cmp_ne_u64_e32 vcc_lo, 12, v[34:35]
	v_mov_b32_e32 v35, v10
	v_mov_b32_e32 v25, 0
	;; [unrolled: 1-line block ×3, first 2 shown]
	v_dual_mov_b32 v23, 0 :: v_dual_mov_b32 v36, v13
	v_mov_b32_e32 v34, v9
	s_and_saveexec_b32 s7, vcc_lo
	s_cbranch_execz .LBB140_17
; %bb.14:
	v_lshrrev_b32_e32 v17, 2, v38
	v_lshlrev_b64_e32 v[15:16], 2, v[9:10]
	v_mov_b32_e32 v19, 0
	v_dual_mov_b32 v35, v10 :: v_dual_mov_b32 v22, 0
	s_delay_alu instid0(VALU_DEP_4) | instskip(SKIP_2) | instid1(VALU_DEP_3)
	v_dual_mov_b32 v20, 0 :: v_dual_add_nc_u32 v17, 1, v17
	v_dual_mov_b32 v23, 0 :: v_dual_mov_b32 v28, 0
	v_add_co_u32 v40, vcc_lo, s8, v15
	v_dual_mov_b32 v26, 0 :: v_dual_and_b32 v17, 3, v17
	v_dual_mov_b32 v29, 0 :: v_dual_mov_b32 v30, 0
	s_wait_alu 0xfffd
	v_add_co_ci_u32_e64 v41, null, s9, v16, vcc_lo
	s_delay_alu instid0(VALU_DEP_3)
	v_sub_co_u32 v42, s3, 0, v17
	v_dual_mov_b32 v31, 0 :: v_dual_mov_b32 v24, 0
	v_mov_b32_e32 v17, 0
	v_mov_b32_e32 v15, 0
	v_dual_mov_b32 v37, v14 :: v_dual_mov_b32 v34, v9
	s_wait_alu 0xf1ff
	v_sub_co_ci_u32_e64 v43, null, 0, 0, s3
	v_dual_mov_b32 v27, 0 :: v_dual_mov_b32 v18, 0
	v_dual_mov_b32 v25, 0 :: v_dual_mov_b32 v16, 0
	v_mov_b32_e32 v36, v13
	s_mov_b32 s10, 0
.LBB140_15:                             ; =>This Inner Loop Header: Depth=1
	global_load_b32 v76, v[40:41], off
	s_clause 0x7
	global_load_b128 v[44:47], v[36:37], off offset:48
	global_load_b128 v[48:51], v[36:37], off offset:32
	;; [unrolled: 1-line block ×3, first 2 shown]
	global_load_b128 v[56:59], v[36:37], off
	global_load_b128 v[60:63], v[36:37], off offset:112
	global_load_b128 v[64:67], v[36:37], off offset:96
	;; [unrolled: 1-line block ×4, first 2 shown]
	v_add_co_u32 v40, s3, v40, 16
	s_wait_alu 0xf1ff
	v_add_co_ci_u32_e64 v41, null, 0, v41, s3
	s_wait_loadcnt 0x8
	v_subrev_nc_u32_e32 v76, s12, v76
	s_delay_alu instid0(VALU_DEP_1) | instskip(NEXT) | instid1(VALU_DEP_1)
	v_lshlrev_b32_e32 v76, 2, v76
	v_ashrrev_i32_e32 v77, 31, v76
	s_delay_alu instid0(VALU_DEP_1) | instskip(SKIP_1) | instid1(VALU_DEP_1)
	v_lshlrev_b64_e32 v[76:77], 4, v[76:77]
	s_wait_kmcnt 0x0
	v_add_co_u32 v88, vcc_lo, s4, v76
	s_wait_alu 0xfffd
	s_delay_alu instid0(VALU_DEP_2)
	v_add_co_ci_u32_e64 v89, null, s5, v77, vcc_lo
	v_add_co_u32 v36, vcc_lo, 0x200, v36
	s_wait_alu 0xfffd
	v_add_co_ci_u32_e64 v37, null, 0, v37, vcc_lo
	s_clause 0x3
	global_load_b128 v[76:79], v[88:89], off
	global_load_b128 v[80:83], v[88:89], off offset:16
	global_load_b128 v[84:87], v[88:89], off offset:32
	;; [unrolled: 1-line block ×3, first 2 shown]
	v_add_co_u32 v42, vcc_lo, v42, 1
	s_wait_alu 0xfffd
	v_add_co_ci_u32_e64 v43, null, 0, v43, vcc_lo
	v_add_co_u32 v34, vcc_lo, v34, 4
	s_wait_alu 0xfffd
	v_add_co_ci_u32_e64 v35, null, 0, v35, vcc_lo
	s_delay_alu instid0(VALU_DEP_3)
	v_cmp_eq_u64_e32 vcc_lo, 0, v[42:43]
	s_wait_alu 0xfffe
	s_or_b32 s10, vcc_lo, s10
	s_wait_loadcnt 0x3
	v_fma_f64 v[22:23], v[56:57], v[76:77], v[22:23]
	v_fma_f64 v[19:20], v[76:77], 0, v[19:20]
	v_fma_f64 v[30:31], v[48:49], v[76:77], v[30:31]
	v_fma_f64 v[28:29], v[76:77], 0, v[28:29]
	v_fma_f64 v[24:25], v[72:73], v[76:77], v[24:25]
	v_fma_f64 v[26:27], v[76:77], 0, v[26:27]
	v_fma_f64 v[15:16], v[64:65], v[76:77], v[15:16]
	v_fma_f64 v[17:18], v[76:77], 0, v[17:18]
	v_fma_f64 v[22:23], 0x80000000, v[78:79], v[22:23]
	v_fma_f64 v[19:20], v[56:57], v[78:79], v[19:20]
	v_fma_f64 v[30:31], 0x80000000, v[78:79], v[30:31]
	v_fma_f64 v[28:29], v[48:49], v[78:79], v[28:29]
	v_fma_f64 v[24:25], 0x80000000, v[78:79], v[24:25]
	v_fma_f64 v[26:27], v[72:73], v[78:79], v[26:27]
	v_fma_f64 v[15:16], 0x80000000, v[78:79], v[15:16]
	v_fma_f64 v[17:18], v[64:65], v[78:79], v[17:18]
	s_wait_loadcnt 0x2
	v_fma_f64 v[22:23], v[58:59], v[80:81], v[22:23]
	v_fma_f64 v[19:20], v[80:81], 0, v[19:20]
	v_fma_f64 v[30:31], v[50:51], v[80:81], v[30:31]
	v_fma_f64 v[28:29], v[80:81], 0, v[28:29]
	v_fma_f64 v[24:25], v[74:75], v[80:81], v[24:25]
	v_fma_f64 v[26:27], v[80:81], 0, v[26:27]
	v_fma_f64 v[15:16], v[66:67], v[80:81], v[15:16]
	v_fma_f64 v[17:18], v[80:81], 0, v[17:18]
	v_fma_f64 v[22:23], 0x80000000, v[82:83], v[22:23]
	v_fma_f64 v[19:20], v[58:59], v[82:83], v[19:20]
	v_fma_f64 v[30:31], 0x80000000, v[82:83], v[30:31]
	v_fma_f64 v[28:29], v[50:51], v[82:83], v[28:29]
	v_fma_f64 v[24:25], 0x80000000, v[82:83], v[24:25]
	v_fma_f64 v[26:27], v[74:75], v[82:83], v[26:27]
	v_fma_f64 v[15:16], 0x80000000, v[82:83], v[15:16]
	v_fma_f64 v[17:18], v[66:67], v[82:83], v[17:18]
	s_wait_loadcnt 0x1
	v_fma_f64 v[22:23], v[52:53], v[84:85], v[22:23]
	v_fma_f64 v[19:20], v[84:85], 0, v[19:20]
	v_fma_f64 v[30:31], v[44:45], v[84:85], v[30:31]
	v_fma_f64 v[28:29], v[84:85], 0, v[28:29]
	v_fma_f64 v[24:25], v[68:69], v[84:85], v[24:25]
	v_fma_f64 v[26:27], v[84:85], 0, v[26:27]
	v_fma_f64 v[15:16], v[60:61], v[84:85], v[15:16]
	v_fma_f64 v[17:18], v[84:85], 0, v[17:18]
	v_fma_f64 v[22:23], 0x80000000, v[86:87], v[22:23]
	v_fma_f64 v[19:20], v[52:53], v[86:87], v[19:20]
	v_fma_f64 v[30:31], 0x80000000, v[86:87], v[30:31]
	v_fma_f64 v[28:29], v[44:45], v[86:87], v[28:29]
	v_fma_f64 v[24:25], 0x80000000, v[86:87], v[24:25]
	v_fma_f64 v[26:27], v[68:69], v[86:87], v[26:27]
	v_fma_f64 v[15:16], 0x80000000, v[86:87], v[15:16]
	v_fma_f64 v[17:18], v[60:61], v[86:87], v[17:18]
	s_wait_loadcnt 0x0
	v_fma_f64 v[22:23], v[54:55], v[88:89], v[22:23]
	v_fma_f64 v[19:20], v[88:89], 0, v[19:20]
	v_fma_f64 v[30:31], v[46:47], v[88:89], v[30:31]
	v_fma_f64 v[28:29], v[88:89], 0, v[28:29]
	v_fma_f64 v[24:25], v[70:71], v[88:89], v[24:25]
	v_fma_f64 v[26:27], v[88:89], 0, v[26:27]
	v_fma_f64 v[15:16], v[62:63], v[88:89], v[15:16]
	v_fma_f64 v[17:18], v[88:89], 0, v[17:18]
	v_fma_f64 v[22:23], 0x80000000, v[90:91], v[22:23]
	v_fma_f64 v[19:20], v[54:55], v[90:91], v[19:20]
	v_fma_f64 v[30:31], 0x80000000, v[90:91], v[30:31]
	v_fma_f64 v[28:29], v[46:47], v[90:91], v[28:29]
	v_fma_f64 v[24:25], 0x80000000, v[90:91], v[24:25]
	v_fma_f64 v[26:27], v[70:71], v[90:91], v[26:27]
	v_fma_f64 v[15:16], 0x80000000, v[90:91], v[15:16]
	v_fma_f64 v[17:18], v[62:63], v[90:91], v[17:18]
	s_wait_alu 0xfffe
	s_and_not1_b32 exec_lo, exec_lo, s10
	s_cbranch_execnz .LBB140_15
; %bb.16:
	s_or_b32 exec_lo, exec_lo, s10
.LBB140_17:
	s_wait_alu 0xfffe
	s_or_b32 exec_lo, exec_lo, s7
	s_delay_alu instid0(SALU_CYCLE_1)
	s_mov_b32 s7, exec_lo
	v_cmpx_lt_u64_e32 11, v[38:39]
	s_cbranch_execz .LBB140_21
; %bb.18:
	v_lshlrev_b64_e32 v[38:39], 2, v[34:35]
	s_mov_b32 s10, 0
	s_delay_alu instid0(VALU_DEP_1) | instskip(SKIP_1) | instid1(VALU_DEP_2)
	v_add_co_u32 v38, vcc_lo, s8, v38
	s_wait_alu 0xfffd
	v_add_co_ci_u32_e64 v39, null, s9, v39, vcc_lo
	s_delay_alu instid0(VALU_DEP_2) | instskip(SKIP_1) | instid1(VALU_DEP_2)
	v_add_co_u32 v38, vcc_lo, v38, 32
	s_wait_alu 0xfffd
	v_add_co_ci_u32_e64 v39, null, 0, v39, vcc_lo
.LBB140_19:                             ; =>This Inner Loop Header: Depth=1
	s_clause 0x1
	global_load_b32 v56, v[38:39], off offset:-32
	global_load_b32 v104, v[38:39], off offset:-16
	s_clause 0x3
	global_load_b128 v[40:43], v[36:37], off offset:32
	global_load_b128 v[44:47], v[36:37], off
	global_load_b128 v[48:51], v[36:37], off offset:96
	global_load_b128 v[52:55], v[36:37], off offset:64
	s_clause 0x1
	global_load_b32 v114, v[38:39], off
	global_load_b32 v116, v[38:39], off offset:16
	v_add_co_u32 v38, s3, v38, 64
	s_wait_alu 0xf1ff
	v_add_co_ci_u32_e64 v39, null, 0, v39, s3
	s_wait_loadcnt 0x7
	v_subrev_nc_u32_e32 v56, s12, v56
	s_wait_loadcnt 0x6
	v_subrev_nc_u32_e32 v104, s12, v104
	s_delay_alu instid0(VALU_DEP_2) | instskip(NEXT) | instid1(VALU_DEP_2)
	v_lshlrev_b32_e32 v56, 2, v56
	v_lshlrev_b32_e32 v104, 2, v104
	s_wait_loadcnt 0x1
	v_subrev_nc_u32_e32 v114, s12, v114
	s_delay_alu instid0(VALU_DEP_3) | instskip(NEXT) | instid1(VALU_DEP_3)
	v_ashrrev_i32_e32 v57, 31, v56
	v_ashrrev_i32_e32 v105, 31, v104
	s_delay_alu instid0(VALU_DEP_3) | instskip(NEXT) | instid1(VALU_DEP_3)
	v_lshlrev_b32_e32 v114, 2, v114
	v_lshlrev_b64_e32 v[56:57], 4, v[56:57]
	s_delay_alu instid0(VALU_DEP_3) | instskip(NEXT) | instid1(VALU_DEP_3)
	v_lshlrev_b64_e32 v[104:105], 4, v[104:105]
	v_ashrrev_i32_e32 v115, 31, v114
	s_wait_kmcnt 0x0
	s_delay_alu instid0(VALU_DEP_3)
	v_add_co_u32 v84, vcc_lo, s4, v56
	s_wait_alu 0xfffd
	v_add_co_ci_u32_e64 v85, null, s5, v57, vcc_lo
	v_add_co_u32 v108, vcc_lo, s4, v104
	s_wait_alu 0xfffd
	v_add_co_ci_u32_e64 v109, null, s5, v105, vcc_lo
	s_clause 0x1
	global_load_b128 v[56:59], v[84:85], off
	global_load_b128 v[60:63], v[84:85], off offset:16
	s_clause 0x3
	global_load_b128 v[64:67], v[36:37], off offset:48
	global_load_b128 v[68:71], v[36:37], off offset:16
	;; [unrolled: 1-line block ×4, first 2 shown]
	s_clause 0x1
	global_load_b128 v[80:83], v[84:85], off offset:32
	global_load_b128 v[84:87], v[84:85], off offset:48
	s_clause 0x3
	global_load_b128 v[88:91], v[36:37], off offset:544
	global_load_b128 v[92:95], v[36:37], off offset:512
	;; [unrolled: 1-line block ×4, first 2 shown]
	global_load_b128 v[104:107], v[108:109], off
	s_wait_loadcnt 0xc
	v_fma_f64 v[19:20], v[56:57], 0, v[19:20]
	v_fma_f64 v[28:29], v[56:57], 0, v[28:29]
	;; [unrolled: 1-line block ×16, first 2 shown]
	global_load_b128 v[15:18], v[108:109], off offset:16
	s_wait_loadcnt 0xc
	v_fma_f64 v[19:20], v[60:61], 0, v[19:20]
	v_fma_f64 v[28:29], v[60:61], 0, v[28:29]
	;; [unrolled: 1-line block ×16, first 2 shown]
	s_clause 0x3
	global_load_b128 v[22:25], v[36:37], off offset:560
	global_load_b128 v[26:29], v[36:37], off offset:528
	;; [unrolled: 1-line block ×5, first 2 shown]
	s_wait_loadcnt 0xc
	v_fma_f64 v[19:20], v[80:81], 0, v[19:20]
	v_fma_f64 v[52:53], v[80:81], 0, v[52:53]
	;; [unrolled: 1-line block ×16, first 2 shown]
	global_load_b128 v[52:55], v[108:109], off offset:48
	s_wait_loadcnt 0xc
	v_fma_f64 v[19:20], v[84:85], 0, v[19:20]
	v_fma_f64 v[64:65], v[84:85], 0, v[64:65]
	;; [unrolled: 1-line block ×8, first 2 shown]
	s_clause 0x3
	global_load_b128 v[56:59], v[36:37], off offset:1056
	global_load_b128 v[60:63], v[36:37], off offset:1024
	;; [unrolled: 1-line block ×4, first 2 shown]
	v_fma_f64 v[19:20], v[70:71], v[86:87], v[19:20]
	v_fma_f64 v[70:71], v[66:67], v[86:87], v[64:65]
	;; [unrolled: 1-line block ×8, first 2 shown]
	v_lshlrev_b64_e32 v[64:65], 4, v[114:115]
	s_delay_alu instid0(VALU_DEP_1) | instskip(SKIP_1) | instid1(VALU_DEP_2)
	v_add_co_u32 v112, vcc_lo, s4, v64
	s_wait_alu 0xfffd
	v_add_co_ci_u32_e64 v113, null, s5, v65, vcc_lo
	global_load_b128 v[64:67], v[112:113], off
	s_wait_loadcnt 0xc
	v_fma_f64 v[19:20], v[104:105], 0, v[19:20]
	v_fma_f64 v[70:71], v[104:105], 0, v[70:71]
	;; [unrolled: 1-line block ×16, first 2 shown]
	global_load_b128 v[68:71], v[112:113], off offset:16
	s_wait_loadcnt 0xc
	v_fma_f64 v[19:20], v[15:16], 0, v[19:20]
	v_fma_f64 v[84:85], v[15:16], 0, v[84:85]
	;; [unrolled: 1-line block ×16, first 2 shown]
	s_clause 0x3
	global_load_b128 v[15:18], v[36:37], off offset:1072
	global_load_b128 v[72:75], v[36:37], off offset:1040
	;; [unrolled: 1-line block ×5, first 2 shown]
	s_wait_loadcnt 0xc
	v_fma_f64 v[19:20], v[48:49], 0, v[19:20]
	v_fma_f64 v[92:93], v[48:49], 0, v[92:93]
	v_fma_f64 v[94:95], v[48:49], 0, v[94:95]
	v_fma_f64 v[96:97], v[26:27], v[48:49], v[96:97]
	v_fma_f64 v[30:31], v[22:23], v[48:49], v[30:31]
	v_fma_f64 v[100:101], v[44:45], v[48:49], v[100:101]
	v_fma_f64 v[102:103], v[40:41], v[48:49], v[102:103]
	v_fma_f64 v[48:49], v[48:49], 0, v[98:99]
	v_fma_f64 v[19:20], v[26:27], v[50:51], v[19:20]
	v_fma_f64 v[22:23], v[22:23], v[50:51], v[92:93]
	v_fma_f64 v[26:27], v[44:45], v[50:51], v[94:95]
	v_fma_f64 v[44:45], 0x80000000, v[50:51], v[96:97]
	v_fma_f64 v[30:31], 0x80000000, v[50:51], v[30:31]
	v_fma_f64 v[92:93], 0x80000000, v[50:51], v[100:101]
	v_fma_f64 v[94:95], 0x80000000, v[50:51], v[102:103]
	v_fma_f64 v[40:41], v[40:41], v[50:51], v[48:49]
	global_load_b128 v[48:51], v[112:113], off offset:48
	s_wait_loadcnt 0xc
	v_fma_f64 v[19:20], v[52:53], 0, v[19:20]
	v_fma_f64 v[22:23], v[52:53], 0, v[22:23]
	;; [unrolled: 1-line block ×8, first 2 shown]
	v_subrev_nc_u32_e32 v52, s12, v116
	s_clause 0x3
	global_load_b128 v[92:95], v[36:37], off offset:1568
	global_load_b128 v[96:99], v[36:37], off offset:1536
	;; [unrolled: 1-line block ×4, first 2 shown]
	v_lshlrev_b32_e32 v52, 2, v52
	s_delay_alu instid0(VALU_DEP_1)
	v_ashrrev_i32_e32 v53, 31, v52
	v_fma_f64 v[19:20], v[28:29], v[54:55], v[19:20]
	v_fma_f64 v[28:29], v[24:25], v[54:55], v[22:23]
	;; [unrolled: 1-line block ×8, first 2 shown]
	v_lshlrev_b64_e32 v[22:23], 4, v[52:53]
	s_delay_alu instid0(VALU_DEP_1) | instskip(SKIP_1) | instid1(VALU_DEP_2)
	v_add_co_u32 v114, vcc_lo, s4, v22
	s_wait_alu 0xfffd
	v_add_co_ci_u32_e64 v115, null, s5, v23, vcc_lo
	v_add_co_u32 v34, vcc_lo, v34, 16
	s_wait_alu 0xfffd
	v_add_co_ci_u32_e64 v35, null, 0, v35, vcc_lo
	global_load_b128 v[22:25], v[114:115], off
	s_wait_loadcnt 0xc
	v_fma_f64 v[19:20], v[64:65], 0, v[19:20]
	v_fma_f64 v[28:29], v[64:65], 0, v[28:29]
	;; [unrolled: 1-line block ×16, first 2 shown]
	global_load_b128 v[26:29], v[114:115], off offset:16
	s_wait_loadcnt 0xc
	v_fma_f64 v[19:20], v[68:69], 0, v[19:20]
	v_fma_f64 v[52:53], v[68:69], 0, v[52:53]
	v_fma_f64 v[54:55], v[68:69], 0, v[54:55]
	v_fma_f64 v[42:43], v[62:63], v[68:69], v[42:43]
	v_fma_f64 v[30:31], v[58:59], v[68:69], v[30:31]
	v_fma_f64 v[44:45], v[110:111], v[68:69], v[44:45]
	v_fma_f64 v[46:47], v[82:83], v[68:69], v[46:47]
	v_fma_f64 v[40:41], v[68:69], 0, v[40:41]
	v_fma_f64 v[19:20], v[62:63], v[70:71], v[19:20]
	v_fma_f64 v[66:67], v[58:59], v[70:71], v[52:53]
	v_fma_f64 v[80:81], v[110:111], v[70:71], v[54:55]
	v_fma_f64 v[64:65], 0x80000000, v[70:71], v[42:43]
	v_fma_f64 v[30:31], 0x80000000, v[70:71], v[30:31]
	v_fma_f64 v[68:69], 0x80000000, v[70:71], v[44:45]
	v_fma_f64 v[108:109], 0x80000000, v[70:71], v[46:47]
	v_fma_f64 v[70:71], v[82:83], v[70:71], v[40:41]
	s_clause 0x3
	global_load_b128 v[40:43], v[36:37], off offset:1584
	global_load_b128 v[44:47], v[36:37], off offset:1552
	;; [unrolled: 1-line block ×5, first 2 shown]
	v_add_co_u32 v36, vcc_lo, 0x800, v36
	s_wait_alu 0xfffd
	v_add_co_ci_u32_e64 v37, null, 0, v37, vcc_lo
	v_cmp_ge_i64_e32 vcc_lo, v[34:35], v[11:12]
	s_wait_alu 0xfffe
	s_or_b32 s10, vcc_lo, s10
	s_wait_loadcnt 0xc
	v_fma_f64 v[19:20], v[88:89], 0, v[19:20]
	v_fma_f64 v[66:67], v[88:89], 0, v[66:67]
	;; [unrolled: 1-line block ×16, first 2 shown]
	global_load_b128 v[64:67], v[114:115], off offset:48
	s_wait_loadcnt 0xc
	v_fma_f64 v[19:20], v[48:49], 0, v[19:20]
	v_fma_f64 v[15:16], v[48:49], 0, v[15:16]
	v_fma_f64 v[72:73], v[48:49], 0, v[72:73]
	v_fma_f64 v[76:77], v[74:75], v[48:49], v[88:89]
	v_fma_f64 v[30:31], v[17:18], v[48:49], v[30:31]
	v_fma_f64 v[68:69], v[86:87], v[48:49], v[68:69]
	v_fma_f64 v[80:81], v[78:79], v[48:49], v[80:81]
	v_fma_f64 v[48:49], v[48:49], 0, v[70:71]
	v_fma_f64 v[19:20], v[74:75], v[50:51], v[19:20]
	v_fma_f64 v[15:16], v[17:18], v[50:51], v[15:16]
	v_fma_f64 v[70:71], 0x80000000, v[50:51], v[76:77]
	v_fma_f64 v[30:31], 0x80000000, v[50:51], v[30:31]
	v_fma_f64 v[17:18], 0x80000000, v[50:51], v[68:69]
	v_fma_f64 v[68:69], v[86:87], v[50:51], v[72:73]
	v_fma_f64 v[72:73], 0x80000000, v[50:51], v[80:81]
	v_fma_f64 v[48:49], v[78:79], v[50:51], v[48:49]
	s_wait_loadcnt 0x7
	v_fma_f64 v[19:20], v[22:23], 0, v[19:20]
	v_fma_f64 v[15:16], v[22:23], 0, v[15:16]
	v_fma_f64 v[50:51], v[96:97], v[22:23], v[70:71]
	v_fma_f64 v[30:31], v[92:93], v[22:23], v[30:31]
	v_fma_f64 v[17:18], v[104:105], v[22:23], v[17:18]
	v_fma_f64 v[68:69], v[22:23], 0, v[68:69]
	v_fma_f64 v[70:71], v[100:101], v[22:23], v[72:73]
	v_fma_f64 v[22:23], v[22:23], 0, v[48:49]
	v_fma_f64 v[19:20], v[96:97], v[24:25], v[19:20]
	v_fma_f64 v[15:16], v[92:93], v[24:25], v[15:16]
	v_fma_f64 v[48:49], 0x80000000, v[24:25], v[50:51]
	v_fma_f64 v[30:31], 0x80000000, v[24:25], v[30:31]
	v_fma_f64 v[17:18], 0x80000000, v[24:25], v[17:18]
	v_fma_f64 v[50:51], v[104:105], v[24:25], v[68:69]
	v_fma_f64 v[68:69], 0x80000000, v[24:25], v[70:71]
	v_fma_f64 v[22:23], v[100:101], v[24:25], v[22:23]
	;; [unrolled: 17-line block ×5, first 2 shown]
	s_wait_alu 0xfffe
	s_and_not1_b32 exec_lo, exec_lo, s10
	s_cbranch_execnz .LBB140_19
; %bb.20:
	s_or_b32 exec_lo, exec_lo, s10
.LBB140_21:
	s_wait_alu 0xfffe
	s_or_b32 exec_lo, exec_lo, s7
.LBB140_22:
	s_wait_alu 0xfffe
	s_or_b32 exec_lo, exec_lo, s6
	s_cbranch_execz .LBB140_24
	s_branch .LBB140_35
.LBB140_23:
                                        ; implicit-def: $vgpr19_vgpr20
                                        ; implicit-def: $vgpr22_vgpr23
                                        ; implicit-def: $vgpr28_vgpr29
                                        ; implicit-def: $vgpr30_vgpr31
                                        ; implicit-def: $vgpr26_vgpr27
                                        ; implicit-def: $vgpr24_vgpr25
                                        ; implicit-def: $vgpr17_vgpr18
                                        ; implicit-def: $vgpr15_vgpr16
.LBB140_24:
	v_mov_b32_e32 v28, 0
	v_dual_mov_b32 v26, 0 :: v_dual_mov_b32 v17, 0
	v_dual_mov_b32 v19, 0 :: v_dual_mov_b32 v22, 0
	;; [unrolled: 1-line block ×6, first 2 shown]
	v_mov_b32_e32 v31, 0
	v_dual_mov_b32 v25, 0 :: v_dual_mov_b32 v16, 0
	s_and_saveexec_b32 s3, s2
	s_cbranch_execz .LBB140_34
; %bb.25:
	v_or_b32_e32 v15, 4, v0
	v_not_b32_e32 v18, v32
	v_not_b32_e32 v17, v33
	v_mov_b32_e32 v24, 0
	v_dual_mov_b32 v25, 0 :: v_dual_mov_b32 v26, 0
	v_sub_co_u32 v15, s2, v15, s12
	s_wait_alu 0xf1ff
	v_sub_co_ci_u32_e64 v16, null, 0, 0, s2
	v_sub_co_u32 v19, s2, s12, v0
	s_delay_alu instid0(VALU_DEP_3) | instskip(SKIP_1) | instid1(VALU_DEP_3)
	v_add_co_u32 v15, vcc_lo, v15, v32
	s_wait_alu 0xfffd
	v_add_co_ci_u32_e64 v16, null, v16, v33, vcc_lo
	s_wait_alu 0xf1ff
	v_sub_co_ci_u32_e64 v22, null, 0, 0, s2
	v_add_co_u32 v18, s2, v19, v18
	s_delay_alu instid0(VALU_DEP_3)
	v_cmp_gt_i64_e32 vcc_lo, v[15:16], v[11:12]
	v_mov_b32_e32 v20, 0
	s_wait_alu 0xf1ff
	v_add_co_ci_u32_e64 v22, null, v22, v17, s2
	v_dual_mov_b32 v27, 0 :: v_dual_mov_b32 v28, 0
	s_wait_alu 0xfffd
	v_cndmask_b32_e32 v23, v11, v15, vcc_lo
	v_cndmask_b32_e32 v19, v12, v16, vcc_lo
	v_mov_b32_e32 v15, 0
	v_dual_mov_b32 v16, 0 :: v_dual_mov_b32 v29, 0
	s_delay_alu instid0(VALU_DEP_4) | instskip(SKIP_3) | instid1(VALU_DEP_3)
	v_add_co_u32 v32, vcc_lo, v18, v23
	s_wait_alu 0xfffd
	v_add_co_ci_u32_e64 v33, null, v22, v19, vcc_lo
	v_mov_b32_e32 v17, 0
	v_dual_mov_b32 v30, 0 :: v_dual_and_b32 v19, 12, v32
	v_dual_mov_b32 v31, 0 :: v_dual_mov_b32 v22, 0
	v_mov_b32_e32 v18, 0
	s_delay_alu instid0(VALU_DEP_3)
	v_cmp_ne_u64_e32 vcc_lo, 12, v[19:20]
	v_mov_b32_e32 v19, 0
	v_dual_mov_b32 v23, 0 :: v_dual_mov_b32 v20, 0
	s_and_saveexec_b32 s6, vcc_lo
	s_cbranch_execz .LBB140_29
; %bb.26:
	v_lshrrev_b32_e32 v17, 2, v32
	v_mov_b32_e32 v28, 0
	v_lshlrev_b64_e32 v[15:16], 2, v[9:10]
	v_dual_mov_b32 v30, 0 :: v_dual_mov_b32 v19, 0
	s_delay_alu instid0(VALU_DEP_4) | instskip(SKIP_1) | instid1(VALU_DEP_4)
	v_dual_mov_b32 v22, 0 :: v_dual_add_nc_u32 v17, 1, v17
	v_mov_b32_e32 v29, 0
	v_add_co_u32 v34, vcc_lo, s8, v15
	s_wait_alu 0xfffd
	v_add_co_ci_u32_e64 v35, null, s9, v16, vcc_lo
	v_dual_mov_b32 v31, 0 :: v_dual_and_b32 v36, 3, v17
	v_mov_b32_e32 v26, 0
	v_dual_mov_b32 v24, 0 :: v_dual_mov_b32 v17, 0
	s_delay_alu instid0(VALU_DEP_3)
	v_sub_co_u32 v36, s2, 0, v36
	v_dual_mov_b32 v15, 0 :: v_dual_mov_b32 v20, 0
	v_mov_b32_e32 v23, 0
	v_mov_b32_e32 v27, 0
	v_dual_mov_b32 v25, 0 :: v_dual_mov_b32 v18, 0
	v_mov_b32_e32 v16, 0
	s_wait_alu 0xf1ff
	v_sub_co_ci_u32_e64 v37, null, 0, 0, s2
	s_mov_b32 s7, 0
.LBB140_27:                             ; =>This Inner Loop Header: Depth=1
	global_load_b32 v46, v[34:35], off
	s_clause 0x1
	global_load_b128 v[38:41], v[13:14], off offset:16
	global_load_b128 v[42:45], v[13:14], off
	v_add_co_u32 v34, s2, v34, 16
	s_wait_alu 0xf1ff
	v_add_co_ci_u32_e64 v35, null, 0, v35, s2
	s_wait_loadcnt 0x2
	v_subrev_nc_u32_e32 v46, s12, v46
	s_delay_alu instid0(VALU_DEP_1) | instskip(NEXT) | instid1(VALU_DEP_1)
	v_lshlrev_b32_e32 v46, 2, v46
	v_ashrrev_i32_e32 v47, 31, v46
	s_delay_alu instid0(VALU_DEP_1) | instskip(SKIP_1) | instid1(VALU_DEP_1)
	v_lshlrev_b64_e32 v[46:47], 4, v[46:47]
	s_wait_kmcnt 0x0
	v_add_co_u32 v74, vcc_lo, s4, v46
	s_wait_alu 0xfffd
	s_delay_alu instid0(VALU_DEP_2)
	v_add_co_ci_u32_e64 v75, null, s5, v47, vcc_lo
	s_clause 0x1
	global_load_b128 v[46:49], v[74:75], off
	global_load_b128 v[50:53], v[74:75], off offset:16
	s_clause 0x3
	global_load_b128 v[54:57], v[13:14], off offset:32
	global_load_b128 v[58:61], v[13:14], off offset:48
	;; [unrolled: 1-line block ×4, first 2 shown]
	s_clause 0x1
	global_load_b128 v[70:73], v[74:75], off offset:32
	global_load_b128 v[74:77], v[74:75], off offset:48
	s_clause 0x1
	global_load_b128 v[78:81], v[13:14], off offset:96
	global_load_b128 v[82:85], v[13:14], off offset:112
	v_add_co_u32 v13, vcc_lo, 0x200, v13
	s_wait_alu 0xfffd
	v_add_co_ci_u32_e64 v14, null, 0, v14, vcc_lo
	v_add_co_u32 v36, vcc_lo, v36, 1
	s_wait_alu 0xfffd
	v_add_co_ci_u32_e64 v37, null, 0, v37, vcc_lo
	;; [unrolled: 3-line block ×3, first 2 shown]
	s_delay_alu instid0(VALU_DEP_3)
	v_cmp_eq_u64_e32 vcc_lo, 0, v[36:37]
	s_wait_alu 0xfffe
	s_or_b32 s7, vcc_lo, s7
	s_wait_loadcnt 0x9
	v_fma_f64 v[22:23], v[42:43], v[46:47], v[22:23]
	v_fma_f64 v[19:20], v[46:47], 0, v[19:20]
	;; [unrolled: 1-line block ×16, first 2 shown]
	s_wait_loadcnt 0x7
	v_fma_f64 v[22:23], v[54:55], v[50:51], v[22:23]
	v_fma_f64 v[19:20], v[50:51], 0, v[19:20]
	;; [unrolled: 1-line block ×4, first 2 shown]
	s_wait_loadcnt 0x6
	v_fma_f64 v[24:25], v[58:59], v[50:51], v[24:25]
	v_fma_f64 v[26:27], v[50:51], 0, v[26:27]
	;; [unrolled: 1-line block ×12, first 2 shown]
	s_wait_loadcnt 0x3
	v_fma_f64 v[22:23], v[66:67], v[70:71], v[22:23]
	v_fma_f64 v[19:20], v[70:71], 0, v[19:20]
	;; [unrolled: 1-line block ×16, first 2 shown]
	s_wait_loadcnt 0x1
	v_fma_f64 v[22:23], v[78:79], v[74:75], v[22:23]
	v_fma_f64 v[19:20], v[74:75], 0, v[19:20]
	;; [unrolled: 1-line block ×4, first 2 shown]
	s_wait_loadcnt 0x0
	v_fma_f64 v[24:25], v[82:83], v[74:75], v[24:25]
	v_fma_f64 v[26:27], v[74:75], 0, v[26:27]
	;; [unrolled: 1-line block ×12, first 2 shown]
	s_wait_alu 0xfffe
	s_and_not1_b32 exec_lo, exec_lo, s7
	s_cbranch_execnz .LBB140_27
; %bb.28:
	s_or_b32 exec_lo, exec_lo, s7
.LBB140_29:
	s_wait_alu 0xfffe
	s_or_b32 exec_lo, exec_lo, s6
	s_delay_alu instid0(SALU_CYCLE_1)
	s_mov_b32 s6, exec_lo
	v_cmpx_lt_u64_e32 11, v[32:33]
	s_cbranch_execz .LBB140_33
; %bb.30:
	v_lshlrev_b64_e32 v[32:33], 2, v[9:10]
	s_mov_b32 s7, 0
	s_delay_alu instid0(VALU_DEP_1) | instskip(SKIP_1) | instid1(VALU_DEP_2)
	v_add_co_u32 v32, vcc_lo, s8, v32
	s_wait_alu 0xfffd
	v_add_co_ci_u32_e64 v33, null, s9, v33, vcc_lo
	s_delay_alu instid0(VALU_DEP_2) | instskip(SKIP_1) | instid1(VALU_DEP_2)
	v_add_co_u32 v32, vcc_lo, v32, 32
	s_wait_alu 0xfffd
	v_add_co_ci_u32_e64 v33, null, 0, v33, vcc_lo
.LBB140_31:                             ; =>This Inner Loop Header: Depth=1
	s_clause 0x1
	global_load_b32 v42, v[32:33], off offset:-32
	global_load_b32 v90, v[32:33], off offset:-16
	s_clause 0x1
	global_load_b128 v[34:37], v[13:14], off offset:16
	global_load_b128 v[38:41], v[13:14], off
	s_clause 0x1
	global_load_b32 v100, v[32:33], off
	global_load_b32 v102, v[32:33], off offset:16
	v_add_co_u32 v32, s2, v32, 64
	s_wait_alu 0xf1ff
	v_add_co_ci_u32_e64 v33, null, 0, v33, s2
	s_wait_loadcnt 0x5
	v_subrev_nc_u32_e32 v42, s12, v42
	s_wait_loadcnt 0x4
	v_subrev_nc_u32_e32 v90, s12, v90
	;; [unrolled: 2-line block ×3, first 2 shown]
	v_lshlrev_b32_e32 v42, 2, v42
	s_delay_alu instid0(VALU_DEP_3) | instskip(NEXT) | instid1(VALU_DEP_3)
	v_lshlrev_b32_e32 v90, 2, v90
	v_lshlrev_b32_e32 v100, 2, v100
	s_delay_alu instid0(VALU_DEP_3) | instskip(NEXT) | instid1(VALU_DEP_3)
	v_ashrrev_i32_e32 v43, 31, v42
	v_ashrrev_i32_e32 v91, 31, v90
	s_delay_alu instid0(VALU_DEP_3) | instskip(NEXT) | instid1(VALU_DEP_3)
	v_ashrrev_i32_e32 v101, 31, v100
	v_lshlrev_b64_e32 v[42:43], 4, v[42:43]
	s_delay_alu instid0(VALU_DEP_3) | instskip(SKIP_1) | instid1(VALU_DEP_2)
	v_lshlrev_b64_e32 v[90:91], 4, v[90:91]
	s_wait_kmcnt 0x0
	v_add_co_u32 v78, vcc_lo, s4, v42
	s_wait_alu 0xfffd
	s_delay_alu instid0(VALU_DEP_3) | instskip(NEXT) | instid1(VALU_DEP_3)
	v_add_co_ci_u32_e64 v79, null, s5, v43, vcc_lo
	v_add_co_u32 v94, vcc_lo, s4, v90
	s_wait_alu 0xfffd
	v_add_co_ci_u32_e64 v95, null, s5, v91, vcc_lo
	global_load_b128 v[42:45], v[78:79], off
	s_clause 0x1
	global_load_b128 v[46:49], v[13:14], off offset:32
	global_load_b128 v[50:53], v[13:14], off offset:48
	global_load_b128 v[54:57], v[78:79], off offset:16
	s_clause 0x1
	global_load_b128 v[58:61], v[13:14], off offset:80
	global_load_b128 v[62:65], v[13:14], off offset:64
	global_load_b128 v[66:69], v[78:79], off offset:32
	;; [unrolled: 4-line block ×3, first 2 shown]
	s_clause 0x1
	global_load_b128 v[82:85], v[13:14], off offset:528
	global_load_b128 v[86:89], v[13:14], off offset:512
	global_load_b128 v[90:93], v[94:95], off
	s_wait_loadcnt 0xc
	v_fma_f64 v[19:20], v[42:43], 0, v[19:20]
	v_fma_f64 v[28:29], v[42:43], 0, v[28:29]
	v_fma_f64 v[22:23], v[38:39], v[42:43], v[22:23]
	v_fma_f64 v[30:31], v[40:41], v[42:43], v[30:31]
	v_fma_f64 v[24:25], v[34:35], v[42:43], v[24:25]
	v_fma_f64 v[26:27], v[42:43], 0, v[26:27]
	v_fma_f64 v[15:16], v[36:37], v[42:43], v[15:16]
	v_fma_f64 v[17:18], v[42:43], 0, v[17:18]
	v_fma_f64 v[19:20], v[38:39], v[44:45], v[19:20]
	v_fma_f64 v[38:39], v[40:41], v[44:45], v[28:29]
	v_fma_f64 v[40:41], 0x80000000, v[44:45], v[22:23]
	v_fma_f64 v[30:31], 0x80000000, v[44:45], v[30:31]
	v_fma_f64 v[42:43], 0x80000000, v[44:45], v[24:25]
	v_fma_f64 v[34:35], v[34:35], v[44:45], v[26:27]
	v_fma_f64 v[96:97], 0x80000000, v[44:45], v[15:16]
	v_fma_f64 v[36:37], v[36:37], v[44:45], v[17:18]
	s_clause 0x1
	global_load_b128 v[15:18], v[13:14], off offset:544
	global_load_b128 v[22:25], v[13:14], off offset:560
	global_load_b128 v[26:29], v[94:95], off offset:16
	s_wait_loadcnt 0xc
	v_fma_f64 v[19:20], v[54:55], 0, v[19:20]
	v_fma_f64 v[38:39], v[54:55], 0, v[38:39]
	v_fma_f64 v[40:41], v[46:47], v[54:55], v[40:41]
	v_fma_f64 v[30:31], v[48:49], v[54:55], v[30:31]
	v_fma_f64 v[42:43], v[50:51], v[54:55], v[42:43]
	v_fma_f64 v[34:35], v[54:55], 0, v[34:35]
	v_fma_f64 v[44:45], v[52:53], v[54:55], v[96:97]
	v_fma_f64 v[36:37], v[54:55], 0, v[36:37]
	v_fma_f64 v[19:20], v[46:47], v[56:57], v[19:20]
	v_fma_f64 v[46:47], v[48:49], v[56:57], v[38:39]
	v_fma_f64 v[48:49], 0x80000000, v[56:57], v[40:41]
	v_fma_f64 v[30:31], 0x80000000, v[56:57], v[30:31]
	v_fma_f64 v[54:55], 0x80000000, v[56:57], v[42:43]
	v_fma_f64 v[50:51], v[50:51], v[56:57], v[34:35]
	v_fma_f64 v[96:97], 0x80000000, v[56:57], v[44:45]
	v_fma_f64 v[52:53], v[52:53], v[56:57], v[36:37]
	s_clause 0x1
	global_load_b128 v[34:37], v[13:14], off offset:592
	global_load_b128 v[38:41], v[13:14], off offset:576
	global_load_b128 v[42:45], v[94:95], off offset:32
	;; [unrolled: 21-line block ×3, first 2 shown]
	s_wait_loadcnt 0xc
	v_fma_f64 v[19:20], v[78:79], 0, v[19:20]
	v_fma_f64 v[68:69], v[78:79], 0, v[62:63]
	;; [unrolled: 1-line block ×8, first 2 shown]
	s_clause 0x1
	global_load_b128 v[58:61], v[13:14], off offset:1040
	global_load_b128 v[62:65], v[13:14], off offset:1024
	v_fma_f64 v[19:20], v[70:71], v[80:81], v[19:20]
	v_fma_f64 v[70:71], v[72:73], v[80:81], v[68:69]
	v_fma_f64 v[72:73], 0x80000000, v[80:81], v[94:95]
	v_fma_f64 v[30:31], 0x80000000, v[80:81], v[30:31]
	v_fma_f64 v[94:95], 0x80000000, v[80:81], v[66:67]
	v_fma_f64 v[74:75], v[74:75], v[80:81], v[98:99]
	v_fma_f64 v[96:97], 0x80000000, v[80:81], v[96:97]
	v_fma_f64 v[76:77], v[76:77], v[80:81], v[78:79]
	v_lshlrev_b64_e32 v[66:67], 4, v[100:101]
	s_delay_alu instid0(VALU_DEP_1) | instskip(SKIP_1) | instid1(VALU_DEP_2)
	v_add_co_u32 v98, vcc_lo, s4, v66
	s_wait_alu 0xfffd
	v_add_co_ci_u32_e64 v99, null, s5, v67, vcc_lo
	global_load_b128 v[66:69], v[98:99], off
	s_wait_loadcnt 0xc
	v_fma_f64 v[19:20], v[90:91], 0, v[19:20]
	v_fma_f64 v[70:71], v[90:91], 0, v[70:71]
	v_fma_f64 v[72:73], v[86:87], v[90:91], v[72:73]
	v_fma_f64 v[30:31], v[88:89], v[90:91], v[30:31]
	v_fma_f64 v[78:79], v[82:83], v[90:91], v[94:95]
	v_fma_f64 v[74:75], v[90:91], 0, v[74:75]
	v_fma_f64 v[80:81], v[84:85], v[90:91], v[96:97]
	v_fma_f64 v[76:77], v[90:91], 0, v[76:77]
	v_fma_f64 v[19:20], v[86:87], v[92:93], v[19:20]
	v_fma_f64 v[86:87], v[88:89], v[92:93], v[70:71]
	v_fma_f64 v[88:89], 0x80000000, v[92:93], v[72:73]
	v_fma_f64 v[30:31], 0x80000000, v[92:93], v[30:31]
	v_fma_f64 v[90:91], 0x80000000, v[92:93], v[78:79]
	v_fma_f64 v[82:83], v[82:83], v[92:93], v[74:75]
	v_fma_f64 v[94:95], 0x80000000, v[92:93], v[80:81]
	v_fma_f64 v[84:85], v[84:85], v[92:93], v[76:77]
	s_clause 0x1
	global_load_b128 v[70:73], v[13:14], off offset:1056
	global_load_b128 v[74:77], v[13:14], off offset:1072
	global_load_b128 v[78:81], v[98:99], off offset:16
	s_wait_loadcnt 0xc
	v_fma_f64 v[19:20], v[26:27], 0, v[19:20]
	v_fma_f64 v[86:87], v[26:27], 0, v[86:87]
	v_fma_f64 v[88:89], v[15:16], v[26:27], v[88:89]
	v_fma_f64 v[30:31], v[17:18], v[26:27], v[30:31]
	v_fma_f64 v[90:91], v[22:23], v[26:27], v[90:91]
	v_fma_f64 v[82:83], v[26:27], 0, v[82:83]
	v_fma_f64 v[92:93], v[24:25], v[26:27], v[94:95]
	v_fma_f64 v[26:27], v[26:27], 0, v[84:85]
	v_fma_f64 v[19:20], v[15:16], v[28:29], v[19:20]
	v_fma_f64 v[84:85], v[17:18], v[28:29], v[86:87]
	v_fma_f64 v[86:87], 0x80000000, v[28:29], v[88:89]
	v_fma_f64 v[30:31], 0x80000000, v[28:29], v[30:31]
	v_fma_f64 v[88:89], 0x80000000, v[28:29], v[90:91]
	v_fma_f64 v[82:83], v[22:23], v[28:29], v[82:83]
	v_fma_f64 v[90:91], 0x80000000, v[28:29], v[92:93]
	v_fma_f64 v[92:93], v[24:25], v[28:29], v[26:27]
	s_clause 0x1
	global_load_b128 v[15:18], v[13:14], off offset:1104
	global_load_b128 v[22:25], v[13:14], off offset:1088
	global_load_b128 v[26:29], v[98:99], off offset:32
	;; [unrolled: 21-line block ×3, first 2 shown]
	s_wait_loadcnt 0xc
	v_fma_f64 v[19:20], v[54:55], 0, v[19:20]
	v_fma_f64 v[94:95], v[54:55], 0, v[84:85]
	;; [unrolled: 1-line block ×8, first 2 shown]
	v_subrev_nc_u32_e32 v92, s12, v102
	s_clause 0x1
	global_load_b128 v[82:85], v[13:14], off offset:1552
	global_load_b128 v[86:89], v[13:14], off offset:1536
	v_lshlrev_b32_e32 v92, 2, v92
	s_delay_alu instid0(VALU_DEP_1)
	v_ashrrev_i32_e32 v93, 31, v92
	v_fma_f64 v[19:20], v[46:47], v[56:57], v[19:20]
	v_fma_f64 v[94:95], v[48:49], v[56:57], v[94:95]
	;; [unrolled: 1-line block ×8, first 2 shown]
	v_lshlrev_b64_e32 v[46:47], 4, v[92:93]
	s_delay_alu instid0(VALU_DEP_1) | instskip(SKIP_1) | instid1(VALU_DEP_2)
	v_add_co_u32 v92, vcc_lo, s4, v46
	s_wait_alu 0xfffd
	v_add_co_ci_u32_e64 v93, null, s5, v47, vcc_lo
	v_add_co_u32 v9, vcc_lo, v9, 16
	s_wait_alu 0xfffd
	v_add_co_ci_u32_e64 v10, null, 0, v10, vcc_lo
	global_load_b128 v[46:49], v[92:93], off
	s_wait_loadcnt 0xc
	v_fma_f64 v[19:20], v[66:67], 0, v[19:20]
	v_fma_f64 v[56:57], v[66:67], 0, v[94:95]
	v_fma_f64 v[54:55], v[62:63], v[66:67], v[96:97]
	v_fma_f64 v[30:31], v[64:65], v[66:67], v[30:31]
	v_fma_f64 v[94:95], v[58:59], v[66:67], v[98:99]
	v_fma_f64 v[50:51], v[66:67], 0, v[50:51]
	v_fma_f64 v[90:91], v[60:61], v[66:67], v[90:91]
	v_fma_f64 v[52:53], v[66:67], 0, v[52:53]
	v_fma_f64 v[19:20], v[62:63], v[68:69], v[19:20]
	v_fma_f64 v[62:63], v[64:65], v[68:69], v[56:57]
	v_fma_f64 v[66:67], 0x80000000, v[68:69], v[54:55]
	v_fma_f64 v[30:31], 0x80000000, v[68:69], v[30:31]
	v_fma_f64 v[64:65], 0x80000000, v[68:69], v[94:95]
	v_fma_f64 v[94:95], v[58:59], v[68:69], v[50:51]
	v_fma_f64 v[90:91], 0x80000000, v[68:69], v[90:91]
	v_fma_f64 v[68:69], v[60:61], v[68:69], v[52:53]
	s_clause 0x1
	global_load_b128 v[50:53], v[13:14], off offset:1568
	global_load_b128 v[54:57], v[13:14], off offset:1584
	global_load_b128 v[58:61], v[92:93], off offset:16
	s_wait_loadcnt 0xc
	v_fma_f64 v[19:20], v[78:79], 0, v[19:20]
	v_fma_f64 v[62:63], v[78:79], 0, v[62:63]
	v_fma_f64 v[66:67], v[70:71], v[78:79], v[66:67]
	v_fma_f64 v[30:31], v[72:73], v[78:79], v[30:31]
	v_fma_f64 v[64:65], v[74:75], v[78:79], v[64:65]
	v_fma_f64 v[94:95], v[78:79], 0, v[94:95]
	v_fma_f64 v[90:91], v[76:77], v[78:79], v[90:91]
	v_fma_f64 v[68:69], v[78:79], 0, v[68:69]
	v_fma_f64 v[19:20], v[70:71], v[80:81], v[19:20]
	v_fma_f64 v[96:97], v[72:73], v[80:81], v[62:63]
	v_fma_f64 v[78:79], 0x80000000, v[80:81], v[66:67]
	v_fma_f64 v[30:31], 0x80000000, v[80:81], v[30:31]
	v_fma_f64 v[98:99], 0x80000000, v[80:81], v[64:65]
	v_fma_f64 v[74:75], v[74:75], v[80:81], v[94:95]
	v_fma_f64 v[90:91], 0x80000000, v[80:81], v[90:91]
	v_fma_f64 v[76:77], v[76:77], v[80:81], v[68:69]
	s_clause 0x1
	global_load_b128 v[62:65], v[13:14], off offset:1616
	global_load_b128 v[66:69], v[13:14], off offset:1600
	global_load_b128 v[70:73], v[92:93], off offset:32
	;; [unrolled: 21-line block ×3, first 2 shown]
	v_add_co_u32 v13, vcc_lo, 0x800, v13
	s_wait_alu 0xfffd
	v_add_co_ci_u32_e64 v14, null, 0, v14, vcc_lo
	v_cmp_ge_i64_e32 vcc_lo, v[9:10], v[11:12]
	s_wait_alu 0xfffe
	s_or_b32 s7, vcc_lo, s7
	s_wait_loadcnt 0xc
	v_fma_f64 v[19:20], v[42:43], 0, v[19:20]
	v_fma_f64 v[24:25], v[42:43], 0, v[24:25]
	v_fma_f64 v[28:29], v[34:35], v[42:43], v[96:97]
	v_fma_f64 v[22:23], v[36:37], v[42:43], v[22:23]
	v_fma_f64 v[30:31], v[38:39], v[42:43], v[30:31]
	v_fma_f64 v[92:93], v[42:43], 0, v[94:95]
	v_fma_f64 v[90:91], v[40:41], v[42:43], v[90:91]
	v_fma_f64 v[26:27], v[42:43], 0, v[26:27]
	v_fma_f64 v[19:20], v[34:35], v[44:45], v[19:20]
	v_fma_f64 v[24:25], v[36:37], v[44:45], v[24:25]
	v_fma_f64 v[28:29], 0x80000000, v[44:45], v[28:29]
	v_fma_f64 v[22:23], 0x80000000, v[44:45], v[22:23]
	v_fma_f64 v[30:31], 0x80000000, v[44:45], v[30:31]
	v_fma_f64 v[34:35], v[38:39], v[44:45], v[92:93]
	v_fma_f64 v[36:37], 0x80000000, v[44:45], v[90:91]
	v_fma_f64 v[26:27], v[40:41], v[44:45], v[26:27]
	s_wait_loadcnt 0x9
	v_fma_f64 v[19:20], v[46:47], 0, v[19:20]
	v_fma_f64 v[24:25], v[46:47], 0, v[24:25]
	v_fma_f64 v[28:29], v[86:87], v[46:47], v[28:29]
	v_fma_f64 v[22:23], v[88:89], v[46:47], v[22:23]
	v_fma_f64 v[30:31], v[82:83], v[46:47], v[30:31]
	v_fma_f64 v[34:35], v[46:47], 0, v[34:35]
	v_fma_f64 v[36:37], v[84:85], v[46:47], v[36:37]
	v_fma_f64 v[26:27], v[46:47], 0, v[26:27]
	v_fma_f64 v[19:20], v[86:87], v[48:49], v[19:20]
	v_fma_f64 v[24:25], v[88:89], v[48:49], v[24:25]
	v_fma_f64 v[28:29], 0x80000000, v[48:49], v[28:29]
	v_fma_f64 v[22:23], 0x80000000, v[48:49], v[22:23]
	v_fma_f64 v[30:31], 0x80000000, v[48:49], v[30:31]
	v_fma_f64 v[34:35], v[82:83], v[48:49], v[34:35]
	v_fma_f64 v[36:37], 0x80000000, v[48:49], v[36:37]
	v_fma_f64 v[26:27], v[84:85], v[48:49], v[26:27]
	;; [unrolled: 17-line block ×5, first 2 shown]
	s_wait_alu 0xfffe
	s_and_not1_b32 exec_lo, exec_lo, s7
	s_cbranch_execnz .LBB140_31
; %bb.32:
	s_or_b32 exec_lo, exec_lo, s7
.LBB140_33:
	s_wait_alu 0xfffe
	s_or_b32 exec_lo, exec_lo, s6
.LBB140_34:
	s_wait_alu 0xfffe
	s_or_b32 exec_lo, exec_lo, s3
.LBB140_35:
	v_mbcnt_lo_u32_b32 v44, -1, 0
	s_delay_alu instid0(VALU_DEP_1) | instskip(NEXT) | instid1(VALU_DEP_1)
	v_xor_b32_e32 v9, 2, v44
	v_cmp_gt_i32_e32 vcc_lo, 32, v9
	s_wait_alu 0xfffd
	v_cndmask_b32_e32 v9, v44, v9, vcc_lo
	s_delay_alu instid0(VALU_DEP_1)
	v_lshlrev_b32_e32 v32, 2, v9
	ds_bpermute_b32 v9, v32, v22
	ds_bpermute_b32 v10, v32, v23
	;; [unrolled: 1-line block ×16, first 2 shown]
	s_wait_dscnt 0xe
	v_add_f64_e32 v[9:10], v[22:23], v[9:10]
	v_xor_b32_e32 v22, 1, v44
	s_wait_dscnt 0xc
	v_add_f64_e32 v[32:33], v[19:20], v[11:12]
	s_wait_dscnt 0xa
	v_add_f64_e32 v[11:12], v[30:31], v[13:14]
	s_wait_dscnt 0x8
	v_add_f64_e32 v[28:29], v[28:29], v[34:35]
	v_cmp_gt_i32_e32 vcc_lo, 32, v22
	s_wait_dscnt 0x6
	v_add_f64_e32 v[13:14], v[24:25], v[36:37]
	s_wait_dscnt 0x4
	v_add_f64_e32 v[19:20], v[26:27], v[38:39]
	;; [unrolled: 2-line block ×3, first 2 shown]
	s_wait_alu 0xfffd
	v_cndmask_b32_e32 v22, v44, v22, vcc_lo
	s_wait_dscnt 0x0
	v_add_f64_e32 v[17:18], v[17:18], v[42:43]
	v_cmp_eq_u32_e32 vcc_lo, 3, v0
	s_delay_alu instid0(VALU_DEP_3)
	v_lshlrev_b32_e32 v35, 2, v22
	ds_bpermute_b32 v22, v35, v9
	ds_bpermute_b32 v23, v35, v10
	;; [unrolled: 1-line block ×16, first 2 shown]
	s_and_b32 exec_lo, exec_lo, vcc_lo
	s_cbranch_execz .LBB140_8
; %bb.36:
	s_wait_dscnt 0xc
	v_add_f64_e32 v[32:33], v[32:33], v[40:41]
	s_wait_dscnt 0x8
	v_add_f64_e32 v[28:29], v[28:29], v[38:39]
	;; [unrolled: 2-line block ×4, first 2 shown]
	v_add_f64_e32 v[9:10], v[9:10], v[22:23]
	v_add_f64_e32 v[11:12], v[11:12], v[24:25]
	;; [unrolled: 1-line block ×4, first 2 shown]
	v_cmp_eq_f64_e32 vcc_lo, 0, v[1:2]
	v_cmp_eq_f64_e64 s2, 0, v[3:4]
	s_load_b64 s[0:1], s[0:1], 0x60
	v_lshlrev_b32_e32 v21, 2, v21
	v_mul_f64_e64 v[13:14], v[32:33], -v[7:8]
	v_mul_f64_e32 v[15:16], v[5:6], v[32:33]
	v_mul_f64_e64 v[26:27], v[28:29], -v[7:8]
	v_mul_f64_e32 v[28:29], v[5:6], v[28:29]
	;; [unrolled: 2-line block ×4, first 2 shown]
	s_and_b32 s2, vcc_lo, s2
	v_fma_f64 v[17:18], v[5:6], v[9:10], v[13:14]
	v_fma_f64 v[19:20], v[7:8], v[9:10], v[15:16]
	;; [unrolled: 1-line block ×8, first 2 shown]
	s_wait_alu 0xfffe
	s_and_saveexec_b32 s3, s2
	s_wait_alu 0xfffe
	s_xor_b32 s2, exec_lo, s3
	s_cbranch_execz .LBB140_38
; %bb.37:
	v_ashrrev_i32_e32 v22, 31, v21
	s_delay_alu instid0(VALU_DEP_1) | instskip(SKIP_1) | instid1(VALU_DEP_1)
	v_lshlrev_b64_e32 v[0:1], 4, v[21:22]
                                        ; implicit-def: $vgpr21
	s_wait_kmcnt 0x0
	v_add_co_u32 v0, vcc_lo, s0, v0
	s_wait_alu 0xfffd
	s_delay_alu instid0(VALU_DEP_2)
	v_add_co_ci_u32_e64 v1, null, s1, v1, vcc_lo
	s_clause 0x3
	global_store_b128 v[0:1], v[17:20], off
	global_store_b128 v[0:1], v[13:16], off offset:16
	global_store_b128 v[0:1], v[9:12], off offset:32
	;; [unrolled: 1-line block ×3, first 2 shown]
                                        ; implicit-def: $vgpr3_vgpr4
                                        ; implicit-def: $vgpr17_vgpr18
                                        ; implicit-def: $vgpr13_vgpr14
                                        ; implicit-def: $vgpr9_vgpr10
                                        ; implicit-def: $vgpr5_vgpr6
.LBB140_38:
	s_wait_alu 0xfffe
	s_and_not1_saveexec_b32 s2, s2
	s_cbranch_execz .LBB140_8
; %bb.39:
	v_ashrrev_i32_e32 v22, 31, v21
	s_delay_alu instid0(VALU_DEP_1) | instskip(SKIP_1) | instid1(VALU_DEP_1)
	v_lshlrev_b64_e32 v[21:22], 4, v[21:22]
	s_wait_kmcnt 0x0
	v_add_co_u32 v37, vcc_lo, s0, v21
	s_wait_alu 0xfffd
	s_delay_alu instid0(VALU_DEP_2)
	v_add_co_ci_u32_e64 v38, null, s1, v22, vcc_lo
	s_clause 0x3
	global_load_b128 v[21:24], v[37:38], off
	global_load_b128 v[25:28], v[37:38], off offset:16
	global_load_b128 v[29:32], v[37:38], off offset:32
	;; [unrolled: 1-line block ×3, first 2 shown]
	s_wait_loadcnt 0x3
	v_fma_f64 v[17:18], v[1:2], v[21:22], v[17:18]
	v_fma_f64 v[19:20], v[3:4], v[21:22], v[19:20]
	s_wait_loadcnt 0x2
	v_fma_f64 v[13:14], v[1:2], v[25:26], v[13:14]
	v_fma_f64 v[15:16], v[3:4], v[25:26], v[15:16]
	;; [unrolled: 3-line block ×4, first 2 shown]
	v_fma_f64 v[5:6], -v[3:4], v[23:24], v[17:18]
	v_fma_f64 v[7:8], v[1:2], v[23:24], v[19:20]
	v_fma_f64 v[9:10], -v[3:4], v[27:28], v[13:14]
	v_fma_f64 v[11:12], v[1:2], v[27:28], v[15:16]
	;; [unrolled: 2-line block ×4, first 2 shown]
	s_clause 0x3
	global_store_b128 v[37:38], v[5:8], off
	global_store_b128 v[37:38], v[9:12], off offset:16
	global_store_b128 v[37:38], v[13:16], off offset:32
	;; [unrolled: 1-line block ×3, first 2 shown]
	s_nop 0
	s_sendmsg sendmsg(MSG_DEALLOC_VGPRS)
	s_endpgm
	.section	.rodata,"a",@progbits
	.p2align	6, 0x0
	.amdhsa_kernel _ZN9rocsparseL18bsrxmvn_4x4_kernelILj128ELj4E21rocsparse_complex_numIdElidS2_S2_EEvT3_20rocsparse_direction_NS_24const_host_device_scalarIT1_EES3_PKS3_PKT2_SC_S9_PKT4_PKT5_S7_PT6_21rocsparse_index_base_b
		.amdhsa_group_segment_fixed_size 0
		.amdhsa_private_segment_fixed_size 0
		.amdhsa_kernarg_size 112
		.amdhsa_user_sgpr_count 2
		.amdhsa_user_sgpr_dispatch_ptr 0
		.amdhsa_user_sgpr_queue_ptr 0
		.amdhsa_user_sgpr_kernarg_segment_ptr 1
		.amdhsa_user_sgpr_dispatch_id 0
		.amdhsa_user_sgpr_private_segment_size 0
		.amdhsa_wavefront_size32 1
		.amdhsa_uses_dynamic_stack 0
		.amdhsa_enable_private_segment 0
		.amdhsa_system_sgpr_workgroup_id_x 1
		.amdhsa_system_sgpr_workgroup_id_y 0
		.amdhsa_system_sgpr_workgroup_id_z 0
		.amdhsa_system_sgpr_workgroup_info 0
		.amdhsa_system_vgpr_workitem_id 0
		.amdhsa_next_free_vgpr 117
		.amdhsa_next_free_sgpr 14
		.amdhsa_reserve_vcc 1
		.amdhsa_float_round_mode_32 0
		.amdhsa_float_round_mode_16_64 0
		.amdhsa_float_denorm_mode_32 3
		.amdhsa_float_denorm_mode_16_64 3
		.amdhsa_fp16_overflow 0
		.amdhsa_workgroup_processor_mode 1
		.amdhsa_memory_ordered 1
		.amdhsa_forward_progress 1
		.amdhsa_inst_pref_size 89
		.amdhsa_round_robin_scheduling 0
		.amdhsa_exception_fp_ieee_invalid_op 0
		.amdhsa_exception_fp_denorm_src 0
		.amdhsa_exception_fp_ieee_div_zero 0
		.amdhsa_exception_fp_ieee_overflow 0
		.amdhsa_exception_fp_ieee_underflow 0
		.amdhsa_exception_fp_ieee_inexact 0
		.amdhsa_exception_int_div_zero 0
	.end_amdhsa_kernel
	.section	.text._ZN9rocsparseL18bsrxmvn_4x4_kernelILj128ELj4E21rocsparse_complex_numIdElidS2_S2_EEvT3_20rocsparse_direction_NS_24const_host_device_scalarIT1_EES3_PKS3_PKT2_SC_S9_PKT4_PKT5_S7_PT6_21rocsparse_index_base_b,"axG",@progbits,_ZN9rocsparseL18bsrxmvn_4x4_kernelILj128ELj4E21rocsparse_complex_numIdElidS2_S2_EEvT3_20rocsparse_direction_NS_24const_host_device_scalarIT1_EES3_PKS3_PKT2_SC_S9_PKT4_PKT5_S7_PT6_21rocsparse_index_base_b,comdat
.Lfunc_end140:
	.size	_ZN9rocsparseL18bsrxmvn_4x4_kernelILj128ELj4E21rocsparse_complex_numIdElidS2_S2_EEvT3_20rocsparse_direction_NS_24const_host_device_scalarIT1_EES3_PKS3_PKT2_SC_S9_PKT4_PKT5_S7_PT6_21rocsparse_index_base_b, .Lfunc_end140-_ZN9rocsparseL18bsrxmvn_4x4_kernelILj128ELj4E21rocsparse_complex_numIdElidS2_S2_EEvT3_20rocsparse_direction_NS_24const_host_device_scalarIT1_EES3_PKS3_PKT2_SC_S9_PKT4_PKT5_S7_PT6_21rocsparse_index_base_b
                                        ; -- End function
	.set _ZN9rocsparseL18bsrxmvn_4x4_kernelILj128ELj4E21rocsparse_complex_numIdElidS2_S2_EEvT3_20rocsparse_direction_NS_24const_host_device_scalarIT1_EES3_PKS3_PKT2_SC_S9_PKT4_PKT5_S7_PT6_21rocsparse_index_base_b.num_vgpr, 117
	.set _ZN9rocsparseL18bsrxmvn_4x4_kernelILj128ELj4E21rocsparse_complex_numIdElidS2_S2_EEvT3_20rocsparse_direction_NS_24const_host_device_scalarIT1_EES3_PKS3_PKT2_SC_S9_PKT4_PKT5_S7_PT6_21rocsparse_index_base_b.num_agpr, 0
	.set _ZN9rocsparseL18bsrxmvn_4x4_kernelILj128ELj4E21rocsparse_complex_numIdElidS2_S2_EEvT3_20rocsparse_direction_NS_24const_host_device_scalarIT1_EES3_PKS3_PKT2_SC_S9_PKT4_PKT5_S7_PT6_21rocsparse_index_base_b.numbered_sgpr, 14
	.set _ZN9rocsparseL18bsrxmvn_4x4_kernelILj128ELj4E21rocsparse_complex_numIdElidS2_S2_EEvT3_20rocsparse_direction_NS_24const_host_device_scalarIT1_EES3_PKS3_PKT2_SC_S9_PKT4_PKT5_S7_PT6_21rocsparse_index_base_b.num_named_barrier, 0
	.set _ZN9rocsparseL18bsrxmvn_4x4_kernelILj128ELj4E21rocsparse_complex_numIdElidS2_S2_EEvT3_20rocsparse_direction_NS_24const_host_device_scalarIT1_EES3_PKS3_PKT2_SC_S9_PKT4_PKT5_S7_PT6_21rocsparse_index_base_b.private_seg_size, 0
	.set _ZN9rocsparseL18bsrxmvn_4x4_kernelILj128ELj4E21rocsparse_complex_numIdElidS2_S2_EEvT3_20rocsparse_direction_NS_24const_host_device_scalarIT1_EES3_PKS3_PKT2_SC_S9_PKT4_PKT5_S7_PT6_21rocsparse_index_base_b.uses_vcc, 1
	.set _ZN9rocsparseL18bsrxmvn_4x4_kernelILj128ELj4E21rocsparse_complex_numIdElidS2_S2_EEvT3_20rocsparse_direction_NS_24const_host_device_scalarIT1_EES3_PKS3_PKT2_SC_S9_PKT4_PKT5_S7_PT6_21rocsparse_index_base_b.uses_flat_scratch, 0
	.set _ZN9rocsparseL18bsrxmvn_4x4_kernelILj128ELj4E21rocsparse_complex_numIdElidS2_S2_EEvT3_20rocsparse_direction_NS_24const_host_device_scalarIT1_EES3_PKS3_PKT2_SC_S9_PKT4_PKT5_S7_PT6_21rocsparse_index_base_b.has_dyn_sized_stack, 0
	.set _ZN9rocsparseL18bsrxmvn_4x4_kernelILj128ELj4E21rocsparse_complex_numIdElidS2_S2_EEvT3_20rocsparse_direction_NS_24const_host_device_scalarIT1_EES3_PKS3_PKT2_SC_S9_PKT4_PKT5_S7_PT6_21rocsparse_index_base_b.has_recursion, 0
	.set _ZN9rocsparseL18bsrxmvn_4x4_kernelILj128ELj4E21rocsparse_complex_numIdElidS2_S2_EEvT3_20rocsparse_direction_NS_24const_host_device_scalarIT1_EES3_PKS3_PKT2_SC_S9_PKT4_PKT5_S7_PT6_21rocsparse_index_base_b.has_indirect_call, 0
	.section	.AMDGPU.csdata,"",@progbits
; Kernel info:
; codeLenInByte = 11336
; TotalNumSgprs: 16
; NumVgprs: 117
; ScratchSize: 0
; MemoryBound: 0
; FloatMode: 240
; IeeeMode: 1
; LDSByteSize: 0 bytes/workgroup (compile time only)
; SGPRBlocks: 0
; VGPRBlocks: 14
; NumSGPRsForWavesPerEU: 16
; NumVGPRsForWavesPerEU: 117
; Occupancy: 12
; WaveLimiterHint : 1
; COMPUTE_PGM_RSRC2:SCRATCH_EN: 0
; COMPUTE_PGM_RSRC2:USER_SGPR: 2
; COMPUTE_PGM_RSRC2:TRAP_HANDLER: 0
; COMPUTE_PGM_RSRC2:TGID_X_EN: 1
; COMPUTE_PGM_RSRC2:TGID_Y_EN: 0
; COMPUTE_PGM_RSRC2:TGID_Z_EN: 0
; COMPUTE_PGM_RSRC2:TIDIG_COMP_CNT: 0
	.section	.text._ZN9rocsparseL18bsrxmvn_4x4_kernelILj128ELj8E21rocsparse_complex_numIdElidS2_S2_EEvT3_20rocsparse_direction_NS_24const_host_device_scalarIT1_EES3_PKS3_PKT2_SC_S9_PKT4_PKT5_S7_PT6_21rocsparse_index_base_b,"axG",@progbits,_ZN9rocsparseL18bsrxmvn_4x4_kernelILj128ELj8E21rocsparse_complex_numIdElidS2_S2_EEvT3_20rocsparse_direction_NS_24const_host_device_scalarIT1_EES3_PKS3_PKT2_SC_S9_PKT4_PKT5_S7_PT6_21rocsparse_index_base_b,comdat
	.globl	_ZN9rocsparseL18bsrxmvn_4x4_kernelILj128ELj8E21rocsparse_complex_numIdElidS2_S2_EEvT3_20rocsparse_direction_NS_24const_host_device_scalarIT1_EES3_PKS3_PKT2_SC_S9_PKT4_PKT5_S7_PT6_21rocsparse_index_base_b ; -- Begin function _ZN9rocsparseL18bsrxmvn_4x4_kernelILj128ELj8E21rocsparse_complex_numIdElidS2_S2_EEvT3_20rocsparse_direction_NS_24const_host_device_scalarIT1_EES3_PKS3_PKT2_SC_S9_PKT4_PKT5_S7_PT6_21rocsparse_index_base_b
	.p2align	8
	.type	_ZN9rocsparseL18bsrxmvn_4x4_kernelILj128ELj8E21rocsparse_complex_numIdElidS2_S2_EEvT3_20rocsparse_direction_NS_24const_host_device_scalarIT1_EES3_PKS3_PKT2_SC_S9_PKT4_PKT5_S7_PT6_21rocsparse_index_base_b,@function
_ZN9rocsparseL18bsrxmvn_4x4_kernelILj128ELj8E21rocsparse_complex_numIdElidS2_S2_EEvT3_20rocsparse_direction_NS_24const_host_device_scalarIT1_EES3_PKS3_PKT2_SC_S9_PKT4_PKT5_S7_PT6_21rocsparse_index_base_b: ; @_ZN9rocsparseL18bsrxmvn_4x4_kernelILj128ELj8E21rocsparse_complex_numIdElidS2_S2_EEvT3_20rocsparse_direction_NS_24const_host_device_scalarIT1_EES3_PKS3_PKT2_SC_S9_PKT4_PKT5_S7_PT6_21rocsparse_index_base_b
; %bb.0:
	s_clause 0x1
	s_load_b64 s[12:13], s[0:1], 0x68
	s_load_b64 s[2:3], s[0:1], 0x8
	s_add_nc_u64 s[4:5], s[0:1], 8
	s_load_b64 s[6:7], s[0:1], 0x50
	s_wait_kmcnt 0x0
	s_bitcmp1_b32 s13, 0
	s_cselect_b32 s2, s4, s2
	s_cselect_b32 s3, s5, s3
	s_delay_alu instid0(SALU_CYCLE_1)
	v_dual_mov_b32 v1, s2 :: v_dual_mov_b32 v2, s3
	s_add_nc_u64 s[2:3], s[0:1], 0x50
	s_wait_alu 0xfffe
	s_cselect_b32 s2, s2, s6
	s_cselect_b32 s3, s3, s7
	flat_load_b128 v[5:8], v[1:2]
	s_wait_alu 0xfffe
	v_dual_mov_b32 v1, s2 :: v_dual_mov_b32 v2, s3
	flat_load_b128 v[1:4], v[1:2]
	s_wait_loadcnt_dscnt 0x101
	v_cmp_eq_f64_e32 vcc_lo, 0, v[5:6]
	v_cmp_eq_f64_e64 s2, 0, v[7:8]
	s_and_b32 s4, vcc_lo, s2
	s_mov_b32 s2, -1
	s_and_saveexec_b32 s3, s4
	s_cbranch_execz .LBB141_2
; %bb.1:
	s_wait_loadcnt_dscnt 0x0
	v_cmp_neq_f64_e32 vcc_lo, 1.0, v[1:2]
	v_cmp_neq_f64_e64 s2, 0, v[3:4]
	s_wait_alu 0xfffe
	s_or_b32 s2, vcc_lo, s2
	s_wait_alu 0xfffe
	s_or_not1_b32 s2, s2, exec_lo
.LBB141_2:
	s_wait_alu 0xfffe
	s_or_b32 exec_lo, exec_lo, s3
	s_and_saveexec_b32 s3, s2
	s_cbranch_execz .LBB141_8
; %bb.3:
	s_clause 0x1
	s_load_b64 s[4:5], s[0:1], 0x20
	s_load_b64 s[2:3], s[0:1], 0x0
	v_lshrrev_b32_e32 v9, 3, v0
	s_delay_alu instid0(VALU_DEP_1)
	v_lshl_or_b32 v21, ttmp9, 4, v9
	s_wait_kmcnt 0x0
	s_cmp_lg_u64 s[4:5], 0
	s_cbranch_scc0 .LBB141_9
; %bb.4:
	s_load_b32 s6, s[0:1], 0x18
	s_mov_b32 s7, 0
                                        ; implicit-def: $vgpr9
	s_wait_kmcnt 0x0
	v_cmp_gt_i32_e32 vcc_lo, s6, v21
	s_mov_b32 s6, 0
	s_and_saveexec_b32 s8, vcc_lo
	s_delay_alu instid0(SALU_CYCLE_1)
	s_xor_b32 s8, exec_lo, s8
	s_cbranch_execz .LBB141_6
; %bb.5:
	v_ashrrev_i32_e32 v22, 31, v21
	s_mov_b32 s6, exec_lo
	s_delay_alu instid0(VALU_DEP_1) | instskip(NEXT) | instid1(VALU_DEP_1)
	v_lshlrev_b64_e32 v[9:10], 2, v[21:22]
	v_add_co_u32 v9, vcc_lo, s4, v9
	s_delay_alu instid0(VALU_DEP_1)
	v_add_co_ci_u32_e64 v10, null, s5, v10, vcc_lo
	global_load_b32 v9, v[9:10], off
	s_wait_loadcnt 0x0
	v_subrev_nc_u32_e32 v9, s12, v9
.LBB141_6:
	s_or_b32 exec_lo, exec_lo, s8
	s_delay_alu instid0(SALU_CYCLE_1)
	s_and_b32 vcc_lo, exec_lo, s7
	s_wait_alu 0xfffe
	s_cbranch_vccz .LBB141_10
.LBB141_7:
	v_cmp_gt_i32_e32 vcc_lo, s2, v21
	s_and_not1_b32 s2, s6, exec_lo
	s_and_b32 s4, vcc_lo, exec_lo
	s_wait_alu 0xfffe
	s_or_b32 s6, s2, s4
	s_wait_alu 0xfffe
	s_and_b32 exec_lo, exec_lo, s6
	s_cbranch_execnz .LBB141_11
.LBB141_8:
	s_nop 0
	s_sendmsg sendmsg(MSG_DEALLOC_VGPRS)
	s_endpgm
.LBB141_9:
	s_mov_b32 s6, 0
                                        ; implicit-def: $vgpr9
	s_cbranch_execnz .LBB141_7
.LBB141_10:
	v_mov_b32_e32 v21, v9
	s_and_b32 exec_lo, exec_lo, s6
	s_cbranch_execz .LBB141_8
.LBB141_11:
	s_load_b256 s[4:11], s[0:1], 0x28
	s_delay_alu instid0(VALU_DEP_1) | instskip(SKIP_1) | instid1(VALU_DEP_2)
	v_ashrrev_i32_e32 v22, 31, v21
	v_and_b32_e32 v0, 7, v0
	v_lshlrev_b64_e32 v[9:10], 3, v[21:22]
	s_wait_kmcnt 0x0
	s_delay_alu instid0(VALU_DEP_1) | instskip(SKIP_1) | instid1(VALU_DEP_2)
	v_add_co_u32 v11, vcc_lo, s4, v9
	s_wait_alu 0xfffd
	v_add_co_ci_u32_e64 v12, null, s5, v10, vcc_lo
	v_add_co_u32 v9, vcc_lo, s6, v9
	s_wait_alu 0xfffd
	v_add_co_ci_u32_e64 v10, null, s7, v10, vcc_lo
	v_add_co_u32 v13, vcc_lo, v11, 8
	global_load_b64 v[32:33], v[11:12], off
	s_wait_alu 0xfffd
	v_add_co_ci_u32_e64 v14, null, 0, v12, vcc_lo
	s_cmp_eq_u64 s[6:7], 0
	s_load_b64 s[4:5], s[0:1], 0x48
	s_cselect_b32 vcc_lo, -1, 0
	s_cmp_eq_u32 s3, 1
	s_wait_alu 0xfffe
	v_dual_cndmask_b32 v10, v10, v14 :: v_dual_cndmask_b32 v9, v9, v13
	global_load_b64 v[11:12], v[9:10], off
	s_wait_loadcnt 0x1
	v_sub_co_u32 v9, vcc_lo, v32, s12
	s_wait_alu 0xfffd
	v_subrev_co_ci_u32_e64 v10, null, 0, v33, vcc_lo
	s_delay_alu instid0(VALU_DEP_2) | instskip(SKIP_1) | instid1(VALU_DEP_2)
	v_add_co_u32 v9, vcc_lo, v9, v0
	s_wait_alu 0xfffd
	v_add_co_ci_u32_e64 v10, null, 0, v10, vcc_lo
	s_delay_alu instid0(VALU_DEP_1) | instskip(SKIP_4) | instid1(VALU_DEP_3)
	v_lshlrev_b64_e32 v[13:14], 7, v[9:10]
	s_wait_loadcnt 0x0
	v_sub_co_u32 v11, vcc_lo, v11, s12
	s_wait_alu 0xfffd
	v_subrev_co_ci_u32_e64 v12, null, 0, v12, vcc_lo
	v_add_co_u32 v13, vcc_lo, s10, v13
	s_delay_alu instid0(VALU_DEP_2)
	v_cmp_lt_i64_e64 s2, v[9:10], v[11:12]
	s_wait_alu 0xfffd
	v_add_co_ci_u32_e64 v14, null, s11, v14, vcc_lo
	s_cbranch_scc1 .LBB141_23
; %bb.12:
	v_mov_b32_e32 v28, 0
	v_dual_mov_b32 v26, 0 :: v_dual_mov_b32 v17, 0
	v_dual_mov_b32 v19, 0 :: v_dual_mov_b32 v22, 0
	;; [unrolled: 1-line block ×6, first 2 shown]
	v_mov_b32_e32 v31, 0
	v_dual_mov_b32 v25, 0 :: v_dual_mov_b32 v16, 0
	s_and_saveexec_b32 s6, s2
	s_cbranch_execz .LBB141_22
; %bb.13:
	v_or_b32_e32 v15, 8, v0
	v_not_b32_e32 v20, v32
	v_not_b32_e32 v19, v33
	v_dual_mov_b32 v35, 0 :: v_dual_mov_b32 v28, 0
	s_delay_alu instid0(VALU_DEP_4) | instskip(SKIP_3) | instid1(VALU_DEP_3)
	v_sub_co_u32 v15, s3, v15, s12
	s_wait_alu 0xf1ff
	v_sub_co_ci_u32_e64 v16, null, 0, 0, s3
	v_sub_co_u32 v22, s3, s12, v0
	v_add_co_u32 v17, vcc_lo, v15, v32
	s_wait_alu 0xfffd
	s_delay_alu instid0(VALU_DEP_3) | instskip(SKIP_3) | instid1(VALU_DEP_3)
	v_add_co_ci_u32_e64 v18, null, v16, v33, vcc_lo
	s_wait_alu 0xf1ff
	v_sub_co_ci_u32_e64 v23, null, 0, 0, s3
	v_add_co_u32 v20, s3, v22, v20
	v_cmp_gt_i64_e32 vcc_lo, v[17:18], v[11:12]
	v_mov_b32_e32 v15, 0
	s_wait_alu 0xf1ff
	v_add_co_ci_u32_e64 v19, null, v23, v19, s3
	v_mov_b32_e32 v16, 0
	v_mov_b32_e32 v26, 0
	s_wait_alu 0xfffd
	v_cndmask_b32_e32 v24, v11, v17, vcc_lo
	v_dual_cndmask_b32 v22, v12, v18 :: v_dual_mov_b32 v17, 0
	v_mov_b32_e32 v30, 0
	v_mov_b32_e32 v18, 0
	s_delay_alu instid0(VALU_DEP_4) | instskip(SKIP_2) | instid1(VALU_DEP_2)
	v_add_co_u32 v38, vcc_lo, v20, v24
	s_wait_alu 0xfffd
	v_add_co_ci_u32_e64 v39, null, v19, v22, vcc_lo
	v_dual_mov_b32 v19, 0 :: v_dual_and_b32 v34, 24, v38
	v_dual_mov_b32 v29, 0 :: v_dual_mov_b32 v24, 0
	v_dual_mov_b32 v27, 0 :: v_dual_mov_b32 v22, 0
	;; [unrolled: 1-line block ×3, first 2 shown]
	s_delay_alu instid0(VALU_DEP_4)
	v_cmp_ne_u64_e32 vcc_lo, 24, v[34:35]
	v_mov_b32_e32 v35, v10
	v_mov_b32_e32 v25, 0
	;; [unrolled: 1-line block ×3, first 2 shown]
	v_dual_mov_b32 v23, 0 :: v_dual_mov_b32 v36, v13
	v_mov_b32_e32 v34, v9
	s_and_saveexec_b32 s7, vcc_lo
	s_cbranch_execz .LBB141_17
; %bb.14:
	v_lshrrev_b32_e32 v17, 3, v38
	v_lshlrev_b64_e32 v[15:16], 2, v[9:10]
	v_mov_b32_e32 v19, 0
	v_dual_mov_b32 v35, v10 :: v_dual_mov_b32 v22, 0
	s_delay_alu instid0(VALU_DEP_4) | instskip(SKIP_2) | instid1(VALU_DEP_3)
	v_dual_mov_b32 v20, 0 :: v_dual_add_nc_u32 v17, 1, v17
	v_dual_mov_b32 v23, 0 :: v_dual_mov_b32 v28, 0
	v_add_co_u32 v40, vcc_lo, s8, v15
	v_dual_mov_b32 v26, 0 :: v_dual_and_b32 v17, 3, v17
	v_dual_mov_b32 v29, 0 :: v_dual_mov_b32 v30, 0
	s_wait_alu 0xfffd
	v_add_co_ci_u32_e64 v41, null, s9, v16, vcc_lo
	s_delay_alu instid0(VALU_DEP_3)
	v_sub_co_u32 v42, s3, 0, v17
	v_dual_mov_b32 v31, 0 :: v_dual_mov_b32 v24, 0
	v_mov_b32_e32 v17, 0
	v_mov_b32_e32 v15, 0
	v_dual_mov_b32 v37, v14 :: v_dual_mov_b32 v34, v9
	s_wait_alu 0xf1ff
	v_sub_co_ci_u32_e64 v43, null, 0, 0, s3
	v_dual_mov_b32 v27, 0 :: v_dual_mov_b32 v18, 0
	v_dual_mov_b32 v25, 0 :: v_dual_mov_b32 v16, 0
	v_mov_b32_e32 v36, v13
	s_mov_b32 s10, 0
.LBB141_15:                             ; =>This Inner Loop Header: Depth=1
	global_load_b32 v76, v[40:41], off
	s_clause 0x7
	global_load_b128 v[44:47], v[36:37], off offset:48
	global_load_b128 v[48:51], v[36:37], off offset:32
	;; [unrolled: 1-line block ×3, first 2 shown]
	global_load_b128 v[56:59], v[36:37], off
	global_load_b128 v[60:63], v[36:37], off offset:112
	global_load_b128 v[64:67], v[36:37], off offset:96
	;; [unrolled: 1-line block ×4, first 2 shown]
	v_add_co_u32 v40, s3, v40, 32
	s_wait_alu 0xf1ff
	v_add_co_ci_u32_e64 v41, null, 0, v41, s3
	s_wait_loadcnt 0x8
	v_subrev_nc_u32_e32 v76, s12, v76
	s_delay_alu instid0(VALU_DEP_1) | instskip(NEXT) | instid1(VALU_DEP_1)
	v_lshlrev_b32_e32 v76, 2, v76
	v_ashrrev_i32_e32 v77, 31, v76
	s_delay_alu instid0(VALU_DEP_1) | instskip(SKIP_1) | instid1(VALU_DEP_1)
	v_lshlrev_b64_e32 v[76:77], 4, v[76:77]
	s_wait_kmcnt 0x0
	v_add_co_u32 v88, vcc_lo, s4, v76
	s_wait_alu 0xfffd
	s_delay_alu instid0(VALU_DEP_2)
	v_add_co_ci_u32_e64 v89, null, s5, v77, vcc_lo
	v_add_co_u32 v36, vcc_lo, 0x400, v36
	s_wait_alu 0xfffd
	v_add_co_ci_u32_e64 v37, null, 0, v37, vcc_lo
	s_clause 0x3
	global_load_b128 v[76:79], v[88:89], off
	global_load_b128 v[80:83], v[88:89], off offset:16
	global_load_b128 v[84:87], v[88:89], off offset:32
	;; [unrolled: 1-line block ×3, first 2 shown]
	v_add_co_u32 v42, vcc_lo, v42, 1
	s_wait_alu 0xfffd
	v_add_co_ci_u32_e64 v43, null, 0, v43, vcc_lo
	v_add_co_u32 v34, vcc_lo, v34, 8
	s_wait_alu 0xfffd
	v_add_co_ci_u32_e64 v35, null, 0, v35, vcc_lo
	s_delay_alu instid0(VALU_DEP_3)
	v_cmp_eq_u64_e32 vcc_lo, 0, v[42:43]
	s_wait_alu 0xfffe
	s_or_b32 s10, vcc_lo, s10
	s_wait_loadcnt 0x3
	v_fma_f64 v[22:23], v[56:57], v[76:77], v[22:23]
	v_fma_f64 v[19:20], v[76:77], 0, v[19:20]
	v_fma_f64 v[30:31], v[48:49], v[76:77], v[30:31]
	v_fma_f64 v[28:29], v[76:77], 0, v[28:29]
	v_fma_f64 v[24:25], v[72:73], v[76:77], v[24:25]
	v_fma_f64 v[26:27], v[76:77], 0, v[26:27]
	v_fma_f64 v[15:16], v[64:65], v[76:77], v[15:16]
	v_fma_f64 v[17:18], v[76:77], 0, v[17:18]
	v_fma_f64 v[22:23], 0x80000000, v[78:79], v[22:23]
	v_fma_f64 v[19:20], v[56:57], v[78:79], v[19:20]
	v_fma_f64 v[30:31], 0x80000000, v[78:79], v[30:31]
	v_fma_f64 v[28:29], v[48:49], v[78:79], v[28:29]
	v_fma_f64 v[24:25], 0x80000000, v[78:79], v[24:25]
	v_fma_f64 v[26:27], v[72:73], v[78:79], v[26:27]
	v_fma_f64 v[15:16], 0x80000000, v[78:79], v[15:16]
	v_fma_f64 v[17:18], v[64:65], v[78:79], v[17:18]
	s_wait_loadcnt 0x2
	v_fma_f64 v[22:23], v[58:59], v[80:81], v[22:23]
	v_fma_f64 v[19:20], v[80:81], 0, v[19:20]
	v_fma_f64 v[30:31], v[50:51], v[80:81], v[30:31]
	v_fma_f64 v[28:29], v[80:81], 0, v[28:29]
	v_fma_f64 v[24:25], v[74:75], v[80:81], v[24:25]
	v_fma_f64 v[26:27], v[80:81], 0, v[26:27]
	v_fma_f64 v[15:16], v[66:67], v[80:81], v[15:16]
	v_fma_f64 v[17:18], v[80:81], 0, v[17:18]
	v_fma_f64 v[22:23], 0x80000000, v[82:83], v[22:23]
	v_fma_f64 v[19:20], v[58:59], v[82:83], v[19:20]
	v_fma_f64 v[30:31], 0x80000000, v[82:83], v[30:31]
	v_fma_f64 v[28:29], v[50:51], v[82:83], v[28:29]
	v_fma_f64 v[24:25], 0x80000000, v[82:83], v[24:25]
	v_fma_f64 v[26:27], v[74:75], v[82:83], v[26:27]
	v_fma_f64 v[15:16], 0x80000000, v[82:83], v[15:16]
	v_fma_f64 v[17:18], v[66:67], v[82:83], v[17:18]
	;; [unrolled: 17-line block ×4, first 2 shown]
	s_wait_alu 0xfffe
	s_and_not1_b32 exec_lo, exec_lo, s10
	s_cbranch_execnz .LBB141_15
; %bb.16:
	s_or_b32 exec_lo, exec_lo, s10
.LBB141_17:
	s_wait_alu 0xfffe
	s_or_b32 exec_lo, exec_lo, s7
	s_delay_alu instid0(SALU_CYCLE_1)
	s_mov_b32 s7, exec_lo
	v_cmpx_lt_u64_e32 23, v[38:39]
	s_cbranch_execz .LBB141_21
; %bb.18:
	v_lshlrev_b64_e32 v[38:39], 2, v[34:35]
	s_mov_b32 s10, 0
	s_delay_alu instid0(VALU_DEP_1) | instskip(SKIP_1) | instid1(VALU_DEP_2)
	v_add_co_u32 v38, vcc_lo, s8, v38
	s_wait_alu 0xfffd
	v_add_co_ci_u32_e64 v39, null, s9, v39, vcc_lo
	s_delay_alu instid0(VALU_DEP_2) | instskip(SKIP_1) | instid1(VALU_DEP_2)
	v_add_co_u32 v38, vcc_lo, v38, 64
	s_wait_alu 0xfffd
	v_add_co_ci_u32_e64 v39, null, 0, v39, vcc_lo
.LBB141_19:                             ; =>This Inner Loop Header: Depth=1
	s_clause 0x1
	global_load_b32 v56, v[38:39], off offset:-64
	global_load_b32 v104, v[38:39], off offset:-32
	s_clause 0x3
	global_load_b128 v[40:43], v[36:37], off offset:32
	global_load_b128 v[44:47], v[36:37], off
	global_load_b128 v[48:51], v[36:37], off offset:96
	global_load_b128 v[52:55], v[36:37], off offset:64
	s_clause 0x1
	global_load_b32 v114, v[38:39], off
	global_load_b32 v116, v[38:39], off offset:32
	v_add_co_u32 v38, s3, 0x80, v38
	s_wait_alu 0xf1ff
	v_add_co_ci_u32_e64 v39, null, 0, v39, s3
	s_wait_loadcnt 0x7
	v_subrev_nc_u32_e32 v56, s12, v56
	s_wait_loadcnt 0x6
	v_subrev_nc_u32_e32 v104, s12, v104
	s_delay_alu instid0(VALU_DEP_2) | instskip(NEXT) | instid1(VALU_DEP_2)
	v_lshlrev_b32_e32 v56, 2, v56
	v_lshlrev_b32_e32 v104, 2, v104
	s_wait_loadcnt 0x1
	v_subrev_nc_u32_e32 v114, s12, v114
	s_delay_alu instid0(VALU_DEP_3) | instskip(NEXT) | instid1(VALU_DEP_3)
	v_ashrrev_i32_e32 v57, 31, v56
	v_ashrrev_i32_e32 v105, 31, v104
	s_delay_alu instid0(VALU_DEP_3) | instskip(NEXT) | instid1(VALU_DEP_3)
	v_lshlrev_b32_e32 v114, 2, v114
	v_lshlrev_b64_e32 v[56:57], 4, v[56:57]
	s_delay_alu instid0(VALU_DEP_3) | instskip(NEXT) | instid1(VALU_DEP_3)
	v_lshlrev_b64_e32 v[104:105], 4, v[104:105]
	v_ashrrev_i32_e32 v115, 31, v114
	s_wait_kmcnt 0x0
	s_delay_alu instid0(VALU_DEP_3)
	v_add_co_u32 v84, vcc_lo, s4, v56
	s_wait_alu 0xfffd
	v_add_co_ci_u32_e64 v85, null, s5, v57, vcc_lo
	v_add_co_u32 v108, vcc_lo, s4, v104
	s_wait_alu 0xfffd
	v_add_co_ci_u32_e64 v109, null, s5, v105, vcc_lo
	s_clause 0x1
	global_load_b128 v[56:59], v[84:85], off
	global_load_b128 v[60:63], v[84:85], off offset:16
	s_clause 0x3
	global_load_b128 v[64:67], v[36:37], off offset:48
	global_load_b128 v[68:71], v[36:37], off offset:16
	global_load_b128 v[72:75], v[36:37], off offset:112
	global_load_b128 v[76:79], v[36:37], off offset:80
	s_clause 0x1
	global_load_b128 v[80:83], v[84:85], off offset:32
	global_load_b128 v[84:87], v[84:85], off offset:48
	s_clause 0x3
	global_load_b128 v[88:91], v[36:37], off offset:1056
	global_load_b128 v[92:95], v[36:37], off offset:1024
	;; [unrolled: 1-line block ×4, first 2 shown]
	global_load_b128 v[104:107], v[108:109], off
	s_wait_loadcnt 0xc
	v_fma_f64 v[19:20], v[56:57], 0, v[19:20]
	v_fma_f64 v[28:29], v[56:57], 0, v[28:29]
	;; [unrolled: 1-line block ×16, first 2 shown]
	global_load_b128 v[15:18], v[108:109], off offset:16
	s_wait_loadcnt 0xc
	v_fma_f64 v[19:20], v[60:61], 0, v[19:20]
	v_fma_f64 v[28:29], v[60:61], 0, v[28:29]
	v_fma_f64 v[26:27], v[60:61], 0, v[26:27]
	v_fma_f64 v[22:23], v[46:47], v[60:61], v[22:23]
	v_fma_f64 v[30:31], v[42:43], v[60:61], v[30:31]
	v_fma_f64 v[24:25], v[54:55], v[60:61], v[24:25]
	v_fma_f64 v[40:41], v[50:51], v[60:61], v[40:41]
	v_fma_f64 v[44:45], v[60:61], 0, v[44:45]
	v_fma_f64 v[19:20], v[46:47], v[62:63], v[19:20]
	v_fma_f64 v[52:53], v[42:43], v[62:63], v[28:29]
	v_fma_f64 v[54:55], v[54:55], v[62:63], v[26:27]
	v_fma_f64 v[56:57], 0x80000000, v[62:63], v[22:23]
	v_fma_f64 v[30:31], 0x80000000, v[62:63], v[30:31]
	v_fma_f64 v[58:59], 0x80000000, v[62:63], v[24:25]
	v_fma_f64 v[60:61], 0x80000000, v[62:63], v[40:41]
	v_fma_f64 v[62:63], v[50:51], v[62:63], v[44:45]
	s_clause 0x3
	global_load_b128 v[22:25], v[36:37], off offset:1072
	global_load_b128 v[26:29], v[36:37], off offset:1040
	;; [unrolled: 1-line block ×5, first 2 shown]
	s_wait_loadcnt 0xc
	v_fma_f64 v[19:20], v[80:81], 0, v[19:20]
	v_fma_f64 v[52:53], v[80:81], 0, v[52:53]
	v_fma_f64 v[54:55], v[80:81], 0, v[54:55]
	v_fma_f64 v[56:57], v[68:69], v[80:81], v[56:57]
	v_fma_f64 v[30:31], v[64:65], v[80:81], v[30:31]
	v_fma_f64 v[58:59], v[76:77], v[80:81], v[58:59]
	v_fma_f64 v[60:61], v[72:73], v[80:81], v[60:61]
	v_fma_f64 v[62:63], v[80:81], 0, v[62:63]
	v_fma_f64 v[19:20], v[68:69], v[82:83], v[19:20]
	v_fma_f64 v[64:65], v[64:65], v[82:83], v[52:53]
	v_fma_f64 v[68:69], v[76:77], v[82:83], v[54:55]
	v_fma_f64 v[56:57], 0x80000000, v[82:83], v[56:57]
	v_fma_f64 v[30:31], 0x80000000, v[82:83], v[30:31]
	v_fma_f64 v[58:59], 0x80000000, v[82:83], v[58:59]
	v_fma_f64 v[60:61], 0x80000000, v[82:83], v[60:61]
	v_fma_f64 v[62:63], v[72:73], v[82:83], v[62:63]
	global_load_b128 v[52:55], v[108:109], off offset:48
	s_wait_loadcnt 0xc
	v_fma_f64 v[19:20], v[84:85], 0, v[19:20]
	v_fma_f64 v[64:65], v[84:85], 0, v[64:65]
	;; [unrolled: 1-line block ×8, first 2 shown]
	s_clause 0x3
	global_load_b128 v[56:59], v[36:37], off offset:2080
	global_load_b128 v[60:63], v[36:37], off offset:2048
	;; [unrolled: 1-line block ×4, first 2 shown]
	v_fma_f64 v[19:20], v[70:71], v[86:87], v[19:20]
	v_fma_f64 v[70:71], v[66:67], v[86:87], v[64:65]
	;; [unrolled: 1-line block ×8, first 2 shown]
	v_lshlrev_b64_e32 v[64:65], 4, v[114:115]
	s_delay_alu instid0(VALU_DEP_1) | instskip(SKIP_1) | instid1(VALU_DEP_2)
	v_add_co_u32 v112, vcc_lo, s4, v64
	s_wait_alu 0xfffd
	v_add_co_ci_u32_e64 v113, null, s5, v65, vcc_lo
	global_load_b128 v[64:67], v[112:113], off
	s_wait_loadcnt 0xc
	v_fma_f64 v[19:20], v[104:105], 0, v[19:20]
	v_fma_f64 v[70:71], v[104:105], 0, v[70:71]
	v_fma_f64 v[68:69], v[104:105], 0, v[68:69]
	v_fma_f64 v[72:73], v[92:93], v[104:105], v[72:73]
	v_fma_f64 v[30:31], v[88:89], v[104:105], v[30:31]
	v_fma_f64 v[76:77], v[100:101], v[104:105], v[76:77]
	v_fma_f64 v[78:79], v[96:97], v[104:105], v[78:79]
	v_fma_f64 v[74:75], v[104:105], 0, v[74:75]
	v_fma_f64 v[19:20], v[92:93], v[106:107], v[19:20]
	v_fma_f64 v[84:85], v[88:89], v[106:107], v[70:71]
	v_fma_f64 v[86:87], v[100:101], v[106:107], v[68:69]
	v_fma_f64 v[72:73], 0x80000000, v[106:107], v[72:73]
	v_fma_f64 v[30:31], 0x80000000, v[106:107], v[30:31]
	v_fma_f64 v[76:77], 0x80000000, v[106:107], v[76:77]
	v_fma_f64 v[78:79], 0x80000000, v[106:107], v[78:79]
	v_fma_f64 v[74:75], v[96:97], v[106:107], v[74:75]
	global_load_b128 v[68:71], v[112:113], off offset:16
	s_wait_loadcnt 0xc
	v_fma_f64 v[19:20], v[15:16], 0, v[19:20]
	v_fma_f64 v[84:85], v[15:16], 0, v[84:85]
	;; [unrolled: 1-line block ×16, first 2 shown]
	s_clause 0x3
	global_load_b128 v[15:18], v[36:37], off offset:2096
	global_load_b128 v[72:75], v[36:37], off offset:2064
	;; [unrolled: 1-line block ×5, first 2 shown]
	s_wait_loadcnt 0xc
	v_fma_f64 v[19:20], v[48:49], 0, v[19:20]
	v_fma_f64 v[92:93], v[48:49], 0, v[92:93]
	;; [unrolled: 1-line block ×16, first 2 shown]
	global_load_b128 v[48:51], v[112:113], off offset:48
	s_wait_loadcnt 0xc
	v_fma_f64 v[19:20], v[52:53], 0, v[19:20]
	v_fma_f64 v[22:23], v[52:53], 0, v[22:23]
	;; [unrolled: 1-line block ×8, first 2 shown]
	v_subrev_nc_u32_e32 v52, s12, v116
	s_clause 0x3
	global_load_b128 v[92:95], v[36:37], off offset:3104
	global_load_b128 v[96:99], v[36:37], off offset:3072
	;; [unrolled: 1-line block ×4, first 2 shown]
	v_lshlrev_b32_e32 v52, 2, v52
	s_delay_alu instid0(VALU_DEP_1)
	v_ashrrev_i32_e32 v53, 31, v52
	v_fma_f64 v[19:20], v[28:29], v[54:55], v[19:20]
	v_fma_f64 v[28:29], v[24:25], v[54:55], v[22:23]
	;; [unrolled: 1-line block ×8, first 2 shown]
	v_lshlrev_b64_e32 v[22:23], 4, v[52:53]
	s_delay_alu instid0(VALU_DEP_1) | instskip(SKIP_1) | instid1(VALU_DEP_2)
	v_add_co_u32 v114, vcc_lo, s4, v22
	s_wait_alu 0xfffd
	v_add_co_ci_u32_e64 v115, null, s5, v23, vcc_lo
	v_add_co_u32 v34, vcc_lo, v34, 32
	s_wait_alu 0xfffd
	v_add_co_ci_u32_e64 v35, null, 0, v35, vcc_lo
	global_load_b128 v[22:25], v[114:115], off
	s_wait_loadcnt 0xc
	v_fma_f64 v[19:20], v[64:65], 0, v[19:20]
	v_fma_f64 v[28:29], v[64:65], 0, v[28:29]
	v_fma_f64 v[26:27], v[64:65], 0, v[26:27]
	v_fma_f64 v[42:43], v[60:61], v[64:65], v[44:45]
	v_fma_f64 v[30:31], v[56:57], v[64:65], v[30:31]
	v_fma_f64 v[44:45], v[108:109], v[64:65], v[46:47]
	v_fma_f64 v[46:47], v[80:81], v[64:65], v[112:113]
	v_fma_f64 v[40:41], v[64:65], 0, v[40:41]
	v_fma_f64 v[19:20], v[60:61], v[66:67], v[19:20]
	v_fma_f64 v[52:53], v[56:57], v[66:67], v[28:29]
	v_fma_f64 v[54:55], v[108:109], v[66:67], v[26:27]
	v_fma_f64 v[42:43], 0x80000000, v[66:67], v[42:43]
	v_fma_f64 v[30:31], 0x80000000, v[66:67], v[30:31]
	v_fma_f64 v[44:45], 0x80000000, v[66:67], v[44:45]
	v_fma_f64 v[46:47], 0x80000000, v[66:67], v[46:47]
	v_fma_f64 v[40:41], v[80:81], v[66:67], v[40:41]
	global_load_b128 v[26:29], v[114:115], off offset:16
	s_wait_loadcnt 0xc
	v_fma_f64 v[19:20], v[68:69], 0, v[19:20]
	v_fma_f64 v[52:53], v[68:69], 0, v[52:53]
	;; [unrolled: 1-line block ×16, first 2 shown]
	s_clause 0x3
	global_load_b128 v[40:43], v[36:37], off offset:3120
	global_load_b128 v[44:47], v[36:37], off offset:3088
	;; [unrolled: 1-line block ×5, first 2 shown]
	v_add_co_u32 v36, vcc_lo, 0x1000, v36
	s_wait_alu 0xfffd
	v_add_co_ci_u32_e64 v37, null, 0, v37, vcc_lo
	v_cmp_ge_i64_e32 vcc_lo, v[34:35], v[11:12]
	s_wait_alu 0xfffe
	s_or_b32 s10, vcc_lo, s10
	s_wait_loadcnt 0xc
	v_fma_f64 v[19:20], v[88:89], 0, v[19:20]
	v_fma_f64 v[66:67], v[88:89], 0, v[66:67]
	;; [unrolled: 1-line block ×16, first 2 shown]
	global_load_b128 v[64:67], v[114:115], off offset:48
	s_wait_loadcnt 0xc
	v_fma_f64 v[19:20], v[48:49], 0, v[19:20]
	v_fma_f64 v[15:16], v[48:49], 0, v[15:16]
	v_fma_f64 v[72:73], v[48:49], 0, v[72:73]
	v_fma_f64 v[76:77], v[74:75], v[48:49], v[88:89]
	v_fma_f64 v[30:31], v[17:18], v[48:49], v[30:31]
	v_fma_f64 v[68:69], v[86:87], v[48:49], v[68:69]
	v_fma_f64 v[80:81], v[78:79], v[48:49], v[80:81]
	v_fma_f64 v[48:49], v[48:49], 0, v[70:71]
	v_fma_f64 v[19:20], v[74:75], v[50:51], v[19:20]
	v_fma_f64 v[15:16], v[17:18], v[50:51], v[15:16]
	v_fma_f64 v[70:71], 0x80000000, v[50:51], v[76:77]
	v_fma_f64 v[30:31], 0x80000000, v[50:51], v[30:31]
	v_fma_f64 v[17:18], 0x80000000, v[50:51], v[68:69]
	v_fma_f64 v[68:69], v[86:87], v[50:51], v[72:73]
	v_fma_f64 v[72:73], 0x80000000, v[50:51], v[80:81]
	v_fma_f64 v[48:49], v[78:79], v[50:51], v[48:49]
	s_wait_loadcnt 0x7
	v_fma_f64 v[19:20], v[22:23], 0, v[19:20]
	v_fma_f64 v[15:16], v[22:23], 0, v[15:16]
	v_fma_f64 v[50:51], v[96:97], v[22:23], v[70:71]
	v_fma_f64 v[30:31], v[92:93], v[22:23], v[30:31]
	v_fma_f64 v[17:18], v[104:105], v[22:23], v[17:18]
	v_fma_f64 v[68:69], v[22:23], 0, v[68:69]
	v_fma_f64 v[70:71], v[100:101], v[22:23], v[72:73]
	v_fma_f64 v[22:23], v[22:23], 0, v[48:49]
	v_fma_f64 v[19:20], v[96:97], v[24:25], v[19:20]
	v_fma_f64 v[15:16], v[92:93], v[24:25], v[15:16]
	v_fma_f64 v[48:49], 0x80000000, v[24:25], v[50:51]
	v_fma_f64 v[30:31], 0x80000000, v[24:25], v[30:31]
	v_fma_f64 v[17:18], 0x80000000, v[24:25], v[17:18]
	v_fma_f64 v[50:51], v[104:105], v[24:25], v[68:69]
	v_fma_f64 v[68:69], 0x80000000, v[24:25], v[70:71]
	v_fma_f64 v[22:23], v[100:101], v[24:25], v[22:23]
	s_wait_loadcnt 0x6
	v_fma_f64 v[19:20], v[26:27], 0, v[19:20]
	v_fma_f64 v[15:16], v[26:27], 0, v[15:16]
	v_fma_f64 v[24:25], v[98:99], v[26:27], v[48:49]
	v_fma_f64 v[30:31], v[94:95], v[26:27], v[30:31]
	v_fma_f64 v[17:18], v[106:107], v[26:27], v[17:18]
	v_fma_f64 v[48:49], v[26:27], 0, v[50:51]
	v_fma_f64 v[50:51], v[102:103], v[26:27], v[68:69]
	v_fma_f64 v[22:23], v[26:27], 0, v[22:23]
	v_fma_f64 v[19:20], v[98:99], v[28:29], v[19:20]
	v_fma_f64 v[15:16], v[94:95], v[28:29], v[15:16]
	v_fma_f64 v[24:25], 0x80000000, v[28:29], v[24:25]
	v_fma_f64 v[26:27], 0x80000000, v[28:29], v[30:31]
	v_fma_f64 v[17:18], 0x80000000, v[28:29], v[17:18]
	v_fma_f64 v[30:31], v[106:107], v[28:29], v[48:49]
	v_fma_f64 v[48:49], 0x80000000, v[28:29], v[50:51]
	v_fma_f64 v[22:23], v[102:103], v[28:29], v[22:23]
	s_wait_loadcnt 0x1
	v_fma_f64 v[19:20], v[60:61], 0, v[19:20]
	v_fma_f64 v[15:16], v[60:61], 0, v[15:16]
	v_fma_f64 v[24:25], v[44:45], v[60:61], v[24:25]
	v_fma_f64 v[26:27], v[40:41], v[60:61], v[26:27]
	v_fma_f64 v[17:18], v[56:57], v[60:61], v[17:18]
	v_fma_f64 v[28:29], v[60:61], 0, v[30:31]
	v_fma_f64 v[30:31], v[52:53], v[60:61], v[48:49]
	v_fma_f64 v[22:23], v[60:61], 0, v[22:23]
	v_fma_f64 v[19:20], v[44:45], v[62:63], v[19:20]
	v_fma_f64 v[15:16], v[40:41], v[62:63], v[15:16]
	v_fma_f64 v[24:25], 0x80000000, v[62:63], v[24:25]
	v_fma_f64 v[26:27], 0x80000000, v[62:63], v[26:27]
	v_fma_f64 v[17:18], 0x80000000, v[62:63], v[17:18]
	v_fma_f64 v[28:29], v[56:57], v[62:63], v[28:29]
	v_fma_f64 v[30:31], 0x80000000, v[62:63], v[30:31]
	v_fma_f64 v[22:23], v[52:53], v[62:63], v[22:23]
	s_wait_loadcnt 0x0
	v_fma_f64 v[19:20], v[64:65], 0, v[19:20]
	v_fma_f64 v[15:16], v[64:65], 0, v[15:16]
	v_fma_f64 v[24:25], v[46:47], v[64:65], v[24:25]
	v_fma_f64 v[26:27], v[42:43], v[64:65], v[26:27]
	v_fma_f64 v[17:18], v[58:59], v[64:65], v[17:18]
	v_fma_f64 v[40:41], v[64:65], 0, v[28:29]
	v_fma_f64 v[44:45], v[54:55], v[64:65], v[30:31]
	v_fma_f64 v[48:49], v[64:65], 0, v[22:23]
	v_fma_f64 v[19:20], v[46:47], v[66:67], v[19:20]
	v_fma_f64 v[28:29], v[42:43], v[66:67], v[15:16]
	v_fma_f64 v[22:23], 0x80000000, v[66:67], v[24:25]
	v_fma_f64 v[30:31], 0x80000000, v[66:67], v[26:27]
	v_fma_f64 v[24:25], 0x80000000, v[66:67], v[17:18]
	v_fma_f64 v[26:27], v[58:59], v[66:67], v[40:41]
	v_fma_f64 v[15:16], 0x80000000, v[66:67], v[44:45]
	v_fma_f64 v[17:18], v[54:55], v[66:67], v[48:49]
	s_wait_alu 0xfffe
	s_and_not1_b32 exec_lo, exec_lo, s10
	s_cbranch_execnz .LBB141_19
; %bb.20:
	s_or_b32 exec_lo, exec_lo, s10
.LBB141_21:
	s_wait_alu 0xfffe
	s_or_b32 exec_lo, exec_lo, s7
.LBB141_22:
	s_wait_alu 0xfffe
	s_or_b32 exec_lo, exec_lo, s6
	s_cbranch_execz .LBB141_24
	s_branch .LBB141_35
.LBB141_23:
                                        ; implicit-def: $vgpr19_vgpr20
                                        ; implicit-def: $vgpr22_vgpr23
                                        ; implicit-def: $vgpr28_vgpr29
                                        ; implicit-def: $vgpr30_vgpr31
                                        ; implicit-def: $vgpr26_vgpr27
                                        ; implicit-def: $vgpr24_vgpr25
                                        ; implicit-def: $vgpr17_vgpr18
                                        ; implicit-def: $vgpr15_vgpr16
.LBB141_24:
	v_mov_b32_e32 v28, 0
	v_dual_mov_b32 v26, 0 :: v_dual_mov_b32 v17, 0
	v_dual_mov_b32 v19, 0 :: v_dual_mov_b32 v22, 0
	;; [unrolled: 1-line block ×6, first 2 shown]
	v_mov_b32_e32 v31, 0
	v_dual_mov_b32 v25, 0 :: v_dual_mov_b32 v16, 0
	s_and_saveexec_b32 s3, s2
	s_cbranch_execz .LBB141_34
; %bb.25:
	v_or_b32_e32 v15, 8, v0
	v_not_b32_e32 v18, v32
	v_not_b32_e32 v17, v33
	v_mov_b32_e32 v24, 0
	v_dual_mov_b32 v25, 0 :: v_dual_mov_b32 v26, 0
	v_sub_co_u32 v15, s2, v15, s12
	s_wait_alu 0xf1ff
	v_sub_co_ci_u32_e64 v16, null, 0, 0, s2
	v_sub_co_u32 v19, s2, s12, v0
	s_delay_alu instid0(VALU_DEP_3) | instskip(SKIP_1) | instid1(VALU_DEP_3)
	v_add_co_u32 v15, vcc_lo, v15, v32
	s_wait_alu 0xfffd
	v_add_co_ci_u32_e64 v16, null, v16, v33, vcc_lo
	s_wait_alu 0xf1ff
	v_sub_co_ci_u32_e64 v22, null, 0, 0, s2
	v_add_co_u32 v18, s2, v19, v18
	s_delay_alu instid0(VALU_DEP_3)
	v_cmp_gt_i64_e32 vcc_lo, v[15:16], v[11:12]
	v_mov_b32_e32 v20, 0
	s_wait_alu 0xf1ff
	v_add_co_ci_u32_e64 v22, null, v22, v17, s2
	v_dual_mov_b32 v27, 0 :: v_dual_mov_b32 v28, 0
	s_wait_alu 0xfffd
	v_cndmask_b32_e32 v23, v11, v15, vcc_lo
	v_cndmask_b32_e32 v19, v12, v16, vcc_lo
	v_mov_b32_e32 v15, 0
	v_dual_mov_b32 v16, 0 :: v_dual_mov_b32 v29, 0
	s_delay_alu instid0(VALU_DEP_4) | instskip(SKIP_3) | instid1(VALU_DEP_3)
	v_add_co_u32 v32, vcc_lo, v18, v23
	s_wait_alu 0xfffd
	v_add_co_ci_u32_e64 v33, null, v22, v19, vcc_lo
	v_mov_b32_e32 v17, 0
	v_dual_mov_b32 v30, 0 :: v_dual_and_b32 v19, 24, v32
	v_dual_mov_b32 v31, 0 :: v_dual_mov_b32 v22, 0
	v_mov_b32_e32 v18, 0
	s_delay_alu instid0(VALU_DEP_3)
	v_cmp_ne_u64_e32 vcc_lo, 24, v[19:20]
	v_mov_b32_e32 v19, 0
	v_dual_mov_b32 v23, 0 :: v_dual_mov_b32 v20, 0
	s_and_saveexec_b32 s6, vcc_lo
	s_cbranch_execz .LBB141_29
; %bb.26:
	v_lshrrev_b32_e32 v17, 3, v32
	v_mov_b32_e32 v28, 0
	v_lshlrev_b64_e32 v[15:16], 2, v[9:10]
	v_dual_mov_b32 v30, 0 :: v_dual_mov_b32 v19, 0
	s_delay_alu instid0(VALU_DEP_4) | instskip(SKIP_1) | instid1(VALU_DEP_4)
	v_dual_mov_b32 v22, 0 :: v_dual_add_nc_u32 v17, 1, v17
	v_mov_b32_e32 v29, 0
	v_add_co_u32 v34, vcc_lo, s8, v15
	s_wait_alu 0xfffd
	v_add_co_ci_u32_e64 v35, null, s9, v16, vcc_lo
	v_dual_mov_b32 v31, 0 :: v_dual_and_b32 v36, 3, v17
	v_mov_b32_e32 v26, 0
	v_dual_mov_b32 v24, 0 :: v_dual_mov_b32 v17, 0
	s_delay_alu instid0(VALU_DEP_3)
	v_sub_co_u32 v36, s2, 0, v36
	v_dual_mov_b32 v15, 0 :: v_dual_mov_b32 v20, 0
	v_mov_b32_e32 v23, 0
	v_mov_b32_e32 v27, 0
	v_dual_mov_b32 v25, 0 :: v_dual_mov_b32 v18, 0
	v_mov_b32_e32 v16, 0
	s_wait_alu 0xf1ff
	v_sub_co_ci_u32_e64 v37, null, 0, 0, s2
	s_mov_b32 s7, 0
.LBB141_27:                             ; =>This Inner Loop Header: Depth=1
	global_load_b32 v46, v[34:35], off
	s_clause 0x1
	global_load_b128 v[38:41], v[13:14], off offset:16
	global_load_b128 v[42:45], v[13:14], off
	v_add_co_u32 v34, s2, v34, 32
	s_wait_alu 0xf1ff
	v_add_co_ci_u32_e64 v35, null, 0, v35, s2
	s_wait_loadcnt 0x2
	v_subrev_nc_u32_e32 v46, s12, v46
	s_delay_alu instid0(VALU_DEP_1) | instskip(NEXT) | instid1(VALU_DEP_1)
	v_lshlrev_b32_e32 v46, 2, v46
	v_ashrrev_i32_e32 v47, 31, v46
	s_delay_alu instid0(VALU_DEP_1) | instskip(SKIP_1) | instid1(VALU_DEP_1)
	v_lshlrev_b64_e32 v[46:47], 4, v[46:47]
	s_wait_kmcnt 0x0
	v_add_co_u32 v74, vcc_lo, s4, v46
	s_wait_alu 0xfffd
	s_delay_alu instid0(VALU_DEP_2)
	v_add_co_ci_u32_e64 v75, null, s5, v47, vcc_lo
	s_clause 0x1
	global_load_b128 v[46:49], v[74:75], off
	global_load_b128 v[50:53], v[74:75], off offset:16
	s_clause 0x3
	global_load_b128 v[54:57], v[13:14], off offset:32
	global_load_b128 v[58:61], v[13:14], off offset:48
	;; [unrolled: 1-line block ×4, first 2 shown]
	s_clause 0x1
	global_load_b128 v[70:73], v[74:75], off offset:32
	global_load_b128 v[74:77], v[74:75], off offset:48
	s_clause 0x1
	global_load_b128 v[78:81], v[13:14], off offset:96
	global_load_b128 v[82:85], v[13:14], off offset:112
	v_add_co_u32 v13, vcc_lo, 0x400, v13
	s_wait_alu 0xfffd
	v_add_co_ci_u32_e64 v14, null, 0, v14, vcc_lo
	v_add_co_u32 v36, vcc_lo, v36, 1
	s_wait_alu 0xfffd
	v_add_co_ci_u32_e64 v37, null, 0, v37, vcc_lo
	v_add_co_u32 v9, vcc_lo, v9, 8
	s_wait_alu 0xfffd
	v_add_co_ci_u32_e64 v10, null, 0, v10, vcc_lo
	s_delay_alu instid0(VALU_DEP_3)
	v_cmp_eq_u64_e32 vcc_lo, 0, v[36:37]
	s_wait_alu 0xfffe
	s_or_b32 s7, vcc_lo, s7
	s_wait_loadcnt 0x9
	v_fma_f64 v[22:23], v[42:43], v[46:47], v[22:23]
	v_fma_f64 v[19:20], v[46:47], 0, v[19:20]
	;; [unrolled: 1-line block ×16, first 2 shown]
	s_wait_loadcnt 0x7
	v_fma_f64 v[22:23], v[54:55], v[50:51], v[22:23]
	v_fma_f64 v[19:20], v[50:51], 0, v[19:20]
	;; [unrolled: 1-line block ×4, first 2 shown]
	s_wait_loadcnt 0x6
	v_fma_f64 v[24:25], v[58:59], v[50:51], v[24:25]
	v_fma_f64 v[26:27], v[50:51], 0, v[26:27]
	;; [unrolled: 1-line block ×12, first 2 shown]
	s_wait_loadcnt 0x3
	v_fma_f64 v[22:23], v[66:67], v[70:71], v[22:23]
	v_fma_f64 v[19:20], v[70:71], 0, v[19:20]
	;; [unrolled: 1-line block ×16, first 2 shown]
	s_wait_loadcnt 0x1
	v_fma_f64 v[22:23], v[78:79], v[74:75], v[22:23]
	v_fma_f64 v[19:20], v[74:75], 0, v[19:20]
	;; [unrolled: 1-line block ×4, first 2 shown]
	s_wait_loadcnt 0x0
	v_fma_f64 v[24:25], v[82:83], v[74:75], v[24:25]
	v_fma_f64 v[26:27], v[74:75], 0, v[26:27]
	v_fma_f64 v[15:16], v[84:85], v[74:75], v[15:16]
	v_fma_f64 v[17:18], v[74:75], 0, v[17:18]
	v_fma_f64 v[22:23], 0x80000000, v[76:77], v[22:23]
	v_fma_f64 v[19:20], v[78:79], v[76:77], v[19:20]
	v_fma_f64 v[30:31], 0x80000000, v[76:77], v[30:31]
	v_fma_f64 v[28:29], v[80:81], v[76:77], v[28:29]
	v_fma_f64 v[24:25], 0x80000000, v[76:77], v[24:25]
	v_fma_f64 v[26:27], v[82:83], v[76:77], v[26:27]
	v_fma_f64 v[15:16], 0x80000000, v[76:77], v[15:16]
	v_fma_f64 v[17:18], v[84:85], v[76:77], v[17:18]
	s_wait_alu 0xfffe
	s_and_not1_b32 exec_lo, exec_lo, s7
	s_cbranch_execnz .LBB141_27
; %bb.28:
	s_or_b32 exec_lo, exec_lo, s7
.LBB141_29:
	s_wait_alu 0xfffe
	s_or_b32 exec_lo, exec_lo, s6
	s_delay_alu instid0(SALU_CYCLE_1)
	s_mov_b32 s6, exec_lo
	v_cmpx_lt_u64_e32 23, v[32:33]
	s_cbranch_execz .LBB141_33
; %bb.30:
	v_lshlrev_b64_e32 v[32:33], 2, v[9:10]
	s_mov_b32 s7, 0
	s_delay_alu instid0(VALU_DEP_1) | instskip(SKIP_1) | instid1(VALU_DEP_2)
	v_add_co_u32 v32, vcc_lo, s8, v32
	s_wait_alu 0xfffd
	v_add_co_ci_u32_e64 v33, null, s9, v33, vcc_lo
	s_delay_alu instid0(VALU_DEP_2) | instskip(SKIP_1) | instid1(VALU_DEP_2)
	v_add_co_u32 v32, vcc_lo, v32, 64
	s_wait_alu 0xfffd
	v_add_co_ci_u32_e64 v33, null, 0, v33, vcc_lo
.LBB141_31:                             ; =>This Inner Loop Header: Depth=1
	s_clause 0x1
	global_load_b32 v42, v[32:33], off offset:-64
	global_load_b32 v90, v[32:33], off offset:-32
	s_clause 0x1
	global_load_b128 v[34:37], v[13:14], off offset:16
	global_load_b128 v[38:41], v[13:14], off
	s_clause 0x1
	global_load_b32 v100, v[32:33], off
	global_load_b32 v102, v[32:33], off offset:32
	v_add_co_u32 v32, s2, 0x80, v32
	s_wait_alu 0xf1ff
	v_add_co_ci_u32_e64 v33, null, 0, v33, s2
	s_wait_loadcnt 0x5
	v_subrev_nc_u32_e32 v42, s12, v42
	s_wait_loadcnt 0x4
	v_subrev_nc_u32_e32 v90, s12, v90
	s_wait_loadcnt 0x1
	v_subrev_nc_u32_e32 v100, s12, v100
	v_lshlrev_b32_e32 v42, 2, v42
	s_delay_alu instid0(VALU_DEP_3) | instskip(NEXT) | instid1(VALU_DEP_3)
	v_lshlrev_b32_e32 v90, 2, v90
	v_lshlrev_b32_e32 v100, 2, v100
	s_delay_alu instid0(VALU_DEP_3) | instskip(NEXT) | instid1(VALU_DEP_3)
	v_ashrrev_i32_e32 v43, 31, v42
	v_ashrrev_i32_e32 v91, 31, v90
	s_delay_alu instid0(VALU_DEP_3) | instskip(NEXT) | instid1(VALU_DEP_3)
	v_ashrrev_i32_e32 v101, 31, v100
	v_lshlrev_b64_e32 v[42:43], 4, v[42:43]
	s_delay_alu instid0(VALU_DEP_3) | instskip(SKIP_1) | instid1(VALU_DEP_2)
	v_lshlrev_b64_e32 v[90:91], 4, v[90:91]
	s_wait_kmcnt 0x0
	v_add_co_u32 v78, vcc_lo, s4, v42
	s_wait_alu 0xfffd
	s_delay_alu instid0(VALU_DEP_3) | instskip(NEXT) | instid1(VALU_DEP_3)
	v_add_co_ci_u32_e64 v79, null, s5, v43, vcc_lo
	v_add_co_u32 v94, vcc_lo, s4, v90
	s_wait_alu 0xfffd
	v_add_co_ci_u32_e64 v95, null, s5, v91, vcc_lo
	global_load_b128 v[42:45], v[78:79], off
	s_clause 0x1
	global_load_b128 v[46:49], v[13:14], off offset:32
	global_load_b128 v[50:53], v[13:14], off offset:48
	global_load_b128 v[54:57], v[78:79], off offset:16
	s_clause 0x1
	global_load_b128 v[58:61], v[13:14], off offset:80
	global_load_b128 v[62:65], v[13:14], off offset:64
	global_load_b128 v[66:69], v[78:79], off offset:32
	;; [unrolled: 4-line block ×3, first 2 shown]
	s_clause 0x1
	global_load_b128 v[82:85], v[13:14], off offset:1040
	global_load_b128 v[86:89], v[13:14], off offset:1024
	global_load_b128 v[90:93], v[94:95], off
	s_wait_loadcnt 0xc
	v_fma_f64 v[19:20], v[42:43], 0, v[19:20]
	v_fma_f64 v[28:29], v[42:43], 0, v[28:29]
	v_fma_f64 v[22:23], v[38:39], v[42:43], v[22:23]
	v_fma_f64 v[30:31], v[40:41], v[42:43], v[30:31]
	v_fma_f64 v[24:25], v[34:35], v[42:43], v[24:25]
	v_fma_f64 v[26:27], v[42:43], 0, v[26:27]
	v_fma_f64 v[15:16], v[36:37], v[42:43], v[15:16]
	v_fma_f64 v[17:18], v[42:43], 0, v[17:18]
	v_fma_f64 v[19:20], v[38:39], v[44:45], v[19:20]
	v_fma_f64 v[38:39], v[40:41], v[44:45], v[28:29]
	v_fma_f64 v[40:41], 0x80000000, v[44:45], v[22:23]
	v_fma_f64 v[30:31], 0x80000000, v[44:45], v[30:31]
	v_fma_f64 v[42:43], 0x80000000, v[44:45], v[24:25]
	v_fma_f64 v[34:35], v[34:35], v[44:45], v[26:27]
	v_fma_f64 v[96:97], 0x80000000, v[44:45], v[15:16]
	v_fma_f64 v[36:37], v[36:37], v[44:45], v[17:18]
	s_clause 0x1
	global_load_b128 v[15:18], v[13:14], off offset:1056
	global_load_b128 v[22:25], v[13:14], off offset:1072
	global_load_b128 v[26:29], v[94:95], off offset:16
	s_wait_loadcnt 0xc
	v_fma_f64 v[19:20], v[54:55], 0, v[19:20]
	v_fma_f64 v[38:39], v[54:55], 0, v[38:39]
	v_fma_f64 v[40:41], v[46:47], v[54:55], v[40:41]
	v_fma_f64 v[30:31], v[48:49], v[54:55], v[30:31]
	v_fma_f64 v[42:43], v[50:51], v[54:55], v[42:43]
	v_fma_f64 v[34:35], v[54:55], 0, v[34:35]
	v_fma_f64 v[44:45], v[52:53], v[54:55], v[96:97]
	v_fma_f64 v[36:37], v[54:55], 0, v[36:37]
	v_fma_f64 v[19:20], v[46:47], v[56:57], v[19:20]
	v_fma_f64 v[46:47], v[48:49], v[56:57], v[38:39]
	v_fma_f64 v[48:49], 0x80000000, v[56:57], v[40:41]
	v_fma_f64 v[30:31], 0x80000000, v[56:57], v[30:31]
	v_fma_f64 v[54:55], 0x80000000, v[56:57], v[42:43]
	v_fma_f64 v[50:51], v[50:51], v[56:57], v[34:35]
	v_fma_f64 v[96:97], 0x80000000, v[56:57], v[44:45]
	v_fma_f64 v[52:53], v[52:53], v[56:57], v[36:37]
	s_clause 0x1
	global_load_b128 v[34:37], v[13:14], off offset:1104
	global_load_b128 v[38:41], v[13:14], off offset:1088
	global_load_b128 v[42:45], v[94:95], off offset:32
	;; [unrolled: 21-line block ×3, first 2 shown]
	s_wait_loadcnt 0xc
	v_fma_f64 v[19:20], v[78:79], 0, v[19:20]
	v_fma_f64 v[68:69], v[78:79], 0, v[62:63]
	;; [unrolled: 1-line block ×8, first 2 shown]
	s_clause 0x1
	global_load_b128 v[58:61], v[13:14], off offset:2064
	global_load_b128 v[62:65], v[13:14], off offset:2048
	v_fma_f64 v[19:20], v[70:71], v[80:81], v[19:20]
	v_fma_f64 v[70:71], v[72:73], v[80:81], v[68:69]
	v_fma_f64 v[72:73], 0x80000000, v[80:81], v[94:95]
	v_fma_f64 v[30:31], 0x80000000, v[80:81], v[30:31]
	v_fma_f64 v[94:95], 0x80000000, v[80:81], v[66:67]
	v_fma_f64 v[74:75], v[74:75], v[80:81], v[98:99]
	v_fma_f64 v[96:97], 0x80000000, v[80:81], v[96:97]
	v_fma_f64 v[76:77], v[76:77], v[80:81], v[78:79]
	v_lshlrev_b64_e32 v[66:67], 4, v[100:101]
	s_delay_alu instid0(VALU_DEP_1) | instskip(SKIP_1) | instid1(VALU_DEP_2)
	v_add_co_u32 v98, vcc_lo, s4, v66
	s_wait_alu 0xfffd
	v_add_co_ci_u32_e64 v99, null, s5, v67, vcc_lo
	global_load_b128 v[66:69], v[98:99], off
	s_wait_loadcnt 0xc
	v_fma_f64 v[19:20], v[90:91], 0, v[19:20]
	v_fma_f64 v[70:71], v[90:91], 0, v[70:71]
	v_fma_f64 v[72:73], v[86:87], v[90:91], v[72:73]
	v_fma_f64 v[30:31], v[88:89], v[90:91], v[30:31]
	v_fma_f64 v[78:79], v[82:83], v[90:91], v[94:95]
	v_fma_f64 v[74:75], v[90:91], 0, v[74:75]
	v_fma_f64 v[80:81], v[84:85], v[90:91], v[96:97]
	v_fma_f64 v[76:77], v[90:91], 0, v[76:77]
	v_fma_f64 v[19:20], v[86:87], v[92:93], v[19:20]
	v_fma_f64 v[86:87], v[88:89], v[92:93], v[70:71]
	v_fma_f64 v[88:89], 0x80000000, v[92:93], v[72:73]
	v_fma_f64 v[30:31], 0x80000000, v[92:93], v[30:31]
	v_fma_f64 v[90:91], 0x80000000, v[92:93], v[78:79]
	v_fma_f64 v[82:83], v[82:83], v[92:93], v[74:75]
	v_fma_f64 v[94:95], 0x80000000, v[92:93], v[80:81]
	v_fma_f64 v[84:85], v[84:85], v[92:93], v[76:77]
	s_clause 0x1
	global_load_b128 v[70:73], v[13:14], off offset:2080
	global_load_b128 v[74:77], v[13:14], off offset:2096
	global_load_b128 v[78:81], v[98:99], off offset:16
	s_wait_loadcnt 0xc
	v_fma_f64 v[19:20], v[26:27], 0, v[19:20]
	v_fma_f64 v[86:87], v[26:27], 0, v[86:87]
	v_fma_f64 v[88:89], v[15:16], v[26:27], v[88:89]
	v_fma_f64 v[30:31], v[17:18], v[26:27], v[30:31]
	v_fma_f64 v[90:91], v[22:23], v[26:27], v[90:91]
	v_fma_f64 v[82:83], v[26:27], 0, v[82:83]
	v_fma_f64 v[92:93], v[24:25], v[26:27], v[94:95]
	v_fma_f64 v[26:27], v[26:27], 0, v[84:85]
	v_fma_f64 v[19:20], v[15:16], v[28:29], v[19:20]
	v_fma_f64 v[84:85], v[17:18], v[28:29], v[86:87]
	v_fma_f64 v[86:87], 0x80000000, v[28:29], v[88:89]
	v_fma_f64 v[30:31], 0x80000000, v[28:29], v[30:31]
	v_fma_f64 v[88:89], 0x80000000, v[28:29], v[90:91]
	v_fma_f64 v[82:83], v[22:23], v[28:29], v[82:83]
	v_fma_f64 v[90:91], 0x80000000, v[28:29], v[92:93]
	v_fma_f64 v[92:93], v[24:25], v[28:29], v[26:27]
	s_clause 0x1
	global_load_b128 v[15:18], v[13:14], off offset:2128
	global_load_b128 v[22:25], v[13:14], off offset:2112
	global_load_b128 v[26:29], v[98:99], off offset:32
	s_wait_loadcnt 0xc
	v_fma_f64 v[19:20], v[42:43], 0, v[19:20]
	v_fma_f64 v[84:85], v[42:43], 0, v[84:85]
	v_fma_f64 v[86:87], v[38:39], v[42:43], v[86:87]
	v_fma_f64 v[30:31], v[40:41], v[42:43], v[30:31]
	v_fma_f64 v[88:89], v[34:35], v[42:43], v[88:89]
	v_fma_f64 v[82:83], v[42:43], 0, v[82:83]
	v_fma_f64 v[90:91], v[36:37], v[42:43], v[90:91]
	v_fma_f64 v[42:43], v[42:43], 0, v[92:93]
	v_fma_f64 v[19:20], v[38:39], v[44:45], v[19:20]
	v_fma_f64 v[84:85], v[40:41], v[44:45], v[84:85]
	v_fma_f64 v[86:87], 0x80000000, v[44:45], v[86:87]
	v_fma_f64 v[30:31], 0x80000000, v[44:45], v[30:31]
	v_fma_f64 v[88:89], 0x80000000, v[44:45], v[88:89]
	v_fma_f64 v[82:83], v[34:35], v[44:45], v[82:83]
	v_fma_f64 v[90:91], 0x80000000, v[44:45], v[90:91]
	v_fma_f64 v[92:93], v[36:37], v[44:45], v[42:43]
	s_clause 0x1
	global_load_b128 v[34:37], v[13:14], off offset:2144
	global_load_b128 v[38:41], v[13:14], off offset:2160
	global_load_b128 v[42:45], v[98:99], off offset:48
	s_wait_loadcnt 0xc
	v_fma_f64 v[19:20], v[54:55], 0, v[19:20]
	v_fma_f64 v[94:95], v[54:55], 0, v[84:85]
	;; [unrolled: 1-line block ×8, first 2 shown]
	v_subrev_nc_u32_e32 v92, s12, v102
	s_clause 0x1
	global_load_b128 v[82:85], v[13:14], off offset:3088
	global_load_b128 v[86:89], v[13:14], off offset:3072
	v_lshlrev_b32_e32 v92, 2, v92
	s_delay_alu instid0(VALU_DEP_1)
	v_ashrrev_i32_e32 v93, 31, v92
	v_fma_f64 v[19:20], v[46:47], v[56:57], v[19:20]
	v_fma_f64 v[94:95], v[48:49], v[56:57], v[94:95]
	;; [unrolled: 1-line block ×8, first 2 shown]
	v_lshlrev_b64_e32 v[46:47], 4, v[92:93]
	s_delay_alu instid0(VALU_DEP_1) | instskip(SKIP_1) | instid1(VALU_DEP_2)
	v_add_co_u32 v92, vcc_lo, s4, v46
	s_wait_alu 0xfffd
	v_add_co_ci_u32_e64 v93, null, s5, v47, vcc_lo
	v_add_co_u32 v9, vcc_lo, v9, 32
	s_wait_alu 0xfffd
	v_add_co_ci_u32_e64 v10, null, 0, v10, vcc_lo
	global_load_b128 v[46:49], v[92:93], off
	s_wait_loadcnt 0xc
	v_fma_f64 v[19:20], v[66:67], 0, v[19:20]
	v_fma_f64 v[56:57], v[66:67], 0, v[94:95]
	v_fma_f64 v[54:55], v[62:63], v[66:67], v[96:97]
	v_fma_f64 v[30:31], v[64:65], v[66:67], v[30:31]
	v_fma_f64 v[94:95], v[58:59], v[66:67], v[98:99]
	v_fma_f64 v[50:51], v[66:67], 0, v[50:51]
	v_fma_f64 v[90:91], v[60:61], v[66:67], v[90:91]
	v_fma_f64 v[52:53], v[66:67], 0, v[52:53]
	v_fma_f64 v[19:20], v[62:63], v[68:69], v[19:20]
	v_fma_f64 v[62:63], v[64:65], v[68:69], v[56:57]
	v_fma_f64 v[66:67], 0x80000000, v[68:69], v[54:55]
	v_fma_f64 v[30:31], 0x80000000, v[68:69], v[30:31]
	v_fma_f64 v[64:65], 0x80000000, v[68:69], v[94:95]
	v_fma_f64 v[94:95], v[58:59], v[68:69], v[50:51]
	v_fma_f64 v[90:91], 0x80000000, v[68:69], v[90:91]
	v_fma_f64 v[68:69], v[60:61], v[68:69], v[52:53]
	s_clause 0x1
	global_load_b128 v[50:53], v[13:14], off offset:3104
	global_load_b128 v[54:57], v[13:14], off offset:3120
	global_load_b128 v[58:61], v[92:93], off offset:16
	s_wait_loadcnt 0xc
	v_fma_f64 v[19:20], v[78:79], 0, v[19:20]
	v_fma_f64 v[62:63], v[78:79], 0, v[62:63]
	v_fma_f64 v[66:67], v[70:71], v[78:79], v[66:67]
	v_fma_f64 v[30:31], v[72:73], v[78:79], v[30:31]
	v_fma_f64 v[64:65], v[74:75], v[78:79], v[64:65]
	v_fma_f64 v[94:95], v[78:79], 0, v[94:95]
	v_fma_f64 v[90:91], v[76:77], v[78:79], v[90:91]
	v_fma_f64 v[68:69], v[78:79], 0, v[68:69]
	v_fma_f64 v[19:20], v[70:71], v[80:81], v[19:20]
	v_fma_f64 v[96:97], v[72:73], v[80:81], v[62:63]
	v_fma_f64 v[78:79], 0x80000000, v[80:81], v[66:67]
	v_fma_f64 v[30:31], 0x80000000, v[80:81], v[30:31]
	v_fma_f64 v[98:99], 0x80000000, v[80:81], v[64:65]
	v_fma_f64 v[74:75], v[74:75], v[80:81], v[94:95]
	v_fma_f64 v[90:91], 0x80000000, v[80:81], v[90:91]
	v_fma_f64 v[76:77], v[76:77], v[80:81], v[68:69]
	s_clause 0x1
	global_load_b128 v[62:65], v[13:14], off offset:3152
	global_load_b128 v[66:69], v[13:14], off offset:3136
	global_load_b128 v[70:73], v[92:93], off offset:32
	;; [unrolled: 21-line block ×3, first 2 shown]
	v_add_co_u32 v13, vcc_lo, 0x1000, v13
	s_wait_alu 0xfffd
	v_add_co_ci_u32_e64 v14, null, 0, v14, vcc_lo
	v_cmp_ge_i64_e32 vcc_lo, v[9:10], v[11:12]
	s_wait_alu 0xfffe
	s_or_b32 s7, vcc_lo, s7
	s_wait_loadcnt 0xc
	v_fma_f64 v[19:20], v[42:43], 0, v[19:20]
	v_fma_f64 v[24:25], v[42:43], 0, v[24:25]
	v_fma_f64 v[28:29], v[34:35], v[42:43], v[96:97]
	v_fma_f64 v[22:23], v[36:37], v[42:43], v[22:23]
	v_fma_f64 v[30:31], v[38:39], v[42:43], v[30:31]
	v_fma_f64 v[92:93], v[42:43], 0, v[94:95]
	v_fma_f64 v[90:91], v[40:41], v[42:43], v[90:91]
	v_fma_f64 v[26:27], v[42:43], 0, v[26:27]
	v_fma_f64 v[19:20], v[34:35], v[44:45], v[19:20]
	v_fma_f64 v[24:25], v[36:37], v[44:45], v[24:25]
	v_fma_f64 v[28:29], 0x80000000, v[44:45], v[28:29]
	v_fma_f64 v[22:23], 0x80000000, v[44:45], v[22:23]
	v_fma_f64 v[30:31], 0x80000000, v[44:45], v[30:31]
	v_fma_f64 v[34:35], v[38:39], v[44:45], v[92:93]
	v_fma_f64 v[36:37], 0x80000000, v[44:45], v[90:91]
	v_fma_f64 v[26:27], v[40:41], v[44:45], v[26:27]
	s_wait_loadcnt 0x9
	v_fma_f64 v[19:20], v[46:47], 0, v[19:20]
	v_fma_f64 v[24:25], v[46:47], 0, v[24:25]
	v_fma_f64 v[28:29], v[86:87], v[46:47], v[28:29]
	v_fma_f64 v[22:23], v[88:89], v[46:47], v[22:23]
	v_fma_f64 v[30:31], v[82:83], v[46:47], v[30:31]
	v_fma_f64 v[34:35], v[46:47], 0, v[34:35]
	v_fma_f64 v[36:37], v[84:85], v[46:47], v[36:37]
	v_fma_f64 v[26:27], v[46:47], 0, v[26:27]
	v_fma_f64 v[19:20], v[86:87], v[48:49], v[19:20]
	v_fma_f64 v[24:25], v[88:89], v[48:49], v[24:25]
	v_fma_f64 v[28:29], 0x80000000, v[48:49], v[28:29]
	v_fma_f64 v[22:23], 0x80000000, v[48:49], v[22:23]
	v_fma_f64 v[30:31], 0x80000000, v[48:49], v[30:31]
	v_fma_f64 v[34:35], v[82:83], v[48:49], v[34:35]
	v_fma_f64 v[36:37], 0x80000000, v[48:49], v[36:37]
	v_fma_f64 v[26:27], v[84:85], v[48:49], v[26:27]
	;; [unrolled: 17-line block ×5, first 2 shown]
	s_wait_alu 0xfffe
	s_and_not1_b32 exec_lo, exec_lo, s7
	s_cbranch_execnz .LBB141_31
; %bb.32:
	s_or_b32 exec_lo, exec_lo, s7
.LBB141_33:
	s_wait_alu 0xfffe
	s_or_b32 exec_lo, exec_lo, s6
.LBB141_34:
	s_wait_alu 0xfffe
	s_or_b32 exec_lo, exec_lo, s3
.LBB141_35:
	v_mbcnt_lo_u32_b32 v42, -1, 0
	s_delay_alu instid0(VALU_DEP_1) | instskip(NEXT) | instid1(VALU_DEP_1)
	v_xor_b32_e32 v9, 4, v42
	v_cmp_gt_i32_e32 vcc_lo, 32, v9
	s_wait_alu 0xfffd
	v_cndmask_b32_e32 v9, v42, v9, vcc_lo
	s_delay_alu instid0(VALU_DEP_1)
	v_lshlrev_b32_e32 v41, 2, v9
	ds_bpermute_b32 v9, v41, v22
	ds_bpermute_b32 v10, v41, v23
	;; [unrolled: 1-line block ×4, first 2 shown]
	s_wait_dscnt 0x2
	v_add_f64_e32 v[9:10], v[22:23], v[9:10]
	s_wait_dscnt 0x0
	v_add_f64_e32 v[22:23], v[24:25], v[34:35]
	v_xor_b32_e32 v24, 2, v42
	s_delay_alu instid0(VALU_DEP_1)
	v_cmp_gt_i32_e32 vcc_lo, 32, v24
	s_wait_alu 0xfffd
	v_cndmask_b32_e32 v24, v42, v24, vcc_lo
	ds_bpermute_b32 v11, v41, v19
	ds_bpermute_b32 v12, v41, v20
	;; [unrolled: 1-line block ×12, first 2 shown]
	s_wait_dscnt 0xa
	v_add_f64_e32 v[11:12], v[19:20], v[11:12]
	s_wait_dscnt 0x8
	v_add_f64_e32 v[13:14], v[30:31], v[13:14]
	;; [unrolled: 2-line block ×6, first 2 shown]
	v_lshlrev_b32_e32 v41, 2, v24
	ds_bpermute_b32 v34, v41, v22
	ds_bpermute_b32 v35, v41, v23
	;; [unrolled: 1-line block ×6, first 2 shown]
	s_wait_dscnt 0x2
	v_add_f64_e32 v[28:29], v[11:12], v[28:29]
	s_wait_dscnt 0x0
	v_add_f64_e32 v[11:12], v[13:14], v[30:31]
	v_add_f64_e32 v[13:14], v[22:23], v[34:35]
	v_xor_b32_e32 v22, 1, v42
	s_delay_alu instid0(VALU_DEP_1)
	v_cmp_gt_i32_e32 vcc_lo, 32, v22
	s_wait_alu 0xfffd
	v_cndmask_b32_e32 v22, v42, v22, vcc_lo
	ds_bpermute_b32 v24, v41, v9
	ds_bpermute_b32 v25, v41, v10
	;; [unrolled: 1-line block ×10, first 2 shown]
	v_lshlrev_b32_e32 v35, 2, v22
	v_cmp_eq_u32_e32 vcc_lo, 7, v0
	s_wait_dscnt 0x8
	v_add_f64_e32 v[9:10], v[9:10], v[24:25]
	s_wait_dscnt 0x6
	v_add_f64_e32 v[24:25], v[19:20], v[32:33]
	;; [unrolled: 2-line block ×3, first 2 shown]
	ds_bpermute_b32 v26, v35, v11
	s_wait_dscnt 0x3
	v_add_f64_e32 v[15:16], v[15:16], v[38:39]
	ds_bpermute_b32 v27, v35, v12
	s_wait_dscnt 0x2
	v_add_f64_e32 v[17:18], v[17:18], v[40:41]
	ds_bpermute_b32 v40, v35, v28
	ds_bpermute_b32 v41, v35, v29
	;; [unrolled: 1-line block ×14, first 2 shown]
	s_and_b32 exec_lo, exec_lo, vcc_lo
	s_cbranch_execz .LBB141_8
; %bb.36:
	s_wait_dscnt 0xc
	v_add_f64_e32 v[28:29], v[28:29], v[40:41]
	s_wait_dscnt 0x6
	v_add_f64_e32 v[24:25], v[24:25], v[38:39]
	;; [unrolled: 2-line block ×4, first 2 shown]
	v_add_f64_e32 v[9:10], v[9:10], v[22:23]
	v_add_f64_e32 v[11:12], v[11:12], v[26:27]
	;; [unrolled: 1-line block ×4, first 2 shown]
	v_cmp_eq_f64_e32 vcc_lo, 0, v[1:2]
	v_cmp_eq_f64_e64 s2, 0, v[3:4]
	s_load_b64 s[0:1], s[0:1], 0x60
	v_lshlrev_b32_e32 v21, 2, v21
	v_mul_f64_e64 v[13:14], v[28:29], -v[7:8]
	v_mul_f64_e32 v[15:16], v[5:6], v[28:29]
	v_mul_f64_e64 v[28:29], v[24:25], -v[7:8]
	v_mul_f64_e32 v[24:25], v[5:6], v[24:25]
	;; [unrolled: 2-line block ×4, first 2 shown]
	s_and_b32 s2, vcc_lo, s2
	v_fma_f64 v[17:18], v[5:6], v[9:10], v[13:14]
	v_fma_f64 v[19:20], v[7:8], v[9:10], v[15:16]
	;; [unrolled: 1-line block ×8, first 2 shown]
	s_wait_alu 0xfffe
	s_and_saveexec_b32 s3, s2
	s_wait_alu 0xfffe
	s_xor_b32 s2, exec_lo, s3
	s_cbranch_execz .LBB141_38
; %bb.37:
	v_ashrrev_i32_e32 v22, 31, v21
	s_delay_alu instid0(VALU_DEP_1) | instskip(SKIP_1) | instid1(VALU_DEP_1)
	v_lshlrev_b64_e32 v[0:1], 4, v[21:22]
                                        ; implicit-def: $vgpr21
	s_wait_kmcnt 0x0
	v_add_co_u32 v0, vcc_lo, s0, v0
	s_wait_alu 0xfffd
	s_delay_alu instid0(VALU_DEP_2)
	v_add_co_ci_u32_e64 v1, null, s1, v1, vcc_lo
	s_clause 0x3
	global_store_b128 v[0:1], v[17:20], off
	global_store_b128 v[0:1], v[13:16], off offset:16
	global_store_b128 v[0:1], v[9:12], off offset:32
	global_store_b128 v[0:1], v[5:8], off offset:48
                                        ; implicit-def: $vgpr3_vgpr4
                                        ; implicit-def: $vgpr17_vgpr18
                                        ; implicit-def: $vgpr13_vgpr14
                                        ; implicit-def: $vgpr9_vgpr10
                                        ; implicit-def: $vgpr5_vgpr6
.LBB141_38:
	s_wait_alu 0xfffe
	s_and_not1_saveexec_b32 s2, s2
	s_cbranch_execz .LBB141_8
; %bb.39:
	v_ashrrev_i32_e32 v22, 31, v21
	s_delay_alu instid0(VALU_DEP_1) | instskip(SKIP_1) | instid1(VALU_DEP_1)
	v_lshlrev_b64_e32 v[21:22], 4, v[21:22]
	s_wait_kmcnt 0x0
	v_add_co_u32 v37, vcc_lo, s0, v21
	s_wait_alu 0xfffd
	s_delay_alu instid0(VALU_DEP_2)
	v_add_co_ci_u32_e64 v38, null, s1, v22, vcc_lo
	s_clause 0x3
	global_load_b128 v[21:24], v[37:38], off
	global_load_b128 v[25:28], v[37:38], off offset:16
	global_load_b128 v[29:32], v[37:38], off offset:32
	;; [unrolled: 1-line block ×3, first 2 shown]
	s_wait_loadcnt 0x3
	v_fma_f64 v[17:18], v[1:2], v[21:22], v[17:18]
	v_fma_f64 v[19:20], v[3:4], v[21:22], v[19:20]
	s_wait_loadcnt 0x2
	v_fma_f64 v[13:14], v[1:2], v[25:26], v[13:14]
	v_fma_f64 v[15:16], v[3:4], v[25:26], v[15:16]
	;; [unrolled: 3-line block ×4, first 2 shown]
	v_fma_f64 v[5:6], -v[3:4], v[23:24], v[17:18]
	v_fma_f64 v[7:8], v[1:2], v[23:24], v[19:20]
	v_fma_f64 v[9:10], -v[3:4], v[27:28], v[13:14]
	v_fma_f64 v[11:12], v[1:2], v[27:28], v[15:16]
	;; [unrolled: 2-line block ×4, first 2 shown]
	s_clause 0x3
	global_store_b128 v[37:38], v[5:8], off
	global_store_b128 v[37:38], v[9:12], off offset:16
	global_store_b128 v[37:38], v[13:16], off offset:32
	;; [unrolled: 1-line block ×3, first 2 shown]
	s_nop 0
	s_sendmsg sendmsg(MSG_DEALLOC_VGPRS)
	s_endpgm
	.section	.rodata,"a",@progbits
	.p2align	6, 0x0
	.amdhsa_kernel _ZN9rocsparseL18bsrxmvn_4x4_kernelILj128ELj8E21rocsparse_complex_numIdElidS2_S2_EEvT3_20rocsparse_direction_NS_24const_host_device_scalarIT1_EES3_PKS3_PKT2_SC_S9_PKT4_PKT5_S7_PT6_21rocsparse_index_base_b
		.amdhsa_group_segment_fixed_size 0
		.amdhsa_private_segment_fixed_size 0
		.amdhsa_kernarg_size 112
		.amdhsa_user_sgpr_count 2
		.amdhsa_user_sgpr_dispatch_ptr 0
		.amdhsa_user_sgpr_queue_ptr 0
		.amdhsa_user_sgpr_kernarg_segment_ptr 1
		.amdhsa_user_sgpr_dispatch_id 0
		.amdhsa_user_sgpr_private_segment_size 0
		.amdhsa_wavefront_size32 1
		.amdhsa_uses_dynamic_stack 0
		.amdhsa_enable_private_segment 0
		.amdhsa_system_sgpr_workgroup_id_x 1
		.amdhsa_system_sgpr_workgroup_id_y 0
		.amdhsa_system_sgpr_workgroup_id_z 0
		.amdhsa_system_sgpr_workgroup_info 0
		.amdhsa_system_vgpr_workitem_id 0
		.amdhsa_next_free_vgpr 117
		.amdhsa_next_free_sgpr 14
		.amdhsa_reserve_vcc 1
		.amdhsa_float_round_mode_32 0
		.amdhsa_float_round_mode_16_64 0
		.amdhsa_float_denorm_mode_32 3
		.amdhsa_float_denorm_mode_16_64 3
		.amdhsa_fp16_overflow 0
		.amdhsa_workgroup_processor_mode 1
		.amdhsa_memory_ordered 1
		.amdhsa_forward_progress 1
		.amdhsa_inst_pref_size 91
		.amdhsa_round_robin_scheduling 0
		.amdhsa_exception_fp_ieee_invalid_op 0
		.amdhsa_exception_fp_denorm_src 0
		.amdhsa_exception_fp_ieee_div_zero 0
		.amdhsa_exception_fp_ieee_overflow 0
		.amdhsa_exception_fp_ieee_underflow 0
		.amdhsa_exception_fp_ieee_inexact 0
		.amdhsa_exception_int_div_zero 0
	.end_amdhsa_kernel
	.section	.text._ZN9rocsparseL18bsrxmvn_4x4_kernelILj128ELj8E21rocsparse_complex_numIdElidS2_S2_EEvT3_20rocsparse_direction_NS_24const_host_device_scalarIT1_EES3_PKS3_PKT2_SC_S9_PKT4_PKT5_S7_PT6_21rocsparse_index_base_b,"axG",@progbits,_ZN9rocsparseL18bsrxmvn_4x4_kernelILj128ELj8E21rocsparse_complex_numIdElidS2_S2_EEvT3_20rocsparse_direction_NS_24const_host_device_scalarIT1_EES3_PKS3_PKT2_SC_S9_PKT4_PKT5_S7_PT6_21rocsparse_index_base_b,comdat
.Lfunc_end141:
	.size	_ZN9rocsparseL18bsrxmvn_4x4_kernelILj128ELj8E21rocsparse_complex_numIdElidS2_S2_EEvT3_20rocsparse_direction_NS_24const_host_device_scalarIT1_EES3_PKS3_PKT2_SC_S9_PKT4_PKT5_S7_PT6_21rocsparse_index_base_b, .Lfunc_end141-_ZN9rocsparseL18bsrxmvn_4x4_kernelILj128ELj8E21rocsparse_complex_numIdElidS2_S2_EEvT3_20rocsparse_direction_NS_24const_host_device_scalarIT1_EES3_PKS3_PKT2_SC_S9_PKT4_PKT5_S7_PT6_21rocsparse_index_base_b
                                        ; -- End function
	.set _ZN9rocsparseL18bsrxmvn_4x4_kernelILj128ELj8E21rocsparse_complex_numIdElidS2_S2_EEvT3_20rocsparse_direction_NS_24const_host_device_scalarIT1_EES3_PKS3_PKT2_SC_S9_PKT4_PKT5_S7_PT6_21rocsparse_index_base_b.num_vgpr, 117
	.set _ZN9rocsparseL18bsrxmvn_4x4_kernelILj128ELj8E21rocsparse_complex_numIdElidS2_S2_EEvT3_20rocsparse_direction_NS_24const_host_device_scalarIT1_EES3_PKS3_PKT2_SC_S9_PKT4_PKT5_S7_PT6_21rocsparse_index_base_b.num_agpr, 0
	.set _ZN9rocsparseL18bsrxmvn_4x4_kernelILj128ELj8E21rocsparse_complex_numIdElidS2_S2_EEvT3_20rocsparse_direction_NS_24const_host_device_scalarIT1_EES3_PKS3_PKT2_SC_S9_PKT4_PKT5_S7_PT6_21rocsparse_index_base_b.numbered_sgpr, 14
	.set _ZN9rocsparseL18bsrxmvn_4x4_kernelILj128ELj8E21rocsparse_complex_numIdElidS2_S2_EEvT3_20rocsparse_direction_NS_24const_host_device_scalarIT1_EES3_PKS3_PKT2_SC_S9_PKT4_PKT5_S7_PT6_21rocsparse_index_base_b.num_named_barrier, 0
	.set _ZN9rocsparseL18bsrxmvn_4x4_kernelILj128ELj8E21rocsparse_complex_numIdElidS2_S2_EEvT3_20rocsparse_direction_NS_24const_host_device_scalarIT1_EES3_PKS3_PKT2_SC_S9_PKT4_PKT5_S7_PT6_21rocsparse_index_base_b.private_seg_size, 0
	.set _ZN9rocsparseL18bsrxmvn_4x4_kernelILj128ELj8E21rocsparse_complex_numIdElidS2_S2_EEvT3_20rocsparse_direction_NS_24const_host_device_scalarIT1_EES3_PKS3_PKT2_SC_S9_PKT4_PKT5_S7_PT6_21rocsparse_index_base_b.uses_vcc, 1
	.set _ZN9rocsparseL18bsrxmvn_4x4_kernelILj128ELj8E21rocsparse_complex_numIdElidS2_S2_EEvT3_20rocsparse_direction_NS_24const_host_device_scalarIT1_EES3_PKS3_PKT2_SC_S9_PKT4_PKT5_S7_PT6_21rocsparse_index_base_b.uses_flat_scratch, 0
	.set _ZN9rocsparseL18bsrxmvn_4x4_kernelILj128ELj8E21rocsparse_complex_numIdElidS2_S2_EEvT3_20rocsparse_direction_NS_24const_host_device_scalarIT1_EES3_PKS3_PKT2_SC_S9_PKT4_PKT5_S7_PT6_21rocsparse_index_base_b.has_dyn_sized_stack, 0
	.set _ZN9rocsparseL18bsrxmvn_4x4_kernelILj128ELj8E21rocsparse_complex_numIdElidS2_S2_EEvT3_20rocsparse_direction_NS_24const_host_device_scalarIT1_EES3_PKS3_PKT2_SC_S9_PKT4_PKT5_S7_PT6_21rocsparse_index_base_b.has_recursion, 0
	.set _ZN9rocsparseL18bsrxmvn_4x4_kernelILj128ELj8E21rocsparse_complex_numIdElidS2_S2_EEvT3_20rocsparse_direction_NS_24const_host_device_scalarIT1_EES3_PKS3_PKT2_SC_S9_PKT4_PKT5_S7_PT6_21rocsparse_index_base_b.has_indirect_call, 0
	.section	.AMDGPU.csdata,"",@progbits
; Kernel info:
; codeLenInByte = 11556
; TotalNumSgprs: 16
; NumVgprs: 117
; ScratchSize: 0
; MemoryBound: 0
; FloatMode: 240
; IeeeMode: 1
; LDSByteSize: 0 bytes/workgroup (compile time only)
; SGPRBlocks: 0
; VGPRBlocks: 14
; NumSGPRsForWavesPerEU: 16
; NumVGPRsForWavesPerEU: 117
; Occupancy: 12
; WaveLimiterHint : 1
; COMPUTE_PGM_RSRC2:SCRATCH_EN: 0
; COMPUTE_PGM_RSRC2:USER_SGPR: 2
; COMPUTE_PGM_RSRC2:TRAP_HANDLER: 0
; COMPUTE_PGM_RSRC2:TGID_X_EN: 1
; COMPUTE_PGM_RSRC2:TGID_Y_EN: 0
; COMPUTE_PGM_RSRC2:TGID_Z_EN: 0
; COMPUTE_PGM_RSRC2:TIDIG_COMP_CNT: 0
	.section	.text._ZN9rocsparseL18bsrxmvn_4x4_kernelILj128ELj16E21rocsparse_complex_numIdElidS2_S2_EEvT3_20rocsparse_direction_NS_24const_host_device_scalarIT1_EES3_PKS3_PKT2_SC_S9_PKT4_PKT5_S7_PT6_21rocsparse_index_base_b,"axG",@progbits,_ZN9rocsparseL18bsrxmvn_4x4_kernelILj128ELj16E21rocsparse_complex_numIdElidS2_S2_EEvT3_20rocsparse_direction_NS_24const_host_device_scalarIT1_EES3_PKS3_PKT2_SC_S9_PKT4_PKT5_S7_PT6_21rocsparse_index_base_b,comdat
	.globl	_ZN9rocsparseL18bsrxmvn_4x4_kernelILj128ELj16E21rocsparse_complex_numIdElidS2_S2_EEvT3_20rocsparse_direction_NS_24const_host_device_scalarIT1_EES3_PKS3_PKT2_SC_S9_PKT4_PKT5_S7_PT6_21rocsparse_index_base_b ; -- Begin function _ZN9rocsparseL18bsrxmvn_4x4_kernelILj128ELj16E21rocsparse_complex_numIdElidS2_S2_EEvT3_20rocsparse_direction_NS_24const_host_device_scalarIT1_EES3_PKS3_PKT2_SC_S9_PKT4_PKT5_S7_PT6_21rocsparse_index_base_b
	.p2align	8
	.type	_ZN9rocsparseL18bsrxmvn_4x4_kernelILj128ELj16E21rocsparse_complex_numIdElidS2_S2_EEvT3_20rocsparse_direction_NS_24const_host_device_scalarIT1_EES3_PKS3_PKT2_SC_S9_PKT4_PKT5_S7_PT6_21rocsparse_index_base_b,@function
_ZN9rocsparseL18bsrxmvn_4x4_kernelILj128ELj16E21rocsparse_complex_numIdElidS2_S2_EEvT3_20rocsparse_direction_NS_24const_host_device_scalarIT1_EES3_PKS3_PKT2_SC_S9_PKT4_PKT5_S7_PT6_21rocsparse_index_base_b: ; @_ZN9rocsparseL18bsrxmvn_4x4_kernelILj128ELj16E21rocsparse_complex_numIdElidS2_S2_EEvT3_20rocsparse_direction_NS_24const_host_device_scalarIT1_EES3_PKS3_PKT2_SC_S9_PKT4_PKT5_S7_PT6_21rocsparse_index_base_b
; %bb.0:
	s_clause 0x1
	s_load_b64 s[12:13], s[0:1], 0x68
	s_load_b64 s[2:3], s[0:1], 0x8
	s_add_nc_u64 s[4:5], s[0:1], 8
	s_load_b64 s[6:7], s[0:1], 0x50
	s_wait_kmcnt 0x0
	s_bitcmp1_b32 s13, 0
	s_cselect_b32 s2, s4, s2
	s_cselect_b32 s3, s5, s3
	s_delay_alu instid0(SALU_CYCLE_1)
	v_dual_mov_b32 v1, s2 :: v_dual_mov_b32 v2, s3
	s_add_nc_u64 s[2:3], s[0:1], 0x50
	s_wait_alu 0xfffe
	s_cselect_b32 s2, s2, s6
	s_cselect_b32 s3, s3, s7
	flat_load_b128 v[5:8], v[1:2]
	s_wait_alu 0xfffe
	v_dual_mov_b32 v1, s2 :: v_dual_mov_b32 v2, s3
	flat_load_b128 v[1:4], v[1:2]
	s_wait_loadcnt_dscnt 0x101
	v_cmp_eq_f64_e32 vcc_lo, 0, v[5:6]
	v_cmp_eq_f64_e64 s2, 0, v[7:8]
	s_and_b32 s4, vcc_lo, s2
	s_mov_b32 s2, -1
	s_and_saveexec_b32 s3, s4
	s_cbranch_execz .LBB142_2
; %bb.1:
	s_wait_loadcnt_dscnt 0x0
	v_cmp_neq_f64_e32 vcc_lo, 1.0, v[1:2]
	v_cmp_neq_f64_e64 s2, 0, v[3:4]
	s_wait_alu 0xfffe
	s_or_b32 s2, vcc_lo, s2
	s_wait_alu 0xfffe
	s_or_not1_b32 s2, s2, exec_lo
.LBB142_2:
	s_wait_alu 0xfffe
	s_or_b32 exec_lo, exec_lo, s3
	s_and_saveexec_b32 s3, s2
	s_cbranch_execz .LBB142_8
; %bb.3:
	s_clause 0x1
	s_load_b64 s[4:5], s[0:1], 0x20
	s_load_b64 s[2:3], s[0:1], 0x0
	v_lshrrev_b32_e32 v9, 4, v0
	s_delay_alu instid0(VALU_DEP_1)
	v_lshl_or_b32 v21, ttmp9, 3, v9
	s_wait_kmcnt 0x0
	s_cmp_lg_u64 s[4:5], 0
	s_cbranch_scc0 .LBB142_9
; %bb.4:
	s_load_b32 s6, s[0:1], 0x18
	s_mov_b32 s7, 0
                                        ; implicit-def: $vgpr9
	s_wait_kmcnt 0x0
	v_cmp_gt_i32_e32 vcc_lo, s6, v21
	s_mov_b32 s6, 0
	s_and_saveexec_b32 s8, vcc_lo
	s_delay_alu instid0(SALU_CYCLE_1)
	s_xor_b32 s8, exec_lo, s8
	s_cbranch_execz .LBB142_6
; %bb.5:
	v_ashrrev_i32_e32 v22, 31, v21
	s_mov_b32 s6, exec_lo
	s_delay_alu instid0(VALU_DEP_1) | instskip(NEXT) | instid1(VALU_DEP_1)
	v_lshlrev_b64_e32 v[9:10], 2, v[21:22]
	v_add_co_u32 v9, vcc_lo, s4, v9
	s_delay_alu instid0(VALU_DEP_1)
	v_add_co_ci_u32_e64 v10, null, s5, v10, vcc_lo
	global_load_b32 v9, v[9:10], off
	s_wait_loadcnt 0x0
	v_subrev_nc_u32_e32 v9, s12, v9
.LBB142_6:
	s_or_b32 exec_lo, exec_lo, s8
	s_delay_alu instid0(SALU_CYCLE_1)
	s_and_b32 vcc_lo, exec_lo, s7
	s_wait_alu 0xfffe
	s_cbranch_vccz .LBB142_10
.LBB142_7:
	v_cmp_gt_i32_e32 vcc_lo, s2, v21
	s_and_not1_b32 s2, s6, exec_lo
	s_and_b32 s4, vcc_lo, exec_lo
	s_wait_alu 0xfffe
	s_or_b32 s6, s2, s4
	s_wait_alu 0xfffe
	s_and_b32 exec_lo, exec_lo, s6
	s_cbranch_execnz .LBB142_11
.LBB142_8:
	s_nop 0
	s_sendmsg sendmsg(MSG_DEALLOC_VGPRS)
	s_endpgm
.LBB142_9:
	s_mov_b32 s6, 0
                                        ; implicit-def: $vgpr9
	s_cbranch_execnz .LBB142_7
.LBB142_10:
	v_mov_b32_e32 v21, v9
	s_and_b32 exec_lo, exec_lo, s6
	s_cbranch_execz .LBB142_8
.LBB142_11:
	s_load_b256 s[4:11], s[0:1], 0x28
	s_delay_alu instid0(VALU_DEP_1) | instskip(SKIP_1) | instid1(VALU_DEP_2)
	v_ashrrev_i32_e32 v22, 31, v21
	v_and_b32_e32 v0, 15, v0
	v_lshlrev_b64_e32 v[9:10], 3, v[21:22]
	s_wait_kmcnt 0x0
	s_delay_alu instid0(VALU_DEP_1) | instskip(SKIP_1) | instid1(VALU_DEP_2)
	v_add_co_u32 v11, vcc_lo, s4, v9
	s_wait_alu 0xfffd
	v_add_co_ci_u32_e64 v12, null, s5, v10, vcc_lo
	v_add_co_u32 v9, vcc_lo, s6, v9
	s_wait_alu 0xfffd
	v_add_co_ci_u32_e64 v10, null, s7, v10, vcc_lo
	v_add_co_u32 v13, vcc_lo, v11, 8
	global_load_b64 v[32:33], v[11:12], off
	s_wait_alu 0xfffd
	v_add_co_ci_u32_e64 v14, null, 0, v12, vcc_lo
	s_cmp_eq_u64 s[6:7], 0
	s_load_b64 s[4:5], s[0:1], 0x48
	s_cselect_b32 vcc_lo, -1, 0
	s_cmp_eq_u32 s3, 1
	s_wait_alu 0xfffe
	v_dual_cndmask_b32 v10, v10, v14 :: v_dual_cndmask_b32 v9, v9, v13
	global_load_b64 v[11:12], v[9:10], off
	s_wait_loadcnt 0x1
	v_sub_co_u32 v9, vcc_lo, v32, s12
	s_wait_alu 0xfffd
	v_subrev_co_ci_u32_e64 v10, null, 0, v33, vcc_lo
	s_delay_alu instid0(VALU_DEP_2) | instskip(SKIP_1) | instid1(VALU_DEP_2)
	v_add_co_u32 v9, vcc_lo, v9, v0
	s_wait_alu 0xfffd
	v_add_co_ci_u32_e64 v10, null, 0, v10, vcc_lo
	s_delay_alu instid0(VALU_DEP_1) | instskip(SKIP_4) | instid1(VALU_DEP_3)
	v_lshlrev_b64_e32 v[13:14], 7, v[9:10]
	s_wait_loadcnt 0x0
	v_sub_co_u32 v11, vcc_lo, v11, s12
	s_wait_alu 0xfffd
	v_subrev_co_ci_u32_e64 v12, null, 0, v12, vcc_lo
	v_add_co_u32 v13, vcc_lo, s10, v13
	s_delay_alu instid0(VALU_DEP_2)
	v_cmp_lt_i64_e64 s2, v[9:10], v[11:12]
	s_wait_alu 0xfffd
	v_add_co_ci_u32_e64 v14, null, s11, v14, vcc_lo
	s_cbranch_scc1 .LBB142_23
; %bb.12:
	v_mov_b32_e32 v28, 0
	v_dual_mov_b32 v26, 0 :: v_dual_mov_b32 v17, 0
	v_dual_mov_b32 v19, 0 :: v_dual_mov_b32 v22, 0
	v_dual_mov_b32 v29, 0 :: v_dual_mov_b32 v30, 0
	v_dual_mov_b32 v27, 0 :: v_dual_mov_b32 v24, 0
	v_dual_mov_b32 v18, 0 :: v_dual_mov_b32 v15, 0
	v_dual_mov_b32 v20, 0 :: v_dual_mov_b32 v23, 0
	v_mov_b32_e32 v31, 0
	v_dual_mov_b32 v25, 0 :: v_dual_mov_b32 v16, 0
	s_and_saveexec_b32 s6, s2
	s_cbranch_execz .LBB142_22
; %bb.13:
	v_or_b32_e32 v15, 16, v0
	v_not_b32_e32 v20, v32
	v_not_b32_e32 v19, v33
	v_dual_mov_b32 v35, 0 :: v_dual_mov_b32 v28, 0
	s_delay_alu instid0(VALU_DEP_4) | instskip(SKIP_3) | instid1(VALU_DEP_3)
	v_sub_co_u32 v15, s3, v15, s12
	s_wait_alu 0xf1ff
	v_sub_co_ci_u32_e64 v16, null, 0, 0, s3
	v_sub_co_u32 v22, s3, s12, v0
	v_add_co_u32 v17, vcc_lo, v15, v32
	s_wait_alu 0xfffd
	s_delay_alu instid0(VALU_DEP_3) | instskip(SKIP_3) | instid1(VALU_DEP_3)
	v_add_co_ci_u32_e64 v18, null, v16, v33, vcc_lo
	s_wait_alu 0xf1ff
	v_sub_co_ci_u32_e64 v23, null, 0, 0, s3
	v_add_co_u32 v20, s3, v22, v20
	v_cmp_gt_i64_e32 vcc_lo, v[17:18], v[11:12]
	v_mov_b32_e32 v15, 0
	s_wait_alu 0xf1ff
	v_add_co_ci_u32_e64 v19, null, v23, v19, s3
	v_mov_b32_e32 v16, 0
	v_mov_b32_e32 v26, 0
	s_wait_alu 0xfffd
	v_cndmask_b32_e32 v24, v11, v17, vcc_lo
	v_dual_cndmask_b32 v22, v12, v18 :: v_dual_mov_b32 v17, 0
	v_mov_b32_e32 v30, 0
	v_mov_b32_e32 v18, 0
	s_delay_alu instid0(VALU_DEP_4) | instskip(SKIP_2) | instid1(VALU_DEP_2)
	v_add_co_u32 v38, vcc_lo, v20, v24
	s_wait_alu 0xfffd
	v_add_co_ci_u32_e64 v39, null, v19, v22, vcc_lo
	v_dual_mov_b32 v19, 0 :: v_dual_and_b32 v34, 48, v38
	v_dual_mov_b32 v29, 0 :: v_dual_mov_b32 v24, 0
	v_dual_mov_b32 v27, 0 :: v_dual_mov_b32 v22, 0
	;; [unrolled: 1-line block ×3, first 2 shown]
	s_delay_alu instid0(VALU_DEP_4)
	v_cmp_ne_u64_e32 vcc_lo, 48, v[34:35]
	v_mov_b32_e32 v35, v10
	v_mov_b32_e32 v25, 0
	;; [unrolled: 1-line block ×3, first 2 shown]
	v_dual_mov_b32 v23, 0 :: v_dual_mov_b32 v36, v13
	v_mov_b32_e32 v34, v9
	s_and_saveexec_b32 s7, vcc_lo
	s_cbranch_execz .LBB142_17
; %bb.14:
	v_lshrrev_b32_e32 v17, 4, v38
	v_lshlrev_b64_e32 v[15:16], 2, v[9:10]
	v_mov_b32_e32 v19, 0
	v_dual_mov_b32 v35, v10 :: v_dual_mov_b32 v22, 0
	s_delay_alu instid0(VALU_DEP_4) | instskip(SKIP_2) | instid1(VALU_DEP_3)
	v_dual_mov_b32 v20, 0 :: v_dual_add_nc_u32 v17, 1, v17
	v_dual_mov_b32 v23, 0 :: v_dual_mov_b32 v28, 0
	v_add_co_u32 v40, vcc_lo, s8, v15
	v_dual_mov_b32 v26, 0 :: v_dual_and_b32 v17, 3, v17
	v_dual_mov_b32 v29, 0 :: v_dual_mov_b32 v30, 0
	s_wait_alu 0xfffd
	v_add_co_ci_u32_e64 v41, null, s9, v16, vcc_lo
	s_delay_alu instid0(VALU_DEP_3)
	v_sub_co_u32 v42, s3, 0, v17
	v_dual_mov_b32 v31, 0 :: v_dual_mov_b32 v24, 0
	v_mov_b32_e32 v17, 0
	v_mov_b32_e32 v15, 0
	v_dual_mov_b32 v37, v14 :: v_dual_mov_b32 v34, v9
	s_wait_alu 0xf1ff
	v_sub_co_ci_u32_e64 v43, null, 0, 0, s3
	v_dual_mov_b32 v27, 0 :: v_dual_mov_b32 v18, 0
	v_dual_mov_b32 v25, 0 :: v_dual_mov_b32 v16, 0
	v_mov_b32_e32 v36, v13
	s_mov_b32 s10, 0
.LBB142_15:                             ; =>This Inner Loop Header: Depth=1
	global_load_b32 v76, v[40:41], off
	s_clause 0x7
	global_load_b128 v[44:47], v[36:37], off offset:48
	global_load_b128 v[48:51], v[36:37], off offset:32
	;; [unrolled: 1-line block ×3, first 2 shown]
	global_load_b128 v[56:59], v[36:37], off
	global_load_b128 v[60:63], v[36:37], off offset:112
	global_load_b128 v[64:67], v[36:37], off offset:96
	;; [unrolled: 1-line block ×4, first 2 shown]
	v_add_co_u32 v40, s3, v40, 64
	s_wait_alu 0xf1ff
	v_add_co_ci_u32_e64 v41, null, 0, v41, s3
	s_wait_loadcnt 0x8
	v_subrev_nc_u32_e32 v76, s12, v76
	s_delay_alu instid0(VALU_DEP_1) | instskip(NEXT) | instid1(VALU_DEP_1)
	v_lshlrev_b32_e32 v76, 2, v76
	v_ashrrev_i32_e32 v77, 31, v76
	s_delay_alu instid0(VALU_DEP_1) | instskip(SKIP_1) | instid1(VALU_DEP_1)
	v_lshlrev_b64_e32 v[76:77], 4, v[76:77]
	s_wait_kmcnt 0x0
	v_add_co_u32 v88, vcc_lo, s4, v76
	s_wait_alu 0xfffd
	s_delay_alu instid0(VALU_DEP_2)
	v_add_co_ci_u32_e64 v89, null, s5, v77, vcc_lo
	v_add_co_u32 v36, vcc_lo, 0x800, v36
	s_wait_alu 0xfffd
	v_add_co_ci_u32_e64 v37, null, 0, v37, vcc_lo
	s_clause 0x3
	global_load_b128 v[76:79], v[88:89], off
	global_load_b128 v[80:83], v[88:89], off offset:16
	global_load_b128 v[84:87], v[88:89], off offset:32
	;; [unrolled: 1-line block ×3, first 2 shown]
	v_add_co_u32 v42, vcc_lo, v42, 1
	s_wait_alu 0xfffd
	v_add_co_ci_u32_e64 v43, null, 0, v43, vcc_lo
	v_add_co_u32 v34, vcc_lo, v34, 16
	s_wait_alu 0xfffd
	v_add_co_ci_u32_e64 v35, null, 0, v35, vcc_lo
	s_delay_alu instid0(VALU_DEP_3)
	v_cmp_eq_u64_e32 vcc_lo, 0, v[42:43]
	s_wait_alu 0xfffe
	s_or_b32 s10, vcc_lo, s10
	s_wait_loadcnt 0x3
	v_fma_f64 v[22:23], v[56:57], v[76:77], v[22:23]
	v_fma_f64 v[19:20], v[76:77], 0, v[19:20]
	v_fma_f64 v[30:31], v[48:49], v[76:77], v[30:31]
	v_fma_f64 v[28:29], v[76:77], 0, v[28:29]
	v_fma_f64 v[24:25], v[72:73], v[76:77], v[24:25]
	v_fma_f64 v[26:27], v[76:77], 0, v[26:27]
	v_fma_f64 v[15:16], v[64:65], v[76:77], v[15:16]
	v_fma_f64 v[17:18], v[76:77], 0, v[17:18]
	v_fma_f64 v[22:23], 0x80000000, v[78:79], v[22:23]
	v_fma_f64 v[19:20], v[56:57], v[78:79], v[19:20]
	v_fma_f64 v[30:31], 0x80000000, v[78:79], v[30:31]
	v_fma_f64 v[28:29], v[48:49], v[78:79], v[28:29]
	v_fma_f64 v[24:25], 0x80000000, v[78:79], v[24:25]
	v_fma_f64 v[26:27], v[72:73], v[78:79], v[26:27]
	v_fma_f64 v[15:16], 0x80000000, v[78:79], v[15:16]
	v_fma_f64 v[17:18], v[64:65], v[78:79], v[17:18]
	s_wait_loadcnt 0x2
	v_fma_f64 v[22:23], v[58:59], v[80:81], v[22:23]
	v_fma_f64 v[19:20], v[80:81], 0, v[19:20]
	v_fma_f64 v[30:31], v[50:51], v[80:81], v[30:31]
	v_fma_f64 v[28:29], v[80:81], 0, v[28:29]
	v_fma_f64 v[24:25], v[74:75], v[80:81], v[24:25]
	v_fma_f64 v[26:27], v[80:81], 0, v[26:27]
	v_fma_f64 v[15:16], v[66:67], v[80:81], v[15:16]
	v_fma_f64 v[17:18], v[80:81], 0, v[17:18]
	v_fma_f64 v[22:23], 0x80000000, v[82:83], v[22:23]
	v_fma_f64 v[19:20], v[58:59], v[82:83], v[19:20]
	v_fma_f64 v[30:31], 0x80000000, v[82:83], v[30:31]
	v_fma_f64 v[28:29], v[50:51], v[82:83], v[28:29]
	v_fma_f64 v[24:25], 0x80000000, v[82:83], v[24:25]
	v_fma_f64 v[26:27], v[74:75], v[82:83], v[26:27]
	v_fma_f64 v[15:16], 0x80000000, v[82:83], v[15:16]
	v_fma_f64 v[17:18], v[66:67], v[82:83], v[17:18]
	s_wait_loadcnt 0x1
	v_fma_f64 v[22:23], v[52:53], v[84:85], v[22:23]
	v_fma_f64 v[19:20], v[84:85], 0, v[19:20]
	v_fma_f64 v[30:31], v[44:45], v[84:85], v[30:31]
	v_fma_f64 v[28:29], v[84:85], 0, v[28:29]
	v_fma_f64 v[24:25], v[68:69], v[84:85], v[24:25]
	v_fma_f64 v[26:27], v[84:85], 0, v[26:27]
	v_fma_f64 v[15:16], v[60:61], v[84:85], v[15:16]
	v_fma_f64 v[17:18], v[84:85], 0, v[17:18]
	v_fma_f64 v[22:23], 0x80000000, v[86:87], v[22:23]
	v_fma_f64 v[19:20], v[52:53], v[86:87], v[19:20]
	v_fma_f64 v[30:31], 0x80000000, v[86:87], v[30:31]
	v_fma_f64 v[28:29], v[44:45], v[86:87], v[28:29]
	v_fma_f64 v[24:25], 0x80000000, v[86:87], v[24:25]
	v_fma_f64 v[26:27], v[68:69], v[86:87], v[26:27]
	v_fma_f64 v[15:16], 0x80000000, v[86:87], v[15:16]
	v_fma_f64 v[17:18], v[60:61], v[86:87], v[17:18]
	s_wait_loadcnt 0x0
	v_fma_f64 v[22:23], v[54:55], v[88:89], v[22:23]
	v_fma_f64 v[19:20], v[88:89], 0, v[19:20]
	v_fma_f64 v[30:31], v[46:47], v[88:89], v[30:31]
	v_fma_f64 v[28:29], v[88:89], 0, v[28:29]
	v_fma_f64 v[24:25], v[70:71], v[88:89], v[24:25]
	v_fma_f64 v[26:27], v[88:89], 0, v[26:27]
	v_fma_f64 v[15:16], v[62:63], v[88:89], v[15:16]
	v_fma_f64 v[17:18], v[88:89], 0, v[17:18]
	v_fma_f64 v[22:23], 0x80000000, v[90:91], v[22:23]
	v_fma_f64 v[19:20], v[54:55], v[90:91], v[19:20]
	v_fma_f64 v[30:31], 0x80000000, v[90:91], v[30:31]
	v_fma_f64 v[28:29], v[46:47], v[90:91], v[28:29]
	v_fma_f64 v[24:25], 0x80000000, v[90:91], v[24:25]
	v_fma_f64 v[26:27], v[70:71], v[90:91], v[26:27]
	v_fma_f64 v[15:16], 0x80000000, v[90:91], v[15:16]
	v_fma_f64 v[17:18], v[62:63], v[90:91], v[17:18]
	s_wait_alu 0xfffe
	s_and_not1_b32 exec_lo, exec_lo, s10
	s_cbranch_execnz .LBB142_15
; %bb.16:
	s_or_b32 exec_lo, exec_lo, s10
.LBB142_17:
	s_wait_alu 0xfffe
	s_or_b32 exec_lo, exec_lo, s7
	s_delay_alu instid0(SALU_CYCLE_1)
	s_mov_b32 s7, exec_lo
	v_cmpx_lt_u64_e32 47, v[38:39]
	s_cbranch_execz .LBB142_21
; %bb.18:
	v_lshlrev_b64_e32 v[38:39], 2, v[34:35]
	s_mov_b32 s10, 0
	s_delay_alu instid0(VALU_DEP_1) | instskip(SKIP_1) | instid1(VALU_DEP_2)
	v_add_co_u32 v38, vcc_lo, s8, v38
	s_wait_alu 0xfffd
	v_add_co_ci_u32_e64 v39, null, s9, v39, vcc_lo
	s_delay_alu instid0(VALU_DEP_2) | instskip(SKIP_1) | instid1(VALU_DEP_2)
	v_add_co_u32 v38, vcc_lo, 0x80, v38
	s_wait_alu 0xfffd
	v_add_co_ci_u32_e64 v39, null, 0, v39, vcc_lo
.LBB142_19:                             ; =>This Inner Loop Header: Depth=1
	s_clause 0x1
	global_load_b32 v56, v[38:39], off offset:-128
	global_load_b32 v104, v[38:39], off offset:-64
	s_clause 0x3
	global_load_b128 v[40:43], v[36:37], off offset:32
	global_load_b128 v[44:47], v[36:37], off
	global_load_b128 v[48:51], v[36:37], off offset:96
	global_load_b128 v[52:55], v[36:37], off offset:64
	s_clause 0x1
	global_load_b32 v114, v[38:39], off
	global_load_b32 v116, v[38:39], off offset:64
	v_add_co_u32 v38, s3, 0x100, v38
	s_wait_alu 0xf1ff
	v_add_co_ci_u32_e64 v39, null, 0, v39, s3
	s_wait_loadcnt 0x7
	v_subrev_nc_u32_e32 v56, s12, v56
	s_wait_loadcnt 0x6
	v_subrev_nc_u32_e32 v104, s12, v104
	s_delay_alu instid0(VALU_DEP_2) | instskip(NEXT) | instid1(VALU_DEP_2)
	v_lshlrev_b32_e32 v56, 2, v56
	v_lshlrev_b32_e32 v104, 2, v104
	s_wait_loadcnt 0x1
	v_subrev_nc_u32_e32 v114, s12, v114
	s_delay_alu instid0(VALU_DEP_3) | instskip(NEXT) | instid1(VALU_DEP_3)
	v_ashrrev_i32_e32 v57, 31, v56
	v_ashrrev_i32_e32 v105, 31, v104
	s_delay_alu instid0(VALU_DEP_3) | instskip(NEXT) | instid1(VALU_DEP_3)
	v_lshlrev_b32_e32 v114, 2, v114
	v_lshlrev_b64_e32 v[56:57], 4, v[56:57]
	s_delay_alu instid0(VALU_DEP_3) | instskip(NEXT) | instid1(VALU_DEP_3)
	v_lshlrev_b64_e32 v[104:105], 4, v[104:105]
	v_ashrrev_i32_e32 v115, 31, v114
	s_wait_kmcnt 0x0
	s_delay_alu instid0(VALU_DEP_3)
	v_add_co_u32 v84, vcc_lo, s4, v56
	s_wait_alu 0xfffd
	v_add_co_ci_u32_e64 v85, null, s5, v57, vcc_lo
	v_add_co_u32 v108, vcc_lo, s4, v104
	s_wait_alu 0xfffd
	v_add_co_ci_u32_e64 v109, null, s5, v105, vcc_lo
	s_clause 0x1
	global_load_b128 v[56:59], v[84:85], off
	global_load_b128 v[60:63], v[84:85], off offset:16
	s_clause 0x3
	global_load_b128 v[64:67], v[36:37], off offset:48
	global_load_b128 v[68:71], v[36:37], off offset:16
	;; [unrolled: 1-line block ×4, first 2 shown]
	s_clause 0x1
	global_load_b128 v[80:83], v[84:85], off offset:32
	global_load_b128 v[84:87], v[84:85], off offset:48
	s_clause 0x3
	global_load_b128 v[88:91], v[36:37], off offset:2080
	global_load_b128 v[92:95], v[36:37], off offset:2048
	;; [unrolled: 1-line block ×4, first 2 shown]
	global_load_b128 v[104:107], v[108:109], off
	s_wait_loadcnt 0xc
	v_fma_f64 v[19:20], v[56:57], 0, v[19:20]
	v_fma_f64 v[28:29], v[56:57], 0, v[28:29]
	;; [unrolled: 1-line block ×16, first 2 shown]
	global_load_b128 v[15:18], v[108:109], off offset:16
	s_wait_loadcnt 0xc
	v_fma_f64 v[19:20], v[60:61], 0, v[19:20]
	v_fma_f64 v[28:29], v[60:61], 0, v[28:29]
	;; [unrolled: 1-line block ×16, first 2 shown]
	s_clause 0x3
	global_load_b128 v[22:25], v[36:37], off offset:2096
	global_load_b128 v[26:29], v[36:37], off offset:2064
	;; [unrolled: 1-line block ×5, first 2 shown]
	s_wait_loadcnt 0xc
	v_fma_f64 v[19:20], v[80:81], 0, v[19:20]
	v_fma_f64 v[52:53], v[80:81], 0, v[52:53]
	;; [unrolled: 1-line block ×16, first 2 shown]
	global_load_b128 v[52:55], v[108:109], off offset:48
	s_wait_loadcnt 0xc
	v_fma_f64 v[19:20], v[84:85], 0, v[19:20]
	v_fma_f64 v[64:65], v[84:85], 0, v[64:65]
	;; [unrolled: 1-line block ×8, first 2 shown]
	s_clause 0x3
	global_load_b128 v[56:59], v[36:37], off offset:4128
	global_load_b128 v[60:63], v[36:37], off offset:4096
	;; [unrolled: 1-line block ×4, first 2 shown]
	v_fma_f64 v[19:20], v[70:71], v[86:87], v[19:20]
	v_fma_f64 v[70:71], v[66:67], v[86:87], v[64:65]
	;; [unrolled: 1-line block ×8, first 2 shown]
	v_lshlrev_b64_e32 v[64:65], 4, v[114:115]
	s_delay_alu instid0(VALU_DEP_1) | instskip(SKIP_1) | instid1(VALU_DEP_2)
	v_add_co_u32 v112, vcc_lo, s4, v64
	s_wait_alu 0xfffd
	v_add_co_ci_u32_e64 v113, null, s5, v65, vcc_lo
	global_load_b128 v[64:67], v[112:113], off
	s_wait_loadcnt 0xc
	v_fma_f64 v[19:20], v[104:105], 0, v[19:20]
	v_fma_f64 v[70:71], v[104:105], 0, v[70:71]
	;; [unrolled: 1-line block ×16, first 2 shown]
	global_load_b128 v[68:71], v[112:113], off offset:16
	s_wait_loadcnt 0xc
	v_fma_f64 v[19:20], v[15:16], 0, v[19:20]
	v_fma_f64 v[84:85], v[15:16], 0, v[84:85]
	v_fma_f64 v[86:87], v[15:16], 0, v[86:87]
	v_fma_f64 v[72:73], v[94:95], v[15:16], v[72:73]
	v_fma_f64 v[30:31], v[90:91], v[15:16], v[30:31]
	v_fma_f64 v[76:77], v[102:103], v[15:16], v[76:77]
	v_fma_f64 v[78:79], v[98:99], v[15:16], v[78:79]
	v_fma_f64 v[15:16], v[15:16], 0, v[74:75]
	v_fma_f64 v[19:20], v[94:95], v[17:18], v[19:20]
	v_fma_f64 v[92:93], v[90:91], v[17:18], v[84:85]
	v_fma_f64 v[94:95], v[102:103], v[17:18], v[86:87]
	v_fma_f64 v[96:97], 0x80000000, v[17:18], v[72:73]
	v_fma_f64 v[30:31], 0x80000000, v[17:18], v[30:31]
	v_fma_f64 v[100:101], 0x80000000, v[17:18], v[76:77]
	v_fma_f64 v[102:103], 0x80000000, v[17:18], v[78:79]
	v_fma_f64 v[98:99], v[98:99], v[17:18], v[15:16]
	s_clause 0x3
	global_load_b128 v[15:18], v[36:37], off offset:4144
	global_load_b128 v[72:75], v[36:37], off offset:4112
	;; [unrolled: 1-line block ×5, first 2 shown]
	s_wait_loadcnt 0xc
	v_fma_f64 v[19:20], v[48:49], 0, v[19:20]
	v_fma_f64 v[92:93], v[48:49], 0, v[92:93]
	v_fma_f64 v[94:95], v[48:49], 0, v[94:95]
	v_fma_f64 v[96:97], v[26:27], v[48:49], v[96:97]
	v_fma_f64 v[30:31], v[22:23], v[48:49], v[30:31]
	v_fma_f64 v[100:101], v[44:45], v[48:49], v[100:101]
	v_fma_f64 v[102:103], v[40:41], v[48:49], v[102:103]
	v_fma_f64 v[48:49], v[48:49], 0, v[98:99]
	v_fma_f64 v[19:20], v[26:27], v[50:51], v[19:20]
	v_fma_f64 v[22:23], v[22:23], v[50:51], v[92:93]
	v_fma_f64 v[26:27], v[44:45], v[50:51], v[94:95]
	v_fma_f64 v[44:45], 0x80000000, v[50:51], v[96:97]
	v_fma_f64 v[30:31], 0x80000000, v[50:51], v[30:31]
	v_fma_f64 v[92:93], 0x80000000, v[50:51], v[100:101]
	v_fma_f64 v[94:95], 0x80000000, v[50:51], v[102:103]
	v_fma_f64 v[40:41], v[40:41], v[50:51], v[48:49]
	global_load_b128 v[48:51], v[112:113], off offset:48
	s_wait_loadcnt 0xc
	v_fma_f64 v[19:20], v[52:53], 0, v[19:20]
	v_fma_f64 v[22:23], v[52:53], 0, v[22:23]
	v_fma_f64 v[26:27], v[52:53], 0, v[26:27]
	v_fma_f64 v[44:45], v[28:29], v[52:53], v[44:45]
	v_fma_f64 v[30:31], v[24:25], v[52:53], v[30:31]
	v_fma_f64 v[112:113], v[46:47], v[52:53], v[92:93]
	v_fma_f64 v[114:115], v[42:43], v[52:53], v[94:95]
	v_fma_f64 v[40:41], v[52:53], 0, v[40:41]
	v_subrev_nc_u32_e32 v52, s12, v116
	s_clause 0x3
	global_load_b128 v[92:95], v[36:37], off offset:6176
	global_load_b128 v[96:99], v[36:37], off offset:6144
	;; [unrolled: 1-line block ×4, first 2 shown]
	v_lshlrev_b32_e32 v52, 2, v52
	s_delay_alu instid0(VALU_DEP_1)
	v_ashrrev_i32_e32 v53, 31, v52
	v_fma_f64 v[19:20], v[28:29], v[54:55], v[19:20]
	v_fma_f64 v[28:29], v[24:25], v[54:55], v[22:23]
	;; [unrolled: 1-line block ×8, first 2 shown]
	v_lshlrev_b64_e32 v[22:23], 4, v[52:53]
	s_delay_alu instid0(VALU_DEP_1) | instskip(SKIP_1) | instid1(VALU_DEP_2)
	v_add_co_u32 v114, vcc_lo, s4, v22
	s_wait_alu 0xfffd
	v_add_co_ci_u32_e64 v115, null, s5, v23, vcc_lo
	v_add_co_u32 v34, vcc_lo, v34, 64
	s_wait_alu 0xfffd
	v_add_co_ci_u32_e64 v35, null, 0, v35, vcc_lo
	global_load_b128 v[22:25], v[114:115], off
	s_wait_loadcnt 0xc
	v_fma_f64 v[19:20], v[64:65], 0, v[19:20]
	v_fma_f64 v[28:29], v[64:65], 0, v[28:29]
	;; [unrolled: 1-line block ×16, first 2 shown]
	global_load_b128 v[26:29], v[114:115], off offset:16
	s_wait_loadcnt 0xc
	v_fma_f64 v[19:20], v[68:69], 0, v[19:20]
	v_fma_f64 v[52:53], v[68:69], 0, v[52:53]
	;; [unrolled: 1-line block ×16, first 2 shown]
	s_clause 0x3
	global_load_b128 v[40:43], v[36:37], off offset:6192
	global_load_b128 v[44:47], v[36:37], off offset:6160
	;; [unrolled: 1-line block ×5, first 2 shown]
	v_add_co_u32 v36, vcc_lo, 0x2000, v36
	s_wait_alu 0xfffd
	v_add_co_ci_u32_e64 v37, null, 0, v37, vcc_lo
	v_cmp_ge_i64_e32 vcc_lo, v[34:35], v[11:12]
	s_wait_alu 0xfffe
	s_or_b32 s10, vcc_lo, s10
	s_wait_loadcnt 0xc
	v_fma_f64 v[19:20], v[88:89], 0, v[19:20]
	v_fma_f64 v[66:67], v[88:89], 0, v[66:67]
	;; [unrolled: 1-line block ×16, first 2 shown]
	global_load_b128 v[64:67], v[114:115], off offset:48
	s_wait_loadcnt 0xc
	v_fma_f64 v[19:20], v[48:49], 0, v[19:20]
	v_fma_f64 v[15:16], v[48:49], 0, v[15:16]
	v_fma_f64 v[72:73], v[48:49], 0, v[72:73]
	v_fma_f64 v[76:77], v[74:75], v[48:49], v[88:89]
	v_fma_f64 v[30:31], v[17:18], v[48:49], v[30:31]
	v_fma_f64 v[68:69], v[86:87], v[48:49], v[68:69]
	v_fma_f64 v[80:81], v[78:79], v[48:49], v[80:81]
	v_fma_f64 v[48:49], v[48:49], 0, v[70:71]
	v_fma_f64 v[19:20], v[74:75], v[50:51], v[19:20]
	v_fma_f64 v[15:16], v[17:18], v[50:51], v[15:16]
	v_fma_f64 v[70:71], 0x80000000, v[50:51], v[76:77]
	v_fma_f64 v[30:31], 0x80000000, v[50:51], v[30:31]
	v_fma_f64 v[17:18], 0x80000000, v[50:51], v[68:69]
	v_fma_f64 v[68:69], v[86:87], v[50:51], v[72:73]
	v_fma_f64 v[72:73], 0x80000000, v[50:51], v[80:81]
	v_fma_f64 v[48:49], v[78:79], v[50:51], v[48:49]
	s_wait_loadcnt 0x7
	v_fma_f64 v[19:20], v[22:23], 0, v[19:20]
	v_fma_f64 v[15:16], v[22:23], 0, v[15:16]
	v_fma_f64 v[50:51], v[96:97], v[22:23], v[70:71]
	v_fma_f64 v[30:31], v[92:93], v[22:23], v[30:31]
	v_fma_f64 v[17:18], v[104:105], v[22:23], v[17:18]
	v_fma_f64 v[68:69], v[22:23], 0, v[68:69]
	v_fma_f64 v[70:71], v[100:101], v[22:23], v[72:73]
	v_fma_f64 v[22:23], v[22:23], 0, v[48:49]
	v_fma_f64 v[19:20], v[96:97], v[24:25], v[19:20]
	v_fma_f64 v[15:16], v[92:93], v[24:25], v[15:16]
	v_fma_f64 v[48:49], 0x80000000, v[24:25], v[50:51]
	v_fma_f64 v[30:31], 0x80000000, v[24:25], v[30:31]
	v_fma_f64 v[17:18], 0x80000000, v[24:25], v[17:18]
	v_fma_f64 v[50:51], v[104:105], v[24:25], v[68:69]
	v_fma_f64 v[68:69], 0x80000000, v[24:25], v[70:71]
	v_fma_f64 v[22:23], v[100:101], v[24:25], v[22:23]
	;; [unrolled: 17-line block ×5, first 2 shown]
	s_wait_alu 0xfffe
	s_and_not1_b32 exec_lo, exec_lo, s10
	s_cbranch_execnz .LBB142_19
; %bb.20:
	s_or_b32 exec_lo, exec_lo, s10
.LBB142_21:
	s_wait_alu 0xfffe
	s_or_b32 exec_lo, exec_lo, s7
.LBB142_22:
	s_wait_alu 0xfffe
	s_or_b32 exec_lo, exec_lo, s6
	s_cbranch_execz .LBB142_24
	s_branch .LBB142_35
.LBB142_23:
                                        ; implicit-def: $vgpr19_vgpr20
                                        ; implicit-def: $vgpr22_vgpr23
                                        ; implicit-def: $vgpr28_vgpr29
                                        ; implicit-def: $vgpr30_vgpr31
                                        ; implicit-def: $vgpr26_vgpr27
                                        ; implicit-def: $vgpr24_vgpr25
                                        ; implicit-def: $vgpr17_vgpr18
                                        ; implicit-def: $vgpr15_vgpr16
.LBB142_24:
	v_mov_b32_e32 v28, 0
	v_dual_mov_b32 v26, 0 :: v_dual_mov_b32 v17, 0
	v_dual_mov_b32 v19, 0 :: v_dual_mov_b32 v22, 0
	;; [unrolled: 1-line block ×6, first 2 shown]
	v_mov_b32_e32 v31, 0
	v_dual_mov_b32 v25, 0 :: v_dual_mov_b32 v16, 0
	s_and_saveexec_b32 s3, s2
	s_cbranch_execz .LBB142_34
; %bb.25:
	v_or_b32_e32 v15, 16, v0
	v_not_b32_e32 v18, v32
	v_not_b32_e32 v17, v33
	v_mov_b32_e32 v24, 0
	v_dual_mov_b32 v25, 0 :: v_dual_mov_b32 v26, 0
	v_sub_co_u32 v15, s2, v15, s12
	s_wait_alu 0xf1ff
	v_sub_co_ci_u32_e64 v16, null, 0, 0, s2
	v_sub_co_u32 v19, s2, s12, v0
	s_delay_alu instid0(VALU_DEP_3) | instskip(SKIP_1) | instid1(VALU_DEP_3)
	v_add_co_u32 v15, vcc_lo, v15, v32
	s_wait_alu 0xfffd
	v_add_co_ci_u32_e64 v16, null, v16, v33, vcc_lo
	s_wait_alu 0xf1ff
	v_sub_co_ci_u32_e64 v22, null, 0, 0, s2
	v_add_co_u32 v18, s2, v19, v18
	s_delay_alu instid0(VALU_DEP_3)
	v_cmp_gt_i64_e32 vcc_lo, v[15:16], v[11:12]
	v_mov_b32_e32 v20, 0
	s_wait_alu 0xf1ff
	v_add_co_ci_u32_e64 v22, null, v22, v17, s2
	v_dual_mov_b32 v27, 0 :: v_dual_mov_b32 v28, 0
	s_wait_alu 0xfffd
	v_cndmask_b32_e32 v23, v11, v15, vcc_lo
	v_cndmask_b32_e32 v19, v12, v16, vcc_lo
	v_mov_b32_e32 v15, 0
	v_dual_mov_b32 v16, 0 :: v_dual_mov_b32 v29, 0
	s_delay_alu instid0(VALU_DEP_4) | instskip(SKIP_3) | instid1(VALU_DEP_3)
	v_add_co_u32 v32, vcc_lo, v18, v23
	s_wait_alu 0xfffd
	v_add_co_ci_u32_e64 v33, null, v22, v19, vcc_lo
	v_mov_b32_e32 v17, 0
	v_dual_mov_b32 v30, 0 :: v_dual_and_b32 v19, 48, v32
	v_dual_mov_b32 v31, 0 :: v_dual_mov_b32 v22, 0
	v_mov_b32_e32 v18, 0
	s_delay_alu instid0(VALU_DEP_3)
	v_cmp_ne_u64_e32 vcc_lo, 48, v[19:20]
	v_mov_b32_e32 v19, 0
	v_dual_mov_b32 v23, 0 :: v_dual_mov_b32 v20, 0
	s_and_saveexec_b32 s6, vcc_lo
	s_cbranch_execz .LBB142_29
; %bb.26:
	v_lshrrev_b32_e32 v17, 4, v32
	v_mov_b32_e32 v28, 0
	v_lshlrev_b64_e32 v[15:16], 2, v[9:10]
	v_dual_mov_b32 v30, 0 :: v_dual_mov_b32 v19, 0
	s_delay_alu instid0(VALU_DEP_4) | instskip(SKIP_1) | instid1(VALU_DEP_4)
	v_dual_mov_b32 v22, 0 :: v_dual_add_nc_u32 v17, 1, v17
	v_mov_b32_e32 v29, 0
	v_add_co_u32 v34, vcc_lo, s8, v15
	s_wait_alu 0xfffd
	v_add_co_ci_u32_e64 v35, null, s9, v16, vcc_lo
	v_dual_mov_b32 v31, 0 :: v_dual_and_b32 v36, 3, v17
	v_mov_b32_e32 v26, 0
	v_dual_mov_b32 v24, 0 :: v_dual_mov_b32 v17, 0
	s_delay_alu instid0(VALU_DEP_3)
	v_sub_co_u32 v36, s2, 0, v36
	v_dual_mov_b32 v15, 0 :: v_dual_mov_b32 v20, 0
	v_mov_b32_e32 v23, 0
	v_mov_b32_e32 v27, 0
	v_dual_mov_b32 v25, 0 :: v_dual_mov_b32 v18, 0
	v_mov_b32_e32 v16, 0
	s_wait_alu 0xf1ff
	v_sub_co_ci_u32_e64 v37, null, 0, 0, s2
	s_mov_b32 s7, 0
.LBB142_27:                             ; =>This Inner Loop Header: Depth=1
	global_load_b32 v46, v[34:35], off
	s_clause 0x1
	global_load_b128 v[38:41], v[13:14], off offset:16
	global_load_b128 v[42:45], v[13:14], off
	v_add_co_u32 v34, s2, v34, 64
	s_wait_alu 0xf1ff
	v_add_co_ci_u32_e64 v35, null, 0, v35, s2
	s_wait_loadcnt 0x2
	v_subrev_nc_u32_e32 v46, s12, v46
	s_delay_alu instid0(VALU_DEP_1) | instskip(NEXT) | instid1(VALU_DEP_1)
	v_lshlrev_b32_e32 v46, 2, v46
	v_ashrrev_i32_e32 v47, 31, v46
	s_delay_alu instid0(VALU_DEP_1) | instskip(SKIP_1) | instid1(VALU_DEP_1)
	v_lshlrev_b64_e32 v[46:47], 4, v[46:47]
	s_wait_kmcnt 0x0
	v_add_co_u32 v74, vcc_lo, s4, v46
	s_wait_alu 0xfffd
	s_delay_alu instid0(VALU_DEP_2)
	v_add_co_ci_u32_e64 v75, null, s5, v47, vcc_lo
	s_clause 0x1
	global_load_b128 v[46:49], v[74:75], off
	global_load_b128 v[50:53], v[74:75], off offset:16
	s_clause 0x3
	global_load_b128 v[54:57], v[13:14], off offset:32
	global_load_b128 v[58:61], v[13:14], off offset:48
	;; [unrolled: 1-line block ×4, first 2 shown]
	s_clause 0x1
	global_load_b128 v[70:73], v[74:75], off offset:32
	global_load_b128 v[74:77], v[74:75], off offset:48
	s_clause 0x1
	global_load_b128 v[78:81], v[13:14], off offset:96
	global_load_b128 v[82:85], v[13:14], off offset:112
	v_add_co_u32 v13, vcc_lo, 0x800, v13
	s_wait_alu 0xfffd
	v_add_co_ci_u32_e64 v14, null, 0, v14, vcc_lo
	v_add_co_u32 v36, vcc_lo, v36, 1
	s_wait_alu 0xfffd
	v_add_co_ci_u32_e64 v37, null, 0, v37, vcc_lo
	;; [unrolled: 3-line block ×3, first 2 shown]
	s_delay_alu instid0(VALU_DEP_3)
	v_cmp_eq_u64_e32 vcc_lo, 0, v[36:37]
	s_wait_alu 0xfffe
	s_or_b32 s7, vcc_lo, s7
	s_wait_loadcnt 0x9
	v_fma_f64 v[22:23], v[42:43], v[46:47], v[22:23]
	v_fma_f64 v[19:20], v[46:47], 0, v[19:20]
	;; [unrolled: 1-line block ×16, first 2 shown]
	s_wait_loadcnt 0x7
	v_fma_f64 v[22:23], v[54:55], v[50:51], v[22:23]
	v_fma_f64 v[19:20], v[50:51], 0, v[19:20]
	;; [unrolled: 1-line block ×4, first 2 shown]
	s_wait_loadcnt 0x6
	v_fma_f64 v[24:25], v[58:59], v[50:51], v[24:25]
	v_fma_f64 v[26:27], v[50:51], 0, v[26:27]
	;; [unrolled: 1-line block ×12, first 2 shown]
	s_wait_loadcnt 0x3
	v_fma_f64 v[22:23], v[66:67], v[70:71], v[22:23]
	v_fma_f64 v[19:20], v[70:71], 0, v[19:20]
	;; [unrolled: 1-line block ×16, first 2 shown]
	s_wait_loadcnt 0x1
	v_fma_f64 v[22:23], v[78:79], v[74:75], v[22:23]
	v_fma_f64 v[19:20], v[74:75], 0, v[19:20]
	;; [unrolled: 1-line block ×4, first 2 shown]
	s_wait_loadcnt 0x0
	v_fma_f64 v[24:25], v[82:83], v[74:75], v[24:25]
	v_fma_f64 v[26:27], v[74:75], 0, v[26:27]
	;; [unrolled: 1-line block ×12, first 2 shown]
	s_wait_alu 0xfffe
	s_and_not1_b32 exec_lo, exec_lo, s7
	s_cbranch_execnz .LBB142_27
; %bb.28:
	s_or_b32 exec_lo, exec_lo, s7
.LBB142_29:
	s_wait_alu 0xfffe
	s_or_b32 exec_lo, exec_lo, s6
	s_delay_alu instid0(SALU_CYCLE_1)
	s_mov_b32 s6, exec_lo
	v_cmpx_lt_u64_e32 47, v[32:33]
	s_cbranch_execz .LBB142_33
; %bb.30:
	v_lshlrev_b64_e32 v[32:33], 2, v[9:10]
	s_mov_b32 s7, 0
	s_delay_alu instid0(VALU_DEP_1) | instskip(SKIP_1) | instid1(VALU_DEP_2)
	v_add_co_u32 v32, vcc_lo, s8, v32
	s_wait_alu 0xfffd
	v_add_co_ci_u32_e64 v33, null, s9, v33, vcc_lo
	s_delay_alu instid0(VALU_DEP_2) | instskip(SKIP_1) | instid1(VALU_DEP_2)
	v_add_co_u32 v32, vcc_lo, 0x80, v32
	s_wait_alu 0xfffd
	v_add_co_ci_u32_e64 v33, null, 0, v33, vcc_lo
.LBB142_31:                             ; =>This Inner Loop Header: Depth=1
	s_clause 0x1
	global_load_b32 v42, v[32:33], off offset:-128
	global_load_b32 v90, v[32:33], off offset:-64
	s_clause 0x1
	global_load_b128 v[34:37], v[13:14], off offset:16
	global_load_b128 v[38:41], v[13:14], off
	s_clause 0x1
	global_load_b32 v100, v[32:33], off
	global_load_b32 v102, v[32:33], off offset:64
	v_add_co_u32 v32, s2, 0x100, v32
	s_wait_alu 0xf1ff
	v_add_co_ci_u32_e64 v33, null, 0, v33, s2
	s_wait_loadcnt 0x5
	v_subrev_nc_u32_e32 v42, s12, v42
	s_wait_loadcnt 0x4
	v_subrev_nc_u32_e32 v90, s12, v90
	s_wait_loadcnt 0x1
	v_subrev_nc_u32_e32 v100, s12, v100
	v_lshlrev_b32_e32 v42, 2, v42
	s_delay_alu instid0(VALU_DEP_3) | instskip(NEXT) | instid1(VALU_DEP_3)
	v_lshlrev_b32_e32 v90, 2, v90
	v_lshlrev_b32_e32 v100, 2, v100
	s_delay_alu instid0(VALU_DEP_3) | instskip(NEXT) | instid1(VALU_DEP_3)
	v_ashrrev_i32_e32 v43, 31, v42
	v_ashrrev_i32_e32 v91, 31, v90
	s_delay_alu instid0(VALU_DEP_3) | instskip(NEXT) | instid1(VALU_DEP_3)
	v_ashrrev_i32_e32 v101, 31, v100
	v_lshlrev_b64_e32 v[42:43], 4, v[42:43]
	s_delay_alu instid0(VALU_DEP_3) | instskip(SKIP_1) | instid1(VALU_DEP_2)
	v_lshlrev_b64_e32 v[90:91], 4, v[90:91]
	s_wait_kmcnt 0x0
	v_add_co_u32 v78, vcc_lo, s4, v42
	s_wait_alu 0xfffd
	s_delay_alu instid0(VALU_DEP_3) | instskip(NEXT) | instid1(VALU_DEP_3)
	v_add_co_ci_u32_e64 v79, null, s5, v43, vcc_lo
	v_add_co_u32 v94, vcc_lo, s4, v90
	s_wait_alu 0xfffd
	v_add_co_ci_u32_e64 v95, null, s5, v91, vcc_lo
	global_load_b128 v[42:45], v[78:79], off
	s_clause 0x1
	global_load_b128 v[46:49], v[13:14], off offset:32
	global_load_b128 v[50:53], v[13:14], off offset:48
	global_load_b128 v[54:57], v[78:79], off offset:16
	s_clause 0x1
	global_load_b128 v[58:61], v[13:14], off offset:80
	global_load_b128 v[62:65], v[13:14], off offset:64
	global_load_b128 v[66:69], v[78:79], off offset:32
	;; [unrolled: 4-line block ×3, first 2 shown]
	s_clause 0x1
	global_load_b128 v[82:85], v[13:14], off offset:2064
	global_load_b128 v[86:89], v[13:14], off offset:2048
	global_load_b128 v[90:93], v[94:95], off
	s_wait_loadcnt 0xc
	v_fma_f64 v[19:20], v[42:43], 0, v[19:20]
	v_fma_f64 v[28:29], v[42:43], 0, v[28:29]
	v_fma_f64 v[22:23], v[38:39], v[42:43], v[22:23]
	v_fma_f64 v[30:31], v[40:41], v[42:43], v[30:31]
	v_fma_f64 v[24:25], v[34:35], v[42:43], v[24:25]
	v_fma_f64 v[26:27], v[42:43], 0, v[26:27]
	v_fma_f64 v[15:16], v[36:37], v[42:43], v[15:16]
	v_fma_f64 v[17:18], v[42:43], 0, v[17:18]
	v_fma_f64 v[19:20], v[38:39], v[44:45], v[19:20]
	v_fma_f64 v[38:39], v[40:41], v[44:45], v[28:29]
	v_fma_f64 v[40:41], 0x80000000, v[44:45], v[22:23]
	v_fma_f64 v[30:31], 0x80000000, v[44:45], v[30:31]
	v_fma_f64 v[42:43], 0x80000000, v[44:45], v[24:25]
	v_fma_f64 v[34:35], v[34:35], v[44:45], v[26:27]
	v_fma_f64 v[96:97], 0x80000000, v[44:45], v[15:16]
	v_fma_f64 v[36:37], v[36:37], v[44:45], v[17:18]
	s_clause 0x1
	global_load_b128 v[15:18], v[13:14], off offset:2080
	global_load_b128 v[22:25], v[13:14], off offset:2096
	global_load_b128 v[26:29], v[94:95], off offset:16
	s_wait_loadcnt 0xc
	v_fma_f64 v[19:20], v[54:55], 0, v[19:20]
	v_fma_f64 v[38:39], v[54:55], 0, v[38:39]
	v_fma_f64 v[40:41], v[46:47], v[54:55], v[40:41]
	v_fma_f64 v[30:31], v[48:49], v[54:55], v[30:31]
	v_fma_f64 v[42:43], v[50:51], v[54:55], v[42:43]
	v_fma_f64 v[34:35], v[54:55], 0, v[34:35]
	v_fma_f64 v[44:45], v[52:53], v[54:55], v[96:97]
	v_fma_f64 v[36:37], v[54:55], 0, v[36:37]
	v_fma_f64 v[19:20], v[46:47], v[56:57], v[19:20]
	v_fma_f64 v[46:47], v[48:49], v[56:57], v[38:39]
	v_fma_f64 v[48:49], 0x80000000, v[56:57], v[40:41]
	v_fma_f64 v[30:31], 0x80000000, v[56:57], v[30:31]
	v_fma_f64 v[54:55], 0x80000000, v[56:57], v[42:43]
	v_fma_f64 v[50:51], v[50:51], v[56:57], v[34:35]
	v_fma_f64 v[96:97], 0x80000000, v[56:57], v[44:45]
	v_fma_f64 v[52:53], v[52:53], v[56:57], v[36:37]
	s_clause 0x1
	global_load_b128 v[34:37], v[13:14], off offset:2128
	global_load_b128 v[38:41], v[13:14], off offset:2112
	global_load_b128 v[42:45], v[94:95], off offset:32
	;; [unrolled: 21-line block ×3, first 2 shown]
	s_wait_loadcnt 0xc
	v_fma_f64 v[19:20], v[78:79], 0, v[19:20]
	v_fma_f64 v[68:69], v[78:79], 0, v[62:63]
	;; [unrolled: 1-line block ×8, first 2 shown]
	s_clause 0x1
	global_load_b128 v[58:61], v[13:14], off offset:4112
	global_load_b128 v[62:65], v[13:14], off offset:4096
	v_fma_f64 v[19:20], v[70:71], v[80:81], v[19:20]
	v_fma_f64 v[70:71], v[72:73], v[80:81], v[68:69]
	;; [unrolled: 1-line block ×8, first 2 shown]
	v_lshlrev_b64_e32 v[66:67], 4, v[100:101]
	s_delay_alu instid0(VALU_DEP_1) | instskip(SKIP_1) | instid1(VALU_DEP_2)
	v_add_co_u32 v98, vcc_lo, s4, v66
	s_wait_alu 0xfffd
	v_add_co_ci_u32_e64 v99, null, s5, v67, vcc_lo
	global_load_b128 v[66:69], v[98:99], off
	s_wait_loadcnt 0xc
	v_fma_f64 v[19:20], v[90:91], 0, v[19:20]
	v_fma_f64 v[70:71], v[90:91], 0, v[70:71]
	v_fma_f64 v[72:73], v[86:87], v[90:91], v[72:73]
	v_fma_f64 v[30:31], v[88:89], v[90:91], v[30:31]
	v_fma_f64 v[78:79], v[82:83], v[90:91], v[94:95]
	v_fma_f64 v[74:75], v[90:91], 0, v[74:75]
	v_fma_f64 v[80:81], v[84:85], v[90:91], v[96:97]
	v_fma_f64 v[76:77], v[90:91], 0, v[76:77]
	v_fma_f64 v[19:20], v[86:87], v[92:93], v[19:20]
	v_fma_f64 v[86:87], v[88:89], v[92:93], v[70:71]
	v_fma_f64 v[88:89], 0x80000000, v[92:93], v[72:73]
	v_fma_f64 v[30:31], 0x80000000, v[92:93], v[30:31]
	v_fma_f64 v[90:91], 0x80000000, v[92:93], v[78:79]
	v_fma_f64 v[82:83], v[82:83], v[92:93], v[74:75]
	v_fma_f64 v[94:95], 0x80000000, v[92:93], v[80:81]
	v_fma_f64 v[84:85], v[84:85], v[92:93], v[76:77]
	s_clause 0x1
	global_load_b128 v[70:73], v[13:14], off offset:4128
	global_load_b128 v[74:77], v[13:14], off offset:4144
	global_load_b128 v[78:81], v[98:99], off offset:16
	s_wait_loadcnt 0xc
	v_fma_f64 v[19:20], v[26:27], 0, v[19:20]
	v_fma_f64 v[86:87], v[26:27], 0, v[86:87]
	v_fma_f64 v[88:89], v[15:16], v[26:27], v[88:89]
	v_fma_f64 v[30:31], v[17:18], v[26:27], v[30:31]
	v_fma_f64 v[90:91], v[22:23], v[26:27], v[90:91]
	v_fma_f64 v[82:83], v[26:27], 0, v[82:83]
	v_fma_f64 v[92:93], v[24:25], v[26:27], v[94:95]
	v_fma_f64 v[26:27], v[26:27], 0, v[84:85]
	v_fma_f64 v[19:20], v[15:16], v[28:29], v[19:20]
	v_fma_f64 v[84:85], v[17:18], v[28:29], v[86:87]
	v_fma_f64 v[86:87], 0x80000000, v[28:29], v[88:89]
	v_fma_f64 v[30:31], 0x80000000, v[28:29], v[30:31]
	v_fma_f64 v[88:89], 0x80000000, v[28:29], v[90:91]
	v_fma_f64 v[82:83], v[22:23], v[28:29], v[82:83]
	v_fma_f64 v[90:91], 0x80000000, v[28:29], v[92:93]
	v_fma_f64 v[92:93], v[24:25], v[28:29], v[26:27]
	s_clause 0x1
	global_load_b128 v[15:18], v[13:14], off offset:4176
	global_load_b128 v[22:25], v[13:14], off offset:4160
	global_load_b128 v[26:29], v[98:99], off offset:32
	;; [unrolled: 21-line block ×3, first 2 shown]
	s_wait_loadcnt 0xc
	v_fma_f64 v[19:20], v[54:55], 0, v[19:20]
	v_fma_f64 v[94:95], v[54:55], 0, v[84:85]
	;; [unrolled: 1-line block ×8, first 2 shown]
	v_subrev_nc_u32_e32 v92, s12, v102
	s_clause 0x1
	global_load_b128 v[82:85], v[13:14], off offset:6160
	global_load_b128 v[86:89], v[13:14], off offset:6144
	v_lshlrev_b32_e32 v92, 2, v92
	s_delay_alu instid0(VALU_DEP_1)
	v_ashrrev_i32_e32 v93, 31, v92
	v_fma_f64 v[19:20], v[46:47], v[56:57], v[19:20]
	v_fma_f64 v[94:95], v[48:49], v[56:57], v[94:95]
	;; [unrolled: 1-line block ×8, first 2 shown]
	v_lshlrev_b64_e32 v[46:47], 4, v[92:93]
	s_delay_alu instid0(VALU_DEP_1) | instskip(SKIP_1) | instid1(VALU_DEP_2)
	v_add_co_u32 v92, vcc_lo, s4, v46
	s_wait_alu 0xfffd
	v_add_co_ci_u32_e64 v93, null, s5, v47, vcc_lo
	v_add_co_u32 v9, vcc_lo, v9, 64
	s_wait_alu 0xfffd
	v_add_co_ci_u32_e64 v10, null, 0, v10, vcc_lo
	global_load_b128 v[46:49], v[92:93], off
	s_wait_loadcnt 0xc
	v_fma_f64 v[19:20], v[66:67], 0, v[19:20]
	v_fma_f64 v[56:57], v[66:67], 0, v[94:95]
	v_fma_f64 v[54:55], v[62:63], v[66:67], v[96:97]
	v_fma_f64 v[30:31], v[64:65], v[66:67], v[30:31]
	v_fma_f64 v[94:95], v[58:59], v[66:67], v[98:99]
	v_fma_f64 v[50:51], v[66:67], 0, v[50:51]
	v_fma_f64 v[90:91], v[60:61], v[66:67], v[90:91]
	v_fma_f64 v[52:53], v[66:67], 0, v[52:53]
	v_fma_f64 v[19:20], v[62:63], v[68:69], v[19:20]
	v_fma_f64 v[62:63], v[64:65], v[68:69], v[56:57]
	v_fma_f64 v[66:67], 0x80000000, v[68:69], v[54:55]
	v_fma_f64 v[30:31], 0x80000000, v[68:69], v[30:31]
	v_fma_f64 v[64:65], 0x80000000, v[68:69], v[94:95]
	v_fma_f64 v[94:95], v[58:59], v[68:69], v[50:51]
	v_fma_f64 v[90:91], 0x80000000, v[68:69], v[90:91]
	v_fma_f64 v[68:69], v[60:61], v[68:69], v[52:53]
	s_clause 0x1
	global_load_b128 v[50:53], v[13:14], off offset:6176
	global_load_b128 v[54:57], v[13:14], off offset:6192
	global_load_b128 v[58:61], v[92:93], off offset:16
	s_wait_loadcnt 0xc
	v_fma_f64 v[19:20], v[78:79], 0, v[19:20]
	v_fma_f64 v[62:63], v[78:79], 0, v[62:63]
	v_fma_f64 v[66:67], v[70:71], v[78:79], v[66:67]
	v_fma_f64 v[30:31], v[72:73], v[78:79], v[30:31]
	v_fma_f64 v[64:65], v[74:75], v[78:79], v[64:65]
	v_fma_f64 v[94:95], v[78:79], 0, v[94:95]
	v_fma_f64 v[90:91], v[76:77], v[78:79], v[90:91]
	v_fma_f64 v[68:69], v[78:79], 0, v[68:69]
	v_fma_f64 v[19:20], v[70:71], v[80:81], v[19:20]
	v_fma_f64 v[96:97], v[72:73], v[80:81], v[62:63]
	v_fma_f64 v[78:79], 0x80000000, v[80:81], v[66:67]
	v_fma_f64 v[30:31], 0x80000000, v[80:81], v[30:31]
	v_fma_f64 v[98:99], 0x80000000, v[80:81], v[64:65]
	v_fma_f64 v[74:75], v[74:75], v[80:81], v[94:95]
	v_fma_f64 v[90:91], 0x80000000, v[80:81], v[90:91]
	v_fma_f64 v[76:77], v[76:77], v[80:81], v[68:69]
	s_clause 0x1
	global_load_b128 v[62:65], v[13:14], off offset:6224
	global_load_b128 v[66:69], v[13:14], off offset:6208
	global_load_b128 v[70:73], v[92:93], off offset:32
	;; [unrolled: 21-line block ×3, first 2 shown]
	v_add_co_u32 v13, vcc_lo, 0x2000, v13
	s_wait_alu 0xfffd
	v_add_co_ci_u32_e64 v14, null, 0, v14, vcc_lo
	v_cmp_ge_i64_e32 vcc_lo, v[9:10], v[11:12]
	s_wait_alu 0xfffe
	s_or_b32 s7, vcc_lo, s7
	s_wait_loadcnt 0xc
	v_fma_f64 v[19:20], v[42:43], 0, v[19:20]
	v_fma_f64 v[24:25], v[42:43], 0, v[24:25]
	v_fma_f64 v[28:29], v[34:35], v[42:43], v[96:97]
	v_fma_f64 v[22:23], v[36:37], v[42:43], v[22:23]
	v_fma_f64 v[30:31], v[38:39], v[42:43], v[30:31]
	v_fma_f64 v[92:93], v[42:43], 0, v[94:95]
	v_fma_f64 v[90:91], v[40:41], v[42:43], v[90:91]
	v_fma_f64 v[26:27], v[42:43], 0, v[26:27]
	v_fma_f64 v[19:20], v[34:35], v[44:45], v[19:20]
	v_fma_f64 v[24:25], v[36:37], v[44:45], v[24:25]
	v_fma_f64 v[28:29], 0x80000000, v[44:45], v[28:29]
	v_fma_f64 v[22:23], 0x80000000, v[44:45], v[22:23]
	v_fma_f64 v[30:31], 0x80000000, v[44:45], v[30:31]
	v_fma_f64 v[34:35], v[38:39], v[44:45], v[92:93]
	v_fma_f64 v[36:37], 0x80000000, v[44:45], v[90:91]
	v_fma_f64 v[26:27], v[40:41], v[44:45], v[26:27]
	s_wait_loadcnt 0x9
	v_fma_f64 v[19:20], v[46:47], 0, v[19:20]
	v_fma_f64 v[24:25], v[46:47], 0, v[24:25]
	v_fma_f64 v[28:29], v[86:87], v[46:47], v[28:29]
	v_fma_f64 v[22:23], v[88:89], v[46:47], v[22:23]
	v_fma_f64 v[30:31], v[82:83], v[46:47], v[30:31]
	v_fma_f64 v[34:35], v[46:47], 0, v[34:35]
	v_fma_f64 v[36:37], v[84:85], v[46:47], v[36:37]
	v_fma_f64 v[26:27], v[46:47], 0, v[26:27]
	v_fma_f64 v[19:20], v[86:87], v[48:49], v[19:20]
	v_fma_f64 v[24:25], v[88:89], v[48:49], v[24:25]
	v_fma_f64 v[28:29], 0x80000000, v[48:49], v[28:29]
	v_fma_f64 v[22:23], 0x80000000, v[48:49], v[22:23]
	v_fma_f64 v[30:31], 0x80000000, v[48:49], v[30:31]
	v_fma_f64 v[34:35], v[82:83], v[48:49], v[34:35]
	v_fma_f64 v[36:37], 0x80000000, v[48:49], v[36:37]
	v_fma_f64 v[26:27], v[84:85], v[48:49], v[26:27]
	;; [unrolled: 17-line block ×5, first 2 shown]
	s_wait_alu 0xfffe
	s_and_not1_b32 exec_lo, exec_lo, s7
	s_cbranch_execnz .LBB142_31
; %bb.32:
	s_or_b32 exec_lo, exec_lo, s7
.LBB142_33:
	s_wait_alu 0xfffe
	s_or_b32 exec_lo, exec_lo, s6
.LBB142_34:
	s_wait_alu 0xfffe
	s_or_b32 exec_lo, exec_lo, s3
.LBB142_35:
	v_mbcnt_lo_u32_b32 v42, -1, 0
	s_delay_alu instid0(VALU_DEP_1) | instskip(NEXT) | instid1(VALU_DEP_1)
	v_xor_b32_e32 v9, 8, v42
	v_cmp_gt_i32_e32 vcc_lo, 32, v9
	s_wait_alu 0xfffd
	v_cndmask_b32_e32 v9, v42, v9, vcc_lo
	s_delay_alu instid0(VALU_DEP_1)
	v_lshlrev_b32_e32 v41, 2, v9
	ds_bpermute_b32 v9, v41, v22
	ds_bpermute_b32 v10, v41, v23
	;; [unrolled: 1-line block ×6, first 2 shown]
	s_wait_dscnt 0x4
	v_add_f64_e32 v[9:10], v[22:23], v[9:10]
	s_wait_dscnt 0x2
	v_add_f64_e32 v[22:23], v[24:25], v[34:35]
	;; [unrolled: 2-line block ×3, first 2 shown]
	v_xor_b32_e32 v26, 4, v42
	s_delay_alu instid0(VALU_DEP_1)
	v_cmp_gt_i32_e32 vcc_lo, 32, v26
	s_wait_alu 0xfffd
	v_cndmask_b32_e32 v26, v42, v26, vcc_lo
	ds_bpermute_b32 v11, v41, v19
	ds_bpermute_b32 v12, v41, v20
	ds_bpermute_b32 v13, v41, v30
	ds_bpermute_b32 v14, v41, v31
	ds_bpermute_b32 v32, v41, v28
	ds_bpermute_b32 v33, v41, v29
	ds_bpermute_b32 v38, v41, v15
	ds_bpermute_b32 v39, v41, v16
	ds_bpermute_b32 v40, v41, v17
	ds_bpermute_b32 v41, v41, v18
	s_wait_dscnt 0x8
	v_add_f64_e32 v[11:12], v[19:20], v[11:12]
	s_wait_dscnt 0x6
	v_add_f64_e32 v[13:14], v[30:31], v[13:14]
	s_wait_dscnt 0x4
	v_add_f64_e32 v[19:20], v[28:29], v[32:33]
	s_wait_dscnt 0x2
	v_add_f64_e32 v[15:16], v[15:16], v[38:39]
	s_wait_dscnt 0x0
	v_add_f64_e32 v[17:18], v[17:18], v[40:41]
	v_lshlrev_b32_e32 v41, 2, v26
	ds_bpermute_b32 v26, v41, v9
	ds_bpermute_b32 v27, v41, v10
	;; [unrolled: 1-line block ×4, first 2 shown]
	s_wait_dscnt 0x2
	v_add_f64_e32 v[9:10], v[9:10], v[26:27]
	s_wait_dscnt 0x0
	v_add_f64_e32 v[26:27], v[24:25], v[36:37]
	v_xor_b32_e32 v24, 2, v42
	s_delay_alu instid0(VALU_DEP_1)
	v_cmp_gt_i32_e32 vcc_lo, 32, v24
	s_wait_alu 0xfffd
	v_cndmask_b32_e32 v24, v42, v24, vcc_lo
	ds_bpermute_b32 v28, v41, v11
	ds_bpermute_b32 v29, v41, v12
	;; [unrolled: 1-line block ×12, first 2 shown]
	s_wait_dscnt 0xa
	v_add_f64_e32 v[11:12], v[11:12], v[28:29]
	s_wait_dscnt 0x8
	v_add_f64_e32 v[13:14], v[13:14], v[30:31]
	;; [unrolled: 2-line block ×6, first 2 shown]
	v_lshlrev_b32_e32 v41, 2, v24
	ds_bpermute_b32 v28, v41, v11
	ds_bpermute_b32 v29, v41, v12
	;; [unrolled: 1-line block ×6, first 2 shown]
	s_wait_dscnt 0x4
	v_add_f64_e32 v[28:29], v[11:12], v[28:29]
	s_wait_dscnt 0x2
	v_add_f64_e32 v[11:12], v[13:14], v[30:31]
	s_wait_dscnt 0x0
	v_add_f64_e32 v[13:14], v[22:23], v[34:35]
	v_xor_b32_e32 v22, 1, v42
	s_delay_alu instid0(VALU_DEP_1)
	v_cmp_gt_i32_e32 vcc_lo, 32, v22
	s_wait_alu 0xfffd
	v_cndmask_b32_e32 v22, v42, v22, vcc_lo
	ds_bpermute_b32 v24, v41, v9
	ds_bpermute_b32 v25, v41, v10
	;; [unrolled: 1-line block ×10, first 2 shown]
	v_lshlrev_b32_e32 v35, 2, v22
	v_cmp_eq_u32_e32 vcc_lo, 15, v0
	s_wait_dscnt 0x8
	v_add_f64_e32 v[9:10], v[9:10], v[24:25]
	s_wait_dscnt 0x6
	v_add_f64_e32 v[24:25], v[19:20], v[32:33]
	;; [unrolled: 2-line block ×3, first 2 shown]
	ds_bpermute_b32 v26, v35, v11
	s_wait_dscnt 0x3
	v_add_f64_e32 v[15:16], v[15:16], v[38:39]
	ds_bpermute_b32 v27, v35, v12
	s_wait_dscnt 0x2
	v_add_f64_e32 v[17:18], v[17:18], v[40:41]
	ds_bpermute_b32 v40, v35, v28
	ds_bpermute_b32 v41, v35, v29
	;; [unrolled: 1-line block ×14, first 2 shown]
	s_and_b32 exec_lo, exec_lo, vcc_lo
	s_cbranch_execz .LBB142_8
; %bb.36:
	s_wait_dscnt 0xc
	v_add_f64_e32 v[28:29], v[28:29], v[40:41]
	s_wait_dscnt 0x6
	v_add_f64_e32 v[24:25], v[24:25], v[38:39]
	;; [unrolled: 2-line block ×4, first 2 shown]
	v_add_f64_e32 v[9:10], v[9:10], v[22:23]
	v_add_f64_e32 v[11:12], v[11:12], v[26:27]
	;; [unrolled: 1-line block ×4, first 2 shown]
	v_cmp_eq_f64_e32 vcc_lo, 0, v[1:2]
	v_cmp_eq_f64_e64 s2, 0, v[3:4]
	s_load_b64 s[0:1], s[0:1], 0x60
	v_lshlrev_b32_e32 v21, 2, v21
	v_mul_f64_e64 v[13:14], v[28:29], -v[7:8]
	v_mul_f64_e32 v[15:16], v[5:6], v[28:29]
	v_mul_f64_e64 v[28:29], v[24:25], -v[7:8]
	v_mul_f64_e32 v[24:25], v[5:6], v[24:25]
	;; [unrolled: 2-line block ×4, first 2 shown]
	s_and_b32 s2, vcc_lo, s2
	v_fma_f64 v[17:18], v[5:6], v[9:10], v[13:14]
	v_fma_f64 v[19:20], v[7:8], v[9:10], v[15:16]
	;; [unrolled: 1-line block ×8, first 2 shown]
	s_wait_alu 0xfffe
	s_and_saveexec_b32 s3, s2
	s_wait_alu 0xfffe
	s_xor_b32 s2, exec_lo, s3
	s_cbranch_execz .LBB142_38
; %bb.37:
	v_ashrrev_i32_e32 v22, 31, v21
	s_delay_alu instid0(VALU_DEP_1) | instskip(SKIP_1) | instid1(VALU_DEP_1)
	v_lshlrev_b64_e32 v[0:1], 4, v[21:22]
                                        ; implicit-def: $vgpr21
	s_wait_kmcnt 0x0
	v_add_co_u32 v0, vcc_lo, s0, v0
	s_wait_alu 0xfffd
	s_delay_alu instid0(VALU_DEP_2)
	v_add_co_ci_u32_e64 v1, null, s1, v1, vcc_lo
	s_clause 0x3
	global_store_b128 v[0:1], v[17:20], off
	global_store_b128 v[0:1], v[13:16], off offset:16
	global_store_b128 v[0:1], v[9:12], off offset:32
	;; [unrolled: 1-line block ×3, first 2 shown]
                                        ; implicit-def: $vgpr3_vgpr4
                                        ; implicit-def: $vgpr17_vgpr18
                                        ; implicit-def: $vgpr13_vgpr14
                                        ; implicit-def: $vgpr9_vgpr10
                                        ; implicit-def: $vgpr5_vgpr6
.LBB142_38:
	s_wait_alu 0xfffe
	s_and_not1_saveexec_b32 s2, s2
	s_cbranch_execz .LBB142_8
; %bb.39:
	v_ashrrev_i32_e32 v22, 31, v21
	s_delay_alu instid0(VALU_DEP_1) | instskip(SKIP_1) | instid1(VALU_DEP_1)
	v_lshlrev_b64_e32 v[21:22], 4, v[21:22]
	s_wait_kmcnt 0x0
	v_add_co_u32 v37, vcc_lo, s0, v21
	s_wait_alu 0xfffd
	s_delay_alu instid0(VALU_DEP_2)
	v_add_co_ci_u32_e64 v38, null, s1, v22, vcc_lo
	s_clause 0x3
	global_load_b128 v[21:24], v[37:38], off
	global_load_b128 v[25:28], v[37:38], off offset:16
	global_load_b128 v[29:32], v[37:38], off offset:32
	;; [unrolled: 1-line block ×3, first 2 shown]
	s_wait_loadcnt 0x3
	v_fma_f64 v[17:18], v[1:2], v[21:22], v[17:18]
	v_fma_f64 v[19:20], v[3:4], v[21:22], v[19:20]
	s_wait_loadcnt 0x2
	v_fma_f64 v[13:14], v[1:2], v[25:26], v[13:14]
	v_fma_f64 v[15:16], v[3:4], v[25:26], v[15:16]
	;; [unrolled: 3-line block ×4, first 2 shown]
	v_fma_f64 v[5:6], -v[3:4], v[23:24], v[17:18]
	v_fma_f64 v[7:8], v[1:2], v[23:24], v[19:20]
	v_fma_f64 v[9:10], -v[3:4], v[27:28], v[13:14]
	v_fma_f64 v[11:12], v[1:2], v[27:28], v[15:16]
	;; [unrolled: 2-line block ×4, first 2 shown]
	s_clause 0x3
	global_store_b128 v[37:38], v[5:8], off
	global_store_b128 v[37:38], v[9:12], off offset:16
	global_store_b128 v[37:38], v[13:16], off offset:32
	;; [unrolled: 1-line block ×3, first 2 shown]
	s_nop 0
	s_sendmsg sendmsg(MSG_DEALLOC_VGPRS)
	s_endpgm
	.section	.rodata,"a",@progbits
	.p2align	6, 0x0
	.amdhsa_kernel _ZN9rocsparseL18bsrxmvn_4x4_kernelILj128ELj16E21rocsparse_complex_numIdElidS2_S2_EEvT3_20rocsparse_direction_NS_24const_host_device_scalarIT1_EES3_PKS3_PKT2_SC_S9_PKT4_PKT5_S7_PT6_21rocsparse_index_base_b
		.amdhsa_group_segment_fixed_size 0
		.amdhsa_private_segment_fixed_size 0
		.amdhsa_kernarg_size 112
		.amdhsa_user_sgpr_count 2
		.amdhsa_user_sgpr_dispatch_ptr 0
		.amdhsa_user_sgpr_queue_ptr 0
		.amdhsa_user_sgpr_kernarg_segment_ptr 1
		.amdhsa_user_sgpr_dispatch_id 0
		.amdhsa_user_sgpr_private_segment_size 0
		.amdhsa_wavefront_size32 1
		.amdhsa_uses_dynamic_stack 0
		.amdhsa_enable_private_segment 0
		.amdhsa_system_sgpr_workgroup_id_x 1
		.amdhsa_system_sgpr_workgroup_id_y 0
		.amdhsa_system_sgpr_workgroup_id_z 0
		.amdhsa_system_sgpr_workgroup_info 0
		.amdhsa_system_vgpr_workitem_id 0
		.amdhsa_next_free_vgpr 117
		.amdhsa_next_free_sgpr 14
		.amdhsa_reserve_vcc 1
		.amdhsa_float_round_mode_32 0
		.amdhsa_float_round_mode_16_64 0
		.amdhsa_float_denorm_mode_32 3
		.amdhsa_float_denorm_mode_16_64 3
		.amdhsa_fp16_overflow 0
		.amdhsa_workgroup_processor_mode 1
		.amdhsa_memory_ordered 1
		.amdhsa_forward_progress 1
		.amdhsa_inst_pref_size 93
		.amdhsa_round_robin_scheduling 0
		.amdhsa_exception_fp_ieee_invalid_op 0
		.amdhsa_exception_fp_denorm_src 0
		.amdhsa_exception_fp_ieee_div_zero 0
		.amdhsa_exception_fp_ieee_overflow 0
		.amdhsa_exception_fp_ieee_underflow 0
		.amdhsa_exception_fp_ieee_inexact 0
		.amdhsa_exception_int_div_zero 0
	.end_amdhsa_kernel
	.section	.text._ZN9rocsparseL18bsrxmvn_4x4_kernelILj128ELj16E21rocsparse_complex_numIdElidS2_S2_EEvT3_20rocsparse_direction_NS_24const_host_device_scalarIT1_EES3_PKS3_PKT2_SC_S9_PKT4_PKT5_S7_PT6_21rocsparse_index_base_b,"axG",@progbits,_ZN9rocsparseL18bsrxmvn_4x4_kernelILj128ELj16E21rocsparse_complex_numIdElidS2_S2_EEvT3_20rocsparse_direction_NS_24const_host_device_scalarIT1_EES3_PKS3_PKT2_SC_S9_PKT4_PKT5_S7_PT6_21rocsparse_index_base_b,comdat
.Lfunc_end142:
	.size	_ZN9rocsparseL18bsrxmvn_4x4_kernelILj128ELj16E21rocsparse_complex_numIdElidS2_S2_EEvT3_20rocsparse_direction_NS_24const_host_device_scalarIT1_EES3_PKS3_PKT2_SC_S9_PKT4_PKT5_S7_PT6_21rocsparse_index_base_b, .Lfunc_end142-_ZN9rocsparseL18bsrxmvn_4x4_kernelILj128ELj16E21rocsparse_complex_numIdElidS2_S2_EEvT3_20rocsparse_direction_NS_24const_host_device_scalarIT1_EES3_PKS3_PKT2_SC_S9_PKT4_PKT5_S7_PT6_21rocsparse_index_base_b
                                        ; -- End function
	.set _ZN9rocsparseL18bsrxmvn_4x4_kernelILj128ELj16E21rocsparse_complex_numIdElidS2_S2_EEvT3_20rocsparse_direction_NS_24const_host_device_scalarIT1_EES3_PKS3_PKT2_SC_S9_PKT4_PKT5_S7_PT6_21rocsparse_index_base_b.num_vgpr, 117
	.set _ZN9rocsparseL18bsrxmvn_4x4_kernelILj128ELj16E21rocsparse_complex_numIdElidS2_S2_EEvT3_20rocsparse_direction_NS_24const_host_device_scalarIT1_EES3_PKS3_PKT2_SC_S9_PKT4_PKT5_S7_PT6_21rocsparse_index_base_b.num_agpr, 0
	.set _ZN9rocsparseL18bsrxmvn_4x4_kernelILj128ELj16E21rocsparse_complex_numIdElidS2_S2_EEvT3_20rocsparse_direction_NS_24const_host_device_scalarIT1_EES3_PKS3_PKT2_SC_S9_PKT4_PKT5_S7_PT6_21rocsparse_index_base_b.numbered_sgpr, 14
	.set _ZN9rocsparseL18bsrxmvn_4x4_kernelILj128ELj16E21rocsparse_complex_numIdElidS2_S2_EEvT3_20rocsparse_direction_NS_24const_host_device_scalarIT1_EES3_PKS3_PKT2_SC_S9_PKT4_PKT5_S7_PT6_21rocsparse_index_base_b.num_named_barrier, 0
	.set _ZN9rocsparseL18bsrxmvn_4x4_kernelILj128ELj16E21rocsparse_complex_numIdElidS2_S2_EEvT3_20rocsparse_direction_NS_24const_host_device_scalarIT1_EES3_PKS3_PKT2_SC_S9_PKT4_PKT5_S7_PT6_21rocsparse_index_base_b.private_seg_size, 0
	.set _ZN9rocsparseL18bsrxmvn_4x4_kernelILj128ELj16E21rocsparse_complex_numIdElidS2_S2_EEvT3_20rocsparse_direction_NS_24const_host_device_scalarIT1_EES3_PKS3_PKT2_SC_S9_PKT4_PKT5_S7_PT6_21rocsparse_index_base_b.uses_vcc, 1
	.set _ZN9rocsparseL18bsrxmvn_4x4_kernelILj128ELj16E21rocsparse_complex_numIdElidS2_S2_EEvT3_20rocsparse_direction_NS_24const_host_device_scalarIT1_EES3_PKS3_PKT2_SC_S9_PKT4_PKT5_S7_PT6_21rocsparse_index_base_b.uses_flat_scratch, 0
	.set _ZN9rocsparseL18bsrxmvn_4x4_kernelILj128ELj16E21rocsparse_complex_numIdElidS2_S2_EEvT3_20rocsparse_direction_NS_24const_host_device_scalarIT1_EES3_PKS3_PKT2_SC_S9_PKT4_PKT5_S7_PT6_21rocsparse_index_base_b.has_dyn_sized_stack, 0
	.set _ZN9rocsparseL18bsrxmvn_4x4_kernelILj128ELj16E21rocsparse_complex_numIdElidS2_S2_EEvT3_20rocsparse_direction_NS_24const_host_device_scalarIT1_EES3_PKS3_PKT2_SC_S9_PKT4_PKT5_S7_PT6_21rocsparse_index_base_b.has_recursion, 0
	.set _ZN9rocsparseL18bsrxmvn_4x4_kernelILj128ELj16E21rocsparse_complex_numIdElidS2_S2_EEvT3_20rocsparse_direction_NS_24const_host_device_scalarIT1_EES3_PKS3_PKT2_SC_S9_PKT4_PKT5_S7_PT6_21rocsparse_index_base_b.has_indirect_call, 0
	.section	.AMDGPU.csdata,"",@progbits
; Kernel info:
; codeLenInByte = 11784
; TotalNumSgprs: 16
; NumVgprs: 117
; ScratchSize: 0
; MemoryBound: 0
; FloatMode: 240
; IeeeMode: 1
; LDSByteSize: 0 bytes/workgroup (compile time only)
; SGPRBlocks: 0
; VGPRBlocks: 14
; NumSGPRsForWavesPerEU: 16
; NumVGPRsForWavesPerEU: 117
; Occupancy: 12
; WaveLimiterHint : 1
; COMPUTE_PGM_RSRC2:SCRATCH_EN: 0
; COMPUTE_PGM_RSRC2:USER_SGPR: 2
; COMPUTE_PGM_RSRC2:TRAP_HANDLER: 0
; COMPUTE_PGM_RSRC2:TGID_X_EN: 1
; COMPUTE_PGM_RSRC2:TGID_Y_EN: 0
; COMPUTE_PGM_RSRC2:TGID_Z_EN: 0
; COMPUTE_PGM_RSRC2:TIDIG_COMP_CNT: 0
	.section	.text._ZN9rocsparseL18bsrxmvn_4x4_kernelILj128ELj32E21rocsparse_complex_numIdElidS2_S2_EEvT3_20rocsparse_direction_NS_24const_host_device_scalarIT1_EES3_PKS3_PKT2_SC_S9_PKT4_PKT5_S7_PT6_21rocsparse_index_base_b,"axG",@progbits,_ZN9rocsparseL18bsrxmvn_4x4_kernelILj128ELj32E21rocsparse_complex_numIdElidS2_S2_EEvT3_20rocsparse_direction_NS_24const_host_device_scalarIT1_EES3_PKS3_PKT2_SC_S9_PKT4_PKT5_S7_PT6_21rocsparse_index_base_b,comdat
	.globl	_ZN9rocsparseL18bsrxmvn_4x4_kernelILj128ELj32E21rocsparse_complex_numIdElidS2_S2_EEvT3_20rocsparse_direction_NS_24const_host_device_scalarIT1_EES3_PKS3_PKT2_SC_S9_PKT4_PKT5_S7_PT6_21rocsparse_index_base_b ; -- Begin function _ZN9rocsparseL18bsrxmvn_4x4_kernelILj128ELj32E21rocsparse_complex_numIdElidS2_S2_EEvT3_20rocsparse_direction_NS_24const_host_device_scalarIT1_EES3_PKS3_PKT2_SC_S9_PKT4_PKT5_S7_PT6_21rocsparse_index_base_b
	.p2align	8
	.type	_ZN9rocsparseL18bsrxmvn_4x4_kernelILj128ELj32E21rocsparse_complex_numIdElidS2_S2_EEvT3_20rocsparse_direction_NS_24const_host_device_scalarIT1_EES3_PKS3_PKT2_SC_S9_PKT4_PKT5_S7_PT6_21rocsparse_index_base_b,@function
_ZN9rocsparseL18bsrxmvn_4x4_kernelILj128ELj32E21rocsparse_complex_numIdElidS2_S2_EEvT3_20rocsparse_direction_NS_24const_host_device_scalarIT1_EES3_PKS3_PKT2_SC_S9_PKT4_PKT5_S7_PT6_21rocsparse_index_base_b: ; @_ZN9rocsparseL18bsrxmvn_4x4_kernelILj128ELj32E21rocsparse_complex_numIdElidS2_S2_EEvT3_20rocsparse_direction_NS_24const_host_device_scalarIT1_EES3_PKS3_PKT2_SC_S9_PKT4_PKT5_S7_PT6_21rocsparse_index_base_b
; %bb.0:
	s_clause 0x1
	s_load_b64 s[12:13], s[0:1], 0x68
	s_load_b64 s[2:3], s[0:1], 0x8
	s_add_nc_u64 s[4:5], s[0:1], 8
	s_load_b64 s[6:7], s[0:1], 0x50
	s_wait_kmcnt 0x0
	s_bitcmp1_b32 s13, 0
	s_cselect_b32 s2, s4, s2
	s_cselect_b32 s3, s5, s3
	s_delay_alu instid0(SALU_CYCLE_1)
	v_dual_mov_b32 v1, s2 :: v_dual_mov_b32 v2, s3
	s_add_nc_u64 s[2:3], s[0:1], 0x50
	s_wait_alu 0xfffe
	s_cselect_b32 s2, s2, s6
	s_cselect_b32 s3, s3, s7
	flat_load_b128 v[5:8], v[1:2]
	s_wait_alu 0xfffe
	v_dual_mov_b32 v1, s2 :: v_dual_mov_b32 v2, s3
	flat_load_b128 v[1:4], v[1:2]
	s_wait_loadcnt_dscnt 0x101
	v_cmp_eq_f64_e32 vcc_lo, 0, v[5:6]
	v_cmp_eq_f64_e64 s2, 0, v[7:8]
	s_and_b32 s4, vcc_lo, s2
	s_mov_b32 s2, -1
	s_and_saveexec_b32 s3, s4
	s_cbranch_execz .LBB143_2
; %bb.1:
	s_wait_loadcnt_dscnt 0x0
	v_cmp_neq_f64_e32 vcc_lo, 1.0, v[1:2]
	v_cmp_neq_f64_e64 s2, 0, v[3:4]
	s_wait_alu 0xfffe
	s_or_b32 s2, vcc_lo, s2
	s_wait_alu 0xfffe
	s_or_not1_b32 s2, s2, exec_lo
.LBB143_2:
	s_wait_alu 0xfffe
	s_or_b32 exec_lo, exec_lo, s3
	s_and_saveexec_b32 s3, s2
	s_cbranch_execz .LBB143_8
; %bb.3:
	s_clause 0x1
	s_load_b64 s[4:5], s[0:1], 0x20
	s_load_b64 s[2:3], s[0:1], 0x0
	v_lshrrev_b32_e32 v9, 5, v0
	s_delay_alu instid0(VALU_DEP_1)
	v_lshl_or_b32 v21, ttmp9, 2, v9
	s_wait_kmcnt 0x0
	s_cmp_lg_u64 s[4:5], 0
	s_cbranch_scc0 .LBB143_9
; %bb.4:
	s_load_b32 s6, s[0:1], 0x18
	s_mov_b32 s7, 0
                                        ; implicit-def: $vgpr9
	s_wait_kmcnt 0x0
	v_cmp_gt_i32_e32 vcc_lo, s6, v21
	s_mov_b32 s6, 0
	s_and_saveexec_b32 s8, vcc_lo
	s_delay_alu instid0(SALU_CYCLE_1)
	s_xor_b32 s8, exec_lo, s8
	s_cbranch_execz .LBB143_6
; %bb.5:
	v_ashrrev_i32_e32 v22, 31, v21
	s_mov_b32 s6, exec_lo
	s_delay_alu instid0(VALU_DEP_1) | instskip(NEXT) | instid1(VALU_DEP_1)
	v_lshlrev_b64_e32 v[9:10], 2, v[21:22]
	v_add_co_u32 v9, vcc_lo, s4, v9
	s_delay_alu instid0(VALU_DEP_1)
	v_add_co_ci_u32_e64 v10, null, s5, v10, vcc_lo
	global_load_b32 v9, v[9:10], off
	s_wait_loadcnt 0x0
	v_subrev_nc_u32_e32 v9, s12, v9
.LBB143_6:
	s_or_b32 exec_lo, exec_lo, s8
	s_delay_alu instid0(SALU_CYCLE_1)
	s_and_b32 vcc_lo, exec_lo, s7
	s_wait_alu 0xfffe
	s_cbranch_vccz .LBB143_10
.LBB143_7:
	v_cmp_gt_i32_e32 vcc_lo, s2, v21
	s_and_not1_b32 s2, s6, exec_lo
	s_and_b32 s4, vcc_lo, exec_lo
	s_wait_alu 0xfffe
	s_or_b32 s6, s2, s4
	s_wait_alu 0xfffe
	s_and_b32 exec_lo, exec_lo, s6
	s_cbranch_execnz .LBB143_11
.LBB143_8:
	s_nop 0
	s_sendmsg sendmsg(MSG_DEALLOC_VGPRS)
	s_endpgm
.LBB143_9:
	s_mov_b32 s6, 0
                                        ; implicit-def: $vgpr9
	s_cbranch_execnz .LBB143_7
.LBB143_10:
	v_mov_b32_e32 v21, v9
	s_and_b32 exec_lo, exec_lo, s6
	s_cbranch_execz .LBB143_8
.LBB143_11:
	s_load_b256 s[4:11], s[0:1], 0x28
	s_delay_alu instid0(VALU_DEP_1) | instskip(SKIP_1) | instid1(VALU_DEP_2)
	v_ashrrev_i32_e32 v22, 31, v21
	v_and_b32_e32 v0, 31, v0
	v_lshlrev_b64_e32 v[9:10], 3, v[21:22]
	s_wait_kmcnt 0x0
	s_delay_alu instid0(VALU_DEP_1) | instskip(SKIP_1) | instid1(VALU_DEP_2)
	v_add_co_u32 v11, vcc_lo, s4, v9
	s_wait_alu 0xfffd
	v_add_co_ci_u32_e64 v12, null, s5, v10, vcc_lo
	v_add_co_u32 v9, vcc_lo, s6, v9
	s_wait_alu 0xfffd
	v_add_co_ci_u32_e64 v10, null, s7, v10, vcc_lo
	v_add_co_u32 v13, vcc_lo, v11, 8
	global_load_b64 v[32:33], v[11:12], off
	s_wait_alu 0xfffd
	v_add_co_ci_u32_e64 v14, null, 0, v12, vcc_lo
	s_cmp_eq_u64 s[6:7], 0
	s_load_b64 s[4:5], s[0:1], 0x48
	s_cselect_b32 vcc_lo, -1, 0
	s_cmp_eq_u32 s3, 1
	s_wait_alu 0xfffe
	v_dual_cndmask_b32 v10, v10, v14 :: v_dual_cndmask_b32 v9, v9, v13
	global_load_b64 v[11:12], v[9:10], off
	s_wait_loadcnt 0x1
	v_sub_co_u32 v9, vcc_lo, v32, s12
	s_wait_alu 0xfffd
	v_subrev_co_ci_u32_e64 v10, null, 0, v33, vcc_lo
	s_delay_alu instid0(VALU_DEP_2) | instskip(SKIP_1) | instid1(VALU_DEP_2)
	v_add_co_u32 v9, vcc_lo, v9, v0
	s_wait_alu 0xfffd
	v_add_co_ci_u32_e64 v10, null, 0, v10, vcc_lo
	s_delay_alu instid0(VALU_DEP_1) | instskip(SKIP_4) | instid1(VALU_DEP_3)
	v_lshlrev_b64_e32 v[13:14], 7, v[9:10]
	s_wait_loadcnt 0x0
	v_sub_co_u32 v11, vcc_lo, v11, s12
	s_wait_alu 0xfffd
	v_subrev_co_ci_u32_e64 v12, null, 0, v12, vcc_lo
	v_add_co_u32 v13, vcc_lo, s10, v13
	s_delay_alu instid0(VALU_DEP_2)
	v_cmp_lt_i64_e64 s2, v[9:10], v[11:12]
	s_wait_alu 0xfffd
	v_add_co_ci_u32_e64 v14, null, s11, v14, vcc_lo
	s_cbranch_scc1 .LBB143_23
; %bb.12:
	v_mov_b32_e32 v28, 0
	v_dual_mov_b32 v26, 0 :: v_dual_mov_b32 v17, 0
	v_dual_mov_b32 v19, 0 :: v_dual_mov_b32 v22, 0
	;; [unrolled: 1-line block ×6, first 2 shown]
	v_mov_b32_e32 v31, 0
	v_dual_mov_b32 v25, 0 :: v_dual_mov_b32 v16, 0
	s_and_saveexec_b32 s6, s2
	s_cbranch_execz .LBB143_22
; %bb.13:
	v_or_b32_e32 v15, 32, v0
	v_not_b32_e32 v20, v32
	v_not_b32_e32 v19, v33
	v_dual_mov_b32 v35, 0 :: v_dual_mov_b32 v28, 0
	s_delay_alu instid0(VALU_DEP_4) | instskip(SKIP_3) | instid1(VALU_DEP_3)
	v_sub_co_u32 v15, s3, v15, s12
	s_wait_alu 0xf1ff
	v_sub_co_ci_u32_e64 v16, null, 0, 0, s3
	v_sub_co_u32 v22, s3, s12, v0
	v_add_co_u32 v17, vcc_lo, v15, v32
	s_wait_alu 0xfffd
	s_delay_alu instid0(VALU_DEP_3) | instskip(SKIP_3) | instid1(VALU_DEP_3)
	v_add_co_ci_u32_e64 v18, null, v16, v33, vcc_lo
	s_wait_alu 0xf1ff
	v_sub_co_ci_u32_e64 v23, null, 0, 0, s3
	v_add_co_u32 v20, s3, v22, v20
	v_cmp_gt_i64_e32 vcc_lo, v[17:18], v[11:12]
	v_mov_b32_e32 v15, 0
	s_wait_alu 0xf1ff
	v_add_co_ci_u32_e64 v19, null, v23, v19, s3
	v_mov_b32_e32 v16, 0
	v_mov_b32_e32 v26, 0
	s_wait_alu 0xfffd
	v_cndmask_b32_e32 v24, v11, v17, vcc_lo
	v_dual_cndmask_b32 v22, v12, v18 :: v_dual_mov_b32 v17, 0
	v_mov_b32_e32 v30, 0
	v_mov_b32_e32 v18, 0
	s_delay_alu instid0(VALU_DEP_4) | instskip(SKIP_2) | instid1(VALU_DEP_2)
	v_add_co_u32 v38, vcc_lo, v20, v24
	s_wait_alu 0xfffd
	v_add_co_ci_u32_e64 v39, null, v19, v22, vcc_lo
	v_dual_mov_b32 v19, 0 :: v_dual_and_b32 v34, 0x60, v38
	v_dual_mov_b32 v29, 0 :: v_dual_mov_b32 v24, 0
	v_dual_mov_b32 v27, 0 :: v_dual_mov_b32 v22, 0
	v_dual_mov_b32 v37, v14 :: v_dual_mov_b32 v20, 0
	s_delay_alu instid0(VALU_DEP_4)
	v_cmp_ne_u64_e32 vcc_lo, 0x60, v[34:35]
	v_mov_b32_e32 v35, v10
	v_mov_b32_e32 v25, 0
	;; [unrolled: 1-line block ×3, first 2 shown]
	v_dual_mov_b32 v23, 0 :: v_dual_mov_b32 v36, v13
	v_mov_b32_e32 v34, v9
	s_and_saveexec_b32 s7, vcc_lo
	s_cbranch_execz .LBB143_17
; %bb.14:
	v_lshrrev_b32_e32 v17, 5, v38
	v_lshlrev_b64_e32 v[15:16], 2, v[9:10]
	v_mov_b32_e32 v19, 0
	v_dual_mov_b32 v35, v10 :: v_dual_mov_b32 v22, 0
	s_delay_alu instid0(VALU_DEP_4) | instskip(SKIP_2) | instid1(VALU_DEP_3)
	v_dual_mov_b32 v20, 0 :: v_dual_add_nc_u32 v17, 1, v17
	v_dual_mov_b32 v23, 0 :: v_dual_mov_b32 v28, 0
	v_add_co_u32 v40, vcc_lo, s8, v15
	v_dual_mov_b32 v26, 0 :: v_dual_and_b32 v17, 3, v17
	v_dual_mov_b32 v29, 0 :: v_dual_mov_b32 v30, 0
	s_wait_alu 0xfffd
	v_add_co_ci_u32_e64 v41, null, s9, v16, vcc_lo
	s_delay_alu instid0(VALU_DEP_3)
	v_sub_co_u32 v42, s3, 0, v17
	v_dual_mov_b32 v31, 0 :: v_dual_mov_b32 v24, 0
	v_mov_b32_e32 v17, 0
	v_mov_b32_e32 v15, 0
	v_dual_mov_b32 v37, v14 :: v_dual_mov_b32 v34, v9
	s_wait_alu 0xf1ff
	v_sub_co_ci_u32_e64 v43, null, 0, 0, s3
	v_dual_mov_b32 v27, 0 :: v_dual_mov_b32 v18, 0
	v_dual_mov_b32 v25, 0 :: v_dual_mov_b32 v16, 0
	v_mov_b32_e32 v36, v13
	s_mov_b32 s10, 0
.LBB143_15:                             ; =>This Inner Loop Header: Depth=1
	global_load_b32 v76, v[40:41], off
	s_clause 0x7
	global_load_b128 v[44:47], v[36:37], off offset:48
	global_load_b128 v[48:51], v[36:37], off offset:32
	;; [unrolled: 1-line block ×3, first 2 shown]
	global_load_b128 v[56:59], v[36:37], off
	global_load_b128 v[60:63], v[36:37], off offset:112
	global_load_b128 v[64:67], v[36:37], off offset:96
	;; [unrolled: 1-line block ×4, first 2 shown]
	v_add_co_u32 v40, s3, 0x80, v40
	s_wait_alu 0xf1ff
	v_add_co_ci_u32_e64 v41, null, 0, v41, s3
	s_wait_loadcnt 0x8
	v_subrev_nc_u32_e32 v76, s12, v76
	s_delay_alu instid0(VALU_DEP_1) | instskip(NEXT) | instid1(VALU_DEP_1)
	v_lshlrev_b32_e32 v76, 2, v76
	v_ashrrev_i32_e32 v77, 31, v76
	s_delay_alu instid0(VALU_DEP_1) | instskip(SKIP_1) | instid1(VALU_DEP_1)
	v_lshlrev_b64_e32 v[76:77], 4, v[76:77]
	s_wait_kmcnt 0x0
	v_add_co_u32 v88, vcc_lo, s4, v76
	s_wait_alu 0xfffd
	s_delay_alu instid0(VALU_DEP_2)
	v_add_co_ci_u32_e64 v89, null, s5, v77, vcc_lo
	v_add_co_u32 v36, vcc_lo, 0x1000, v36
	s_wait_alu 0xfffd
	v_add_co_ci_u32_e64 v37, null, 0, v37, vcc_lo
	s_clause 0x3
	global_load_b128 v[76:79], v[88:89], off
	global_load_b128 v[80:83], v[88:89], off offset:16
	global_load_b128 v[84:87], v[88:89], off offset:32
	;; [unrolled: 1-line block ×3, first 2 shown]
	v_add_co_u32 v42, vcc_lo, v42, 1
	s_wait_alu 0xfffd
	v_add_co_ci_u32_e64 v43, null, 0, v43, vcc_lo
	v_add_co_u32 v34, vcc_lo, v34, 32
	s_wait_alu 0xfffd
	v_add_co_ci_u32_e64 v35, null, 0, v35, vcc_lo
	s_delay_alu instid0(VALU_DEP_3)
	v_cmp_eq_u64_e32 vcc_lo, 0, v[42:43]
	s_wait_alu 0xfffe
	s_or_b32 s10, vcc_lo, s10
	s_wait_loadcnt 0x3
	v_fma_f64 v[22:23], v[56:57], v[76:77], v[22:23]
	v_fma_f64 v[19:20], v[76:77], 0, v[19:20]
	v_fma_f64 v[30:31], v[48:49], v[76:77], v[30:31]
	v_fma_f64 v[28:29], v[76:77], 0, v[28:29]
	v_fma_f64 v[24:25], v[72:73], v[76:77], v[24:25]
	v_fma_f64 v[26:27], v[76:77], 0, v[26:27]
	v_fma_f64 v[15:16], v[64:65], v[76:77], v[15:16]
	v_fma_f64 v[17:18], v[76:77], 0, v[17:18]
	v_fma_f64 v[22:23], 0x80000000, v[78:79], v[22:23]
	v_fma_f64 v[19:20], v[56:57], v[78:79], v[19:20]
	v_fma_f64 v[30:31], 0x80000000, v[78:79], v[30:31]
	v_fma_f64 v[28:29], v[48:49], v[78:79], v[28:29]
	v_fma_f64 v[24:25], 0x80000000, v[78:79], v[24:25]
	v_fma_f64 v[26:27], v[72:73], v[78:79], v[26:27]
	v_fma_f64 v[15:16], 0x80000000, v[78:79], v[15:16]
	v_fma_f64 v[17:18], v[64:65], v[78:79], v[17:18]
	s_wait_loadcnt 0x2
	v_fma_f64 v[22:23], v[58:59], v[80:81], v[22:23]
	v_fma_f64 v[19:20], v[80:81], 0, v[19:20]
	v_fma_f64 v[30:31], v[50:51], v[80:81], v[30:31]
	v_fma_f64 v[28:29], v[80:81], 0, v[28:29]
	v_fma_f64 v[24:25], v[74:75], v[80:81], v[24:25]
	v_fma_f64 v[26:27], v[80:81], 0, v[26:27]
	v_fma_f64 v[15:16], v[66:67], v[80:81], v[15:16]
	v_fma_f64 v[17:18], v[80:81], 0, v[17:18]
	v_fma_f64 v[22:23], 0x80000000, v[82:83], v[22:23]
	v_fma_f64 v[19:20], v[58:59], v[82:83], v[19:20]
	v_fma_f64 v[30:31], 0x80000000, v[82:83], v[30:31]
	v_fma_f64 v[28:29], v[50:51], v[82:83], v[28:29]
	v_fma_f64 v[24:25], 0x80000000, v[82:83], v[24:25]
	v_fma_f64 v[26:27], v[74:75], v[82:83], v[26:27]
	v_fma_f64 v[15:16], 0x80000000, v[82:83], v[15:16]
	v_fma_f64 v[17:18], v[66:67], v[82:83], v[17:18]
	;; [unrolled: 17-line block ×4, first 2 shown]
	s_wait_alu 0xfffe
	s_and_not1_b32 exec_lo, exec_lo, s10
	s_cbranch_execnz .LBB143_15
; %bb.16:
	s_or_b32 exec_lo, exec_lo, s10
.LBB143_17:
	s_wait_alu 0xfffe
	s_or_b32 exec_lo, exec_lo, s7
	s_delay_alu instid0(SALU_CYCLE_1)
	s_mov_b32 s7, exec_lo
	v_cmpx_lt_u64_e32 0x5f, v[38:39]
	s_cbranch_execz .LBB143_21
; %bb.18:
	v_lshlrev_b64_e32 v[38:39], 2, v[34:35]
	s_mov_b32 s10, 0
	s_delay_alu instid0(VALU_DEP_1) | instskip(SKIP_1) | instid1(VALU_DEP_2)
	v_add_co_u32 v38, vcc_lo, s8, v38
	s_wait_alu 0xfffd
	v_add_co_ci_u32_e64 v39, null, s9, v39, vcc_lo
	s_delay_alu instid0(VALU_DEP_2) | instskip(SKIP_1) | instid1(VALU_DEP_2)
	v_add_co_u32 v38, vcc_lo, 0x100, v38
	s_wait_alu 0xfffd
	v_add_co_ci_u32_e64 v39, null, 0, v39, vcc_lo
.LBB143_19:                             ; =>This Inner Loop Header: Depth=1
	s_clause 0x1
	global_load_b32 v56, v[38:39], off offset:-256
	global_load_b32 v104, v[38:39], off offset:-128
	s_clause 0x3
	global_load_b128 v[40:43], v[36:37], off offset:32
	global_load_b128 v[44:47], v[36:37], off
	global_load_b128 v[48:51], v[36:37], off offset:96
	global_load_b128 v[52:55], v[36:37], off offset:64
	s_clause 0x1
	global_load_b32 v114, v[38:39], off
	global_load_b32 v116, v[38:39], off offset:128
	v_add_co_u32 v38, s3, 0x200, v38
	s_wait_alu 0xf1ff
	v_add_co_ci_u32_e64 v39, null, 0, v39, s3
	s_wait_loadcnt 0x7
	v_subrev_nc_u32_e32 v56, s12, v56
	s_wait_loadcnt 0x6
	v_subrev_nc_u32_e32 v104, s12, v104
	s_delay_alu instid0(VALU_DEP_2) | instskip(NEXT) | instid1(VALU_DEP_2)
	v_lshlrev_b32_e32 v56, 2, v56
	v_lshlrev_b32_e32 v104, 2, v104
	s_wait_loadcnt 0x1
	v_subrev_nc_u32_e32 v114, s12, v114
	s_delay_alu instid0(VALU_DEP_3) | instskip(NEXT) | instid1(VALU_DEP_3)
	v_ashrrev_i32_e32 v57, 31, v56
	v_ashrrev_i32_e32 v105, 31, v104
	s_delay_alu instid0(VALU_DEP_3) | instskip(NEXT) | instid1(VALU_DEP_3)
	v_lshlrev_b32_e32 v114, 2, v114
	v_lshlrev_b64_e32 v[56:57], 4, v[56:57]
	s_delay_alu instid0(VALU_DEP_3) | instskip(NEXT) | instid1(VALU_DEP_3)
	v_lshlrev_b64_e32 v[104:105], 4, v[104:105]
	v_ashrrev_i32_e32 v115, 31, v114
	s_wait_kmcnt 0x0
	s_delay_alu instid0(VALU_DEP_3)
	v_add_co_u32 v84, vcc_lo, s4, v56
	s_wait_alu 0xfffd
	v_add_co_ci_u32_e64 v85, null, s5, v57, vcc_lo
	v_add_co_u32 v108, vcc_lo, s4, v104
	s_wait_alu 0xfffd
	v_add_co_ci_u32_e64 v109, null, s5, v105, vcc_lo
	s_clause 0x1
	global_load_b128 v[56:59], v[84:85], off
	global_load_b128 v[60:63], v[84:85], off offset:16
	s_clause 0x3
	global_load_b128 v[64:67], v[36:37], off offset:48
	global_load_b128 v[68:71], v[36:37], off offset:16
	;; [unrolled: 1-line block ×4, first 2 shown]
	s_clause 0x1
	global_load_b128 v[80:83], v[84:85], off offset:32
	global_load_b128 v[84:87], v[84:85], off offset:48
	s_clause 0x3
	global_load_b128 v[88:91], v[36:37], off offset:4128
	global_load_b128 v[92:95], v[36:37], off offset:4096
	;; [unrolled: 1-line block ×4, first 2 shown]
	global_load_b128 v[104:107], v[108:109], off
	s_wait_loadcnt 0xc
	v_fma_f64 v[19:20], v[56:57], 0, v[19:20]
	v_fma_f64 v[28:29], v[56:57], 0, v[28:29]
	;; [unrolled: 1-line block ×16, first 2 shown]
	global_load_b128 v[15:18], v[108:109], off offset:16
	s_wait_loadcnt 0xc
	v_fma_f64 v[19:20], v[60:61], 0, v[19:20]
	v_fma_f64 v[28:29], v[60:61], 0, v[28:29]
	;; [unrolled: 1-line block ×16, first 2 shown]
	s_clause 0x3
	global_load_b128 v[22:25], v[36:37], off offset:4144
	global_load_b128 v[26:29], v[36:37], off offset:4112
	;; [unrolled: 1-line block ×5, first 2 shown]
	s_wait_loadcnt 0xc
	v_fma_f64 v[19:20], v[80:81], 0, v[19:20]
	v_fma_f64 v[52:53], v[80:81], 0, v[52:53]
	;; [unrolled: 1-line block ×16, first 2 shown]
	global_load_b128 v[52:55], v[108:109], off offset:48
	s_wait_loadcnt 0xc
	v_fma_f64 v[19:20], v[84:85], 0, v[19:20]
	v_fma_f64 v[64:65], v[84:85], 0, v[64:65]
	;; [unrolled: 1-line block ×8, first 2 shown]
	s_clause 0x3
	global_load_b128 v[56:59], v[36:37], off offset:8224
	global_load_b128 v[60:63], v[36:37], off offset:8192
	;; [unrolled: 1-line block ×4, first 2 shown]
	v_fma_f64 v[19:20], v[70:71], v[86:87], v[19:20]
	v_fma_f64 v[70:71], v[66:67], v[86:87], v[64:65]
	;; [unrolled: 1-line block ×8, first 2 shown]
	v_lshlrev_b64_e32 v[64:65], 4, v[114:115]
	s_delay_alu instid0(VALU_DEP_1) | instskip(SKIP_1) | instid1(VALU_DEP_2)
	v_add_co_u32 v112, vcc_lo, s4, v64
	s_wait_alu 0xfffd
	v_add_co_ci_u32_e64 v113, null, s5, v65, vcc_lo
	global_load_b128 v[64:67], v[112:113], off
	s_wait_loadcnt 0xc
	v_fma_f64 v[19:20], v[104:105], 0, v[19:20]
	v_fma_f64 v[70:71], v[104:105], 0, v[70:71]
	;; [unrolled: 1-line block ×16, first 2 shown]
	global_load_b128 v[68:71], v[112:113], off offset:16
	s_wait_loadcnt 0xc
	v_fma_f64 v[19:20], v[15:16], 0, v[19:20]
	v_fma_f64 v[84:85], v[15:16], 0, v[84:85]
	;; [unrolled: 1-line block ×16, first 2 shown]
	s_clause 0x3
	global_load_b128 v[15:18], v[36:37], off offset:8240
	global_load_b128 v[72:75], v[36:37], off offset:8208
	global_load_b128 v[76:79], v[36:37], off offset:8304
	global_load_b128 v[84:87], v[36:37], off offset:8272
	global_load_b128 v[88:91], v[112:113], off offset:32
	s_wait_loadcnt 0xc
	v_fma_f64 v[19:20], v[48:49], 0, v[19:20]
	v_fma_f64 v[92:93], v[48:49], 0, v[92:93]
	;; [unrolled: 1-line block ×16, first 2 shown]
	global_load_b128 v[48:51], v[112:113], off offset:48
	s_wait_loadcnt 0xc
	v_fma_f64 v[19:20], v[52:53], 0, v[19:20]
	v_fma_f64 v[22:23], v[52:53], 0, v[22:23]
	;; [unrolled: 1-line block ×8, first 2 shown]
	v_subrev_nc_u32_e32 v52, s12, v116
	s_clause 0x3
	global_load_b128 v[92:95], v[36:37], off offset:12320
	global_load_b128 v[96:99], v[36:37], off offset:12288
	;; [unrolled: 1-line block ×4, first 2 shown]
	v_lshlrev_b32_e32 v52, 2, v52
	s_delay_alu instid0(VALU_DEP_1)
	v_ashrrev_i32_e32 v53, 31, v52
	v_fma_f64 v[19:20], v[28:29], v[54:55], v[19:20]
	v_fma_f64 v[28:29], v[24:25], v[54:55], v[22:23]
	;; [unrolled: 1-line block ×8, first 2 shown]
	v_lshlrev_b64_e32 v[22:23], 4, v[52:53]
	s_delay_alu instid0(VALU_DEP_1) | instskip(SKIP_1) | instid1(VALU_DEP_2)
	v_add_co_u32 v114, vcc_lo, s4, v22
	s_wait_alu 0xfffd
	v_add_co_ci_u32_e64 v115, null, s5, v23, vcc_lo
	v_add_co_u32 v34, vcc_lo, 0x80, v34
	s_wait_alu 0xfffd
	v_add_co_ci_u32_e64 v35, null, 0, v35, vcc_lo
	global_load_b128 v[22:25], v[114:115], off
	s_wait_loadcnt 0xc
	v_fma_f64 v[19:20], v[64:65], 0, v[19:20]
	v_fma_f64 v[28:29], v[64:65], 0, v[28:29]
	;; [unrolled: 1-line block ×16, first 2 shown]
	global_load_b128 v[26:29], v[114:115], off offset:16
	s_wait_loadcnt 0xc
	v_fma_f64 v[19:20], v[68:69], 0, v[19:20]
	v_fma_f64 v[52:53], v[68:69], 0, v[52:53]
	;; [unrolled: 1-line block ×16, first 2 shown]
	s_clause 0x3
	global_load_b128 v[40:43], v[36:37], off offset:12336
	global_load_b128 v[44:47], v[36:37], off offset:12304
	;; [unrolled: 1-line block ×5, first 2 shown]
	v_add_co_u32 v36, vcc_lo, 0x4000, v36
	s_wait_alu 0xfffd
	v_add_co_ci_u32_e64 v37, null, 0, v37, vcc_lo
	v_cmp_ge_i64_e32 vcc_lo, v[34:35], v[11:12]
	s_wait_alu 0xfffe
	s_or_b32 s10, vcc_lo, s10
	s_wait_loadcnt 0xc
	v_fma_f64 v[19:20], v[88:89], 0, v[19:20]
	v_fma_f64 v[66:67], v[88:89], 0, v[66:67]
	;; [unrolled: 1-line block ×16, first 2 shown]
	global_load_b128 v[64:67], v[114:115], off offset:48
	s_wait_loadcnt 0xc
	v_fma_f64 v[19:20], v[48:49], 0, v[19:20]
	v_fma_f64 v[15:16], v[48:49], 0, v[15:16]
	v_fma_f64 v[72:73], v[48:49], 0, v[72:73]
	v_fma_f64 v[76:77], v[74:75], v[48:49], v[88:89]
	v_fma_f64 v[30:31], v[17:18], v[48:49], v[30:31]
	v_fma_f64 v[68:69], v[86:87], v[48:49], v[68:69]
	v_fma_f64 v[80:81], v[78:79], v[48:49], v[80:81]
	v_fma_f64 v[48:49], v[48:49], 0, v[70:71]
	v_fma_f64 v[19:20], v[74:75], v[50:51], v[19:20]
	v_fma_f64 v[15:16], v[17:18], v[50:51], v[15:16]
	v_fma_f64 v[70:71], 0x80000000, v[50:51], v[76:77]
	v_fma_f64 v[30:31], 0x80000000, v[50:51], v[30:31]
	v_fma_f64 v[17:18], 0x80000000, v[50:51], v[68:69]
	v_fma_f64 v[68:69], v[86:87], v[50:51], v[72:73]
	v_fma_f64 v[72:73], 0x80000000, v[50:51], v[80:81]
	v_fma_f64 v[48:49], v[78:79], v[50:51], v[48:49]
	s_wait_loadcnt 0x7
	v_fma_f64 v[19:20], v[22:23], 0, v[19:20]
	v_fma_f64 v[15:16], v[22:23], 0, v[15:16]
	v_fma_f64 v[50:51], v[96:97], v[22:23], v[70:71]
	v_fma_f64 v[30:31], v[92:93], v[22:23], v[30:31]
	v_fma_f64 v[17:18], v[104:105], v[22:23], v[17:18]
	v_fma_f64 v[68:69], v[22:23], 0, v[68:69]
	v_fma_f64 v[70:71], v[100:101], v[22:23], v[72:73]
	v_fma_f64 v[22:23], v[22:23], 0, v[48:49]
	v_fma_f64 v[19:20], v[96:97], v[24:25], v[19:20]
	v_fma_f64 v[15:16], v[92:93], v[24:25], v[15:16]
	v_fma_f64 v[48:49], 0x80000000, v[24:25], v[50:51]
	v_fma_f64 v[30:31], 0x80000000, v[24:25], v[30:31]
	v_fma_f64 v[17:18], 0x80000000, v[24:25], v[17:18]
	v_fma_f64 v[50:51], v[104:105], v[24:25], v[68:69]
	v_fma_f64 v[68:69], 0x80000000, v[24:25], v[70:71]
	v_fma_f64 v[22:23], v[100:101], v[24:25], v[22:23]
	;; [unrolled: 17-line block ×5, first 2 shown]
	s_wait_alu 0xfffe
	s_and_not1_b32 exec_lo, exec_lo, s10
	s_cbranch_execnz .LBB143_19
; %bb.20:
	s_or_b32 exec_lo, exec_lo, s10
.LBB143_21:
	s_wait_alu 0xfffe
	s_or_b32 exec_lo, exec_lo, s7
.LBB143_22:
	s_wait_alu 0xfffe
	s_or_b32 exec_lo, exec_lo, s6
	s_cbranch_execz .LBB143_24
	s_branch .LBB143_35
.LBB143_23:
                                        ; implicit-def: $vgpr19_vgpr20
                                        ; implicit-def: $vgpr22_vgpr23
                                        ; implicit-def: $vgpr28_vgpr29
                                        ; implicit-def: $vgpr30_vgpr31
                                        ; implicit-def: $vgpr26_vgpr27
                                        ; implicit-def: $vgpr24_vgpr25
                                        ; implicit-def: $vgpr17_vgpr18
                                        ; implicit-def: $vgpr15_vgpr16
.LBB143_24:
	v_mov_b32_e32 v28, 0
	v_dual_mov_b32 v26, 0 :: v_dual_mov_b32 v17, 0
	v_dual_mov_b32 v19, 0 :: v_dual_mov_b32 v22, 0
	;; [unrolled: 1-line block ×6, first 2 shown]
	v_mov_b32_e32 v31, 0
	v_dual_mov_b32 v25, 0 :: v_dual_mov_b32 v16, 0
	s_and_saveexec_b32 s3, s2
	s_cbranch_execz .LBB143_34
; %bb.25:
	v_or_b32_e32 v15, 32, v0
	v_not_b32_e32 v18, v32
	v_not_b32_e32 v17, v33
	v_mov_b32_e32 v24, 0
	v_dual_mov_b32 v25, 0 :: v_dual_mov_b32 v26, 0
	v_sub_co_u32 v15, s2, v15, s12
	s_wait_alu 0xf1ff
	v_sub_co_ci_u32_e64 v16, null, 0, 0, s2
	v_sub_co_u32 v19, s2, s12, v0
	s_delay_alu instid0(VALU_DEP_3) | instskip(SKIP_1) | instid1(VALU_DEP_3)
	v_add_co_u32 v15, vcc_lo, v15, v32
	s_wait_alu 0xfffd
	v_add_co_ci_u32_e64 v16, null, v16, v33, vcc_lo
	s_wait_alu 0xf1ff
	v_sub_co_ci_u32_e64 v22, null, 0, 0, s2
	v_add_co_u32 v18, s2, v19, v18
	s_delay_alu instid0(VALU_DEP_3)
	v_cmp_gt_i64_e32 vcc_lo, v[15:16], v[11:12]
	v_mov_b32_e32 v20, 0
	s_wait_alu 0xf1ff
	v_add_co_ci_u32_e64 v22, null, v22, v17, s2
	v_dual_mov_b32 v27, 0 :: v_dual_mov_b32 v28, 0
	s_wait_alu 0xfffd
	v_cndmask_b32_e32 v23, v11, v15, vcc_lo
	v_cndmask_b32_e32 v19, v12, v16, vcc_lo
	v_mov_b32_e32 v15, 0
	v_dual_mov_b32 v16, 0 :: v_dual_mov_b32 v29, 0
	s_delay_alu instid0(VALU_DEP_4) | instskip(SKIP_3) | instid1(VALU_DEP_3)
	v_add_co_u32 v32, vcc_lo, v18, v23
	s_wait_alu 0xfffd
	v_add_co_ci_u32_e64 v33, null, v22, v19, vcc_lo
	v_mov_b32_e32 v17, 0
	v_dual_mov_b32 v30, 0 :: v_dual_and_b32 v19, 0x60, v32
	v_dual_mov_b32 v31, 0 :: v_dual_mov_b32 v22, 0
	v_mov_b32_e32 v18, 0
	s_delay_alu instid0(VALU_DEP_3)
	v_cmp_ne_u64_e32 vcc_lo, 0x60, v[19:20]
	v_mov_b32_e32 v19, 0
	v_dual_mov_b32 v23, 0 :: v_dual_mov_b32 v20, 0
	s_and_saveexec_b32 s6, vcc_lo
	s_cbranch_execz .LBB143_29
; %bb.26:
	v_lshrrev_b32_e32 v17, 5, v32
	v_mov_b32_e32 v28, 0
	v_lshlrev_b64_e32 v[15:16], 2, v[9:10]
	v_dual_mov_b32 v30, 0 :: v_dual_mov_b32 v19, 0
	s_delay_alu instid0(VALU_DEP_4) | instskip(SKIP_1) | instid1(VALU_DEP_4)
	v_dual_mov_b32 v22, 0 :: v_dual_add_nc_u32 v17, 1, v17
	v_mov_b32_e32 v29, 0
	v_add_co_u32 v34, vcc_lo, s8, v15
	s_wait_alu 0xfffd
	v_add_co_ci_u32_e64 v35, null, s9, v16, vcc_lo
	v_dual_mov_b32 v31, 0 :: v_dual_and_b32 v36, 3, v17
	v_mov_b32_e32 v26, 0
	v_dual_mov_b32 v24, 0 :: v_dual_mov_b32 v17, 0
	s_delay_alu instid0(VALU_DEP_3)
	v_sub_co_u32 v36, s2, 0, v36
	v_dual_mov_b32 v15, 0 :: v_dual_mov_b32 v20, 0
	v_mov_b32_e32 v23, 0
	v_mov_b32_e32 v27, 0
	v_dual_mov_b32 v25, 0 :: v_dual_mov_b32 v18, 0
	v_mov_b32_e32 v16, 0
	s_wait_alu 0xf1ff
	v_sub_co_ci_u32_e64 v37, null, 0, 0, s2
	s_mov_b32 s7, 0
.LBB143_27:                             ; =>This Inner Loop Header: Depth=1
	global_load_b32 v46, v[34:35], off
	s_clause 0x1
	global_load_b128 v[38:41], v[13:14], off offset:16
	global_load_b128 v[42:45], v[13:14], off
	v_add_co_u32 v34, s2, 0x80, v34
	s_wait_alu 0xf1ff
	v_add_co_ci_u32_e64 v35, null, 0, v35, s2
	s_wait_loadcnt 0x2
	v_subrev_nc_u32_e32 v46, s12, v46
	s_delay_alu instid0(VALU_DEP_1) | instskip(NEXT) | instid1(VALU_DEP_1)
	v_lshlrev_b32_e32 v46, 2, v46
	v_ashrrev_i32_e32 v47, 31, v46
	s_delay_alu instid0(VALU_DEP_1) | instskip(SKIP_1) | instid1(VALU_DEP_1)
	v_lshlrev_b64_e32 v[46:47], 4, v[46:47]
	s_wait_kmcnt 0x0
	v_add_co_u32 v74, vcc_lo, s4, v46
	s_wait_alu 0xfffd
	s_delay_alu instid0(VALU_DEP_2)
	v_add_co_ci_u32_e64 v75, null, s5, v47, vcc_lo
	s_clause 0x1
	global_load_b128 v[46:49], v[74:75], off
	global_load_b128 v[50:53], v[74:75], off offset:16
	s_clause 0x3
	global_load_b128 v[54:57], v[13:14], off offset:32
	global_load_b128 v[58:61], v[13:14], off offset:48
	;; [unrolled: 1-line block ×4, first 2 shown]
	s_clause 0x1
	global_load_b128 v[70:73], v[74:75], off offset:32
	global_load_b128 v[74:77], v[74:75], off offset:48
	s_clause 0x1
	global_load_b128 v[78:81], v[13:14], off offset:96
	global_load_b128 v[82:85], v[13:14], off offset:112
	v_add_co_u32 v13, vcc_lo, 0x1000, v13
	s_wait_alu 0xfffd
	v_add_co_ci_u32_e64 v14, null, 0, v14, vcc_lo
	v_add_co_u32 v36, vcc_lo, v36, 1
	s_wait_alu 0xfffd
	v_add_co_ci_u32_e64 v37, null, 0, v37, vcc_lo
	;; [unrolled: 3-line block ×3, first 2 shown]
	s_delay_alu instid0(VALU_DEP_3)
	v_cmp_eq_u64_e32 vcc_lo, 0, v[36:37]
	s_wait_alu 0xfffe
	s_or_b32 s7, vcc_lo, s7
	s_wait_loadcnt 0x9
	v_fma_f64 v[22:23], v[42:43], v[46:47], v[22:23]
	v_fma_f64 v[19:20], v[46:47], 0, v[19:20]
	;; [unrolled: 1-line block ×16, first 2 shown]
	s_wait_loadcnt 0x7
	v_fma_f64 v[22:23], v[54:55], v[50:51], v[22:23]
	v_fma_f64 v[19:20], v[50:51], 0, v[19:20]
	;; [unrolled: 1-line block ×4, first 2 shown]
	s_wait_loadcnt 0x6
	v_fma_f64 v[24:25], v[58:59], v[50:51], v[24:25]
	v_fma_f64 v[26:27], v[50:51], 0, v[26:27]
	v_fma_f64 v[15:16], v[60:61], v[50:51], v[15:16]
	v_fma_f64 v[17:18], v[50:51], 0, v[17:18]
	v_fma_f64 v[22:23], 0x80000000, v[52:53], v[22:23]
	v_fma_f64 v[19:20], v[54:55], v[52:53], v[19:20]
	v_fma_f64 v[30:31], 0x80000000, v[52:53], v[30:31]
	v_fma_f64 v[28:29], v[56:57], v[52:53], v[28:29]
	v_fma_f64 v[24:25], 0x80000000, v[52:53], v[24:25]
	v_fma_f64 v[26:27], v[58:59], v[52:53], v[26:27]
	v_fma_f64 v[15:16], 0x80000000, v[52:53], v[15:16]
	v_fma_f64 v[17:18], v[60:61], v[52:53], v[17:18]
	s_wait_loadcnt 0x3
	v_fma_f64 v[22:23], v[66:67], v[70:71], v[22:23]
	v_fma_f64 v[19:20], v[70:71], 0, v[19:20]
	;; [unrolled: 1-line block ×16, first 2 shown]
	s_wait_loadcnt 0x1
	v_fma_f64 v[22:23], v[78:79], v[74:75], v[22:23]
	v_fma_f64 v[19:20], v[74:75], 0, v[19:20]
	;; [unrolled: 1-line block ×4, first 2 shown]
	s_wait_loadcnt 0x0
	v_fma_f64 v[24:25], v[82:83], v[74:75], v[24:25]
	v_fma_f64 v[26:27], v[74:75], 0, v[26:27]
	;; [unrolled: 1-line block ×12, first 2 shown]
	s_wait_alu 0xfffe
	s_and_not1_b32 exec_lo, exec_lo, s7
	s_cbranch_execnz .LBB143_27
; %bb.28:
	s_or_b32 exec_lo, exec_lo, s7
.LBB143_29:
	s_wait_alu 0xfffe
	s_or_b32 exec_lo, exec_lo, s6
	s_delay_alu instid0(SALU_CYCLE_1)
	s_mov_b32 s6, exec_lo
	v_cmpx_lt_u64_e32 0x5f, v[32:33]
	s_cbranch_execz .LBB143_33
; %bb.30:
	v_lshlrev_b64_e32 v[32:33], 2, v[9:10]
	s_mov_b32 s7, 0
	s_delay_alu instid0(VALU_DEP_1) | instskip(SKIP_1) | instid1(VALU_DEP_2)
	v_add_co_u32 v32, vcc_lo, s8, v32
	s_wait_alu 0xfffd
	v_add_co_ci_u32_e64 v33, null, s9, v33, vcc_lo
	s_delay_alu instid0(VALU_DEP_2) | instskip(SKIP_1) | instid1(VALU_DEP_2)
	v_add_co_u32 v32, vcc_lo, 0x100, v32
	s_wait_alu 0xfffd
	v_add_co_ci_u32_e64 v33, null, 0, v33, vcc_lo
.LBB143_31:                             ; =>This Inner Loop Header: Depth=1
	s_clause 0x1
	global_load_b32 v42, v[32:33], off offset:-256
	global_load_b32 v90, v[32:33], off offset:-128
	s_clause 0x1
	global_load_b128 v[34:37], v[13:14], off offset:16
	global_load_b128 v[38:41], v[13:14], off
	s_clause 0x1
	global_load_b32 v100, v[32:33], off
	global_load_b32 v102, v[32:33], off offset:128
	v_add_co_u32 v32, s2, 0x200, v32
	s_wait_alu 0xf1ff
	v_add_co_ci_u32_e64 v33, null, 0, v33, s2
	s_wait_loadcnt 0x5
	v_subrev_nc_u32_e32 v42, s12, v42
	s_wait_loadcnt 0x4
	v_subrev_nc_u32_e32 v90, s12, v90
	;; [unrolled: 2-line block ×3, first 2 shown]
	v_lshlrev_b32_e32 v42, 2, v42
	s_delay_alu instid0(VALU_DEP_3) | instskip(NEXT) | instid1(VALU_DEP_3)
	v_lshlrev_b32_e32 v90, 2, v90
	v_lshlrev_b32_e32 v100, 2, v100
	s_delay_alu instid0(VALU_DEP_3) | instskip(NEXT) | instid1(VALU_DEP_3)
	v_ashrrev_i32_e32 v43, 31, v42
	v_ashrrev_i32_e32 v91, 31, v90
	s_delay_alu instid0(VALU_DEP_3) | instskip(NEXT) | instid1(VALU_DEP_3)
	v_ashrrev_i32_e32 v101, 31, v100
	v_lshlrev_b64_e32 v[42:43], 4, v[42:43]
	s_delay_alu instid0(VALU_DEP_3) | instskip(SKIP_1) | instid1(VALU_DEP_2)
	v_lshlrev_b64_e32 v[90:91], 4, v[90:91]
	s_wait_kmcnt 0x0
	v_add_co_u32 v78, vcc_lo, s4, v42
	s_wait_alu 0xfffd
	s_delay_alu instid0(VALU_DEP_3) | instskip(NEXT) | instid1(VALU_DEP_3)
	v_add_co_ci_u32_e64 v79, null, s5, v43, vcc_lo
	v_add_co_u32 v94, vcc_lo, s4, v90
	s_wait_alu 0xfffd
	v_add_co_ci_u32_e64 v95, null, s5, v91, vcc_lo
	global_load_b128 v[42:45], v[78:79], off
	s_clause 0x1
	global_load_b128 v[46:49], v[13:14], off offset:32
	global_load_b128 v[50:53], v[13:14], off offset:48
	global_load_b128 v[54:57], v[78:79], off offset:16
	s_clause 0x1
	global_load_b128 v[58:61], v[13:14], off offset:80
	global_load_b128 v[62:65], v[13:14], off offset:64
	global_load_b128 v[66:69], v[78:79], off offset:32
	;; [unrolled: 4-line block ×3, first 2 shown]
	s_clause 0x1
	global_load_b128 v[82:85], v[13:14], off offset:4112
	global_load_b128 v[86:89], v[13:14], off offset:4096
	global_load_b128 v[90:93], v[94:95], off
	s_wait_loadcnt 0xc
	v_fma_f64 v[19:20], v[42:43], 0, v[19:20]
	v_fma_f64 v[28:29], v[42:43], 0, v[28:29]
	v_fma_f64 v[22:23], v[38:39], v[42:43], v[22:23]
	v_fma_f64 v[30:31], v[40:41], v[42:43], v[30:31]
	v_fma_f64 v[24:25], v[34:35], v[42:43], v[24:25]
	v_fma_f64 v[26:27], v[42:43], 0, v[26:27]
	v_fma_f64 v[15:16], v[36:37], v[42:43], v[15:16]
	v_fma_f64 v[17:18], v[42:43], 0, v[17:18]
	v_fma_f64 v[19:20], v[38:39], v[44:45], v[19:20]
	v_fma_f64 v[38:39], v[40:41], v[44:45], v[28:29]
	v_fma_f64 v[40:41], 0x80000000, v[44:45], v[22:23]
	v_fma_f64 v[30:31], 0x80000000, v[44:45], v[30:31]
	v_fma_f64 v[42:43], 0x80000000, v[44:45], v[24:25]
	v_fma_f64 v[34:35], v[34:35], v[44:45], v[26:27]
	v_fma_f64 v[96:97], 0x80000000, v[44:45], v[15:16]
	v_fma_f64 v[36:37], v[36:37], v[44:45], v[17:18]
	s_clause 0x1
	global_load_b128 v[15:18], v[13:14], off offset:4128
	global_load_b128 v[22:25], v[13:14], off offset:4144
	global_load_b128 v[26:29], v[94:95], off offset:16
	s_wait_loadcnt 0xc
	v_fma_f64 v[19:20], v[54:55], 0, v[19:20]
	v_fma_f64 v[38:39], v[54:55], 0, v[38:39]
	v_fma_f64 v[40:41], v[46:47], v[54:55], v[40:41]
	v_fma_f64 v[30:31], v[48:49], v[54:55], v[30:31]
	v_fma_f64 v[42:43], v[50:51], v[54:55], v[42:43]
	v_fma_f64 v[34:35], v[54:55], 0, v[34:35]
	v_fma_f64 v[44:45], v[52:53], v[54:55], v[96:97]
	v_fma_f64 v[36:37], v[54:55], 0, v[36:37]
	v_fma_f64 v[19:20], v[46:47], v[56:57], v[19:20]
	v_fma_f64 v[46:47], v[48:49], v[56:57], v[38:39]
	v_fma_f64 v[48:49], 0x80000000, v[56:57], v[40:41]
	v_fma_f64 v[30:31], 0x80000000, v[56:57], v[30:31]
	v_fma_f64 v[54:55], 0x80000000, v[56:57], v[42:43]
	v_fma_f64 v[50:51], v[50:51], v[56:57], v[34:35]
	v_fma_f64 v[96:97], 0x80000000, v[56:57], v[44:45]
	v_fma_f64 v[52:53], v[52:53], v[56:57], v[36:37]
	s_clause 0x1
	global_load_b128 v[34:37], v[13:14], off offset:4176
	global_load_b128 v[38:41], v[13:14], off offset:4160
	global_load_b128 v[42:45], v[94:95], off offset:32
	;; [unrolled: 21-line block ×3, first 2 shown]
	s_wait_loadcnt 0xc
	v_fma_f64 v[19:20], v[78:79], 0, v[19:20]
	v_fma_f64 v[68:69], v[78:79], 0, v[62:63]
	;; [unrolled: 1-line block ×8, first 2 shown]
	s_clause 0x1
	global_load_b128 v[58:61], v[13:14], off offset:8208
	global_load_b128 v[62:65], v[13:14], off offset:8192
	v_fma_f64 v[19:20], v[70:71], v[80:81], v[19:20]
	v_fma_f64 v[70:71], v[72:73], v[80:81], v[68:69]
	;; [unrolled: 1-line block ×8, first 2 shown]
	v_lshlrev_b64_e32 v[66:67], 4, v[100:101]
	s_delay_alu instid0(VALU_DEP_1) | instskip(SKIP_1) | instid1(VALU_DEP_2)
	v_add_co_u32 v98, vcc_lo, s4, v66
	s_wait_alu 0xfffd
	v_add_co_ci_u32_e64 v99, null, s5, v67, vcc_lo
	global_load_b128 v[66:69], v[98:99], off
	s_wait_loadcnt 0xc
	v_fma_f64 v[19:20], v[90:91], 0, v[19:20]
	v_fma_f64 v[70:71], v[90:91], 0, v[70:71]
	v_fma_f64 v[72:73], v[86:87], v[90:91], v[72:73]
	v_fma_f64 v[30:31], v[88:89], v[90:91], v[30:31]
	v_fma_f64 v[78:79], v[82:83], v[90:91], v[94:95]
	v_fma_f64 v[74:75], v[90:91], 0, v[74:75]
	v_fma_f64 v[80:81], v[84:85], v[90:91], v[96:97]
	v_fma_f64 v[76:77], v[90:91], 0, v[76:77]
	v_fma_f64 v[19:20], v[86:87], v[92:93], v[19:20]
	v_fma_f64 v[86:87], v[88:89], v[92:93], v[70:71]
	v_fma_f64 v[88:89], 0x80000000, v[92:93], v[72:73]
	v_fma_f64 v[30:31], 0x80000000, v[92:93], v[30:31]
	v_fma_f64 v[90:91], 0x80000000, v[92:93], v[78:79]
	v_fma_f64 v[82:83], v[82:83], v[92:93], v[74:75]
	v_fma_f64 v[94:95], 0x80000000, v[92:93], v[80:81]
	v_fma_f64 v[84:85], v[84:85], v[92:93], v[76:77]
	s_clause 0x1
	global_load_b128 v[70:73], v[13:14], off offset:8224
	global_load_b128 v[74:77], v[13:14], off offset:8240
	global_load_b128 v[78:81], v[98:99], off offset:16
	s_wait_loadcnt 0xc
	v_fma_f64 v[19:20], v[26:27], 0, v[19:20]
	v_fma_f64 v[86:87], v[26:27], 0, v[86:87]
	v_fma_f64 v[88:89], v[15:16], v[26:27], v[88:89]
	v_fma_f64 v[30:31], v[17:18], v[26:27], v[30:31]
	v_fma_f64 v[90:91], v[22:23], v[26:27], v[90:91]
	v_fma_f64 v[82:83], v[26:27], 0, v[82:83]
	v_fma_f64 v[92:93], v[24:25], v[26:27], v[94:95]
	v_fma_f64 v[26:27], v[26:27], 0, v[84:85]
	v_fma_f64 v[19:20], v[15:16], v[28:29], v[19:20]
	v_fma_f64 v[84:85], v[17:18], v[28:29], v[86:87]
	v_fma_f64 v[86:87], 0x80000000, v[28:29], v[88:89]
	v_fma_f64 v[30:31], 0x80000000, v[28:29], v[30:31]
	v_fma_f64 v[88:89], 0x80000000, v[28:29], v[90:91]
	v_fma_f64 v[82:83], v[22:23], v[28:29], v[82:83]
	v_fma_f64 v[90:91], 0x80000000, v[28:29], v[92:93]
	v_fma_f64 v[92:93], v[24:25], v[28:29], v[26:27]
	s_clause 0x1
	global_load_b128 v[15:18], v[13:14], off offset:8272
	global_load_b128 v[22:25], v[13:14], off offset:8256
	global_load_b128 v[26:29], v[98:99], off offset:32
	;; [unrolled: 21-line block ×3, first 2 shown]
	s_wait_loadcnt 0xc
	v_fma_f64 v[19:20], v[54:55], 0, v[19:20]
	v_fma_f64 v[94:95], v[54:55], 0, v[84:85]
	;; [unrolled: 1-line block ×8, first 2 shown]
	v_subrev_nc_u32_e32 v92, s12, v102
	s_clause 0x1
	global_load_b128 v[82:85], v[13:14], off offset:12304
	global_load_b128 v[86:89], v[13:14], off offset:12288
	v_lshlrev_b32_e32 v92, 2, v92
	s_delay_alu instid0(VALU_DEP_1)
	v_ashrrev_i32_e32 v93, 31, v92
	v_fma_f64 v[19:20], v[46:47], v[56:57], v[19:20]
	v_fma_f64 v[94:95], v[48:49], v[56:57], v[94:95]
	v_fma_f64 v[96:97], 0x80000000, v[56:57], v[96:97]
	v_fma_f64 v[30:31], 0x80000000, v[56:57], v[30:31]
	v_fma_f64 v[98:99], 0x80000000, v[56:57], v[98:99]
	v_fma_f64 v[50:51], v[50:51], v[56:57], v[100:101]
	v_fma_f64 v[90:91], 0x80000000, v[56:57], v[90:91]
	v_fma_f64 v[52:53], v[52:53], v[56:57], v[54:55]
	v_lshlrev_b64_e32 v[46:47], 4, v[92:93]
	s_delay_alu instid0(VALU_DEP_1) | instskip(SKIP_1) | instid1(VALU_DEP_2)
	v_add_co_u32 v92, vcc_lo, s4, v46
	s_wait_alu 0xfffd
	v_add_co_ci_u32_e64 v93, null, s5, v47, vcc_lo
	v_add_co_u32 v9, vcc_lo, 0x80, v9
	s_wait_alu 0xfffd
	v_add_co_ci_u32_e64 v10, null, 0, v10, vcc_lo
	global_load_b128 v[46:49], v[92:93], off
	s_wait_loadcnt 0xc
	v_fma_f64 v[19:20], v[66:67], 0, v[19:20]
	v_fma_f64 v[56:57], v[66:67], 0, v[94:95]
	v_fma_f64 v[54:55], v[62:63], v[66:67], v[96:97]
	v_fma_f64 v[30:31], v[64:65], v[66:67], v[30:31]
	v_fma_f64 v[94:95], v[58:59], v[66:67], v[98:99]
	v_fma_f64 v[50:51], v[66:67], 0, v[50:51]
	v_fma_f64 v[90:91], v[60:61], v[66:67], v[90:91]
	v_fma_f64 v[52:53], v[66:67], 0, v[52:53]
	v_fma_f64 v[19:20], v[62:63], v[68:69], v[19:20]
	v_fma_f64 v[62:63], v[64:65], v[68:69], v[56:57]
	v_fma_f64 v[66:67], 0x80000000, v[68:69], v[54:55]
	v_fma_f64 v[30:31], 0x80000000, v[68:69], v[30:31]
	v_fma_f64 v[64:65], 0x80000000, v[68:69], v[94:95]
	v_fma_f64 v[94:95], v[58:59], v[68:69], v[50:51]
	v_fma_f64 v[90:91], 0x80000000, v[68:69], v[90:91]
	v_fma_f64 v[68:69], v[60:61], v[68:69], v[52:53]
	s_clause 0x1
	global_load_b128 v[50:53], v[13:14], off offset:12320
	global_load_b128 v[54:57], v[13:14], off offset:12336
	global_load_b128 v[58:61], v[92:93], off offset:16
	s_wait_loadcnt 0xc
	v_fma_f64 v[19:20], v[78:79], 0, v[19:20]
	v_fma_f64 v[62:63], v[78:79], 0, v[62:63]
	v_fma_f64 v[66:67], v[70:71], v[78:79], v[66:67]
	v_fma_f64 v[30:31], v[72:73], v[78:79], v[30:31]
	v_fma_f64 v[64:65], v[74:75], v[78:79], v[64:65]
	v_fma_f64 v[94:95], v[78:79], 0, v[94:95]
	v_fma_f64 v[90:91], v[76:77], v[78:79], v[90:91]
	v_fma_f64 v[68:69], v[78:79], 0, v[68:69]
	v_fma_f64 v[19:20], v[70:71], v[80:81], v[19:20]
	v_fma_f64 v[96:97], v[72:73], v[80:81], v[62:63]
	v_fma_f64 v[78:79], 0x80000000, v[80:81], v[66:67]
	v_fma_f64 v[30:31], 0x80000000, v[80:81], v[30:31]
	v_fma_f64 v[98:99], 0x80000000, v[80:81], v[64:65]
	v_fma_f64 v[74:75], v[74:75], v[80:81], v[94:95]
	v_fma_f64 v[90:91], 0x80000000, v[80:81], v[90:91]
	v_fma_f64 v[76:77], v[76:77], v[80:81], v[68:69]
	s_clause 0x1
	global_load_b128 v[62:65], v[13:14], off offset:12368
	global_load_b128 v[66:69], v[13:14], off offset:12352
	global_load_b128 v[70:73], v[92:93], off offset:32
	;; [unrolled: 21-line block ×3, first 2 shown]
	v_add_co_u32 v13, vcc_lo, 0x4000, v13
	s_wait_alu 0xfffd
	v_add_co_ci_u32_e64 v14, null, 0, v14, vcc_lo
	v_cmp_ge_i64_e32 vcc_lo, v[9:10], v[11:12]
	s_wait_alu 0xfffe
	s_or_b32 s7, vcc_lo, s7
	s_wait_loadcnt 0xc
	v_fma_f64 v[19:20], v[42:43], 0, v[19:20]
	v_fma_f64 v[24:25], v[42:43], 0, v[24:25]
	v_fma_f64 v[28:29], v[34:35], v[42:43], v[96:97]
	v_fma_f64 v[22:23], v[36:37], v[42:43], v[22:23]
	v_fma_f64 v[30:31], v[38:39], v[42:43], v[30:31]
	v_fma_f64 v[92:93], v[42:43], 0, v[94:95]
	v_fma_f64 v[90:91], v[40:41], v[42:43], v[90:91]
	v_fma_f64 v[26:27], v[42:43], 0, v[26:27]
	v_fma_f64 v[19:20], v[34:35], v[44:45], v[19:20]
	v_fma_f64 v[24:25], v[36:37], v[44:45], v[24:25]
	v_fma_f64 v[28:29], 0x80000000, v[44:45], v[28:29]
	v_fma_f64 v[22:23], 0x80000000, v[44:45], v[22:23]
	v_fma_f64 v[30:31], 0x80000000, v[44:45], v[30:31]
	v_fma_f64 v[34:35], v[38:39], v[44:45], v[92:93]
	v_fma_f64 v[36:37], 0x80000000, v[44:45], v[90:91]
	v_fma_f64 v[26:27], v[40:41], v[44:45], v[26:27]
	s_wait_loadcnt 0x9
	v_fma_f64 v[19:20], v[46:47], 0, v[19:20]
	v_fma_f64 v[24:25], v[46:47], 0, v[24:25]
	v_fma_f64 v[28:29], v[86:87], v[46:47], v[28:29]
	v_fma_f64 v[22:23], v[88:89], v[46:47], v[22:23]
	v_fma_f64 v[30:31], v[82:83], v[46:47], v[30:31]
	v_fma_f64 v[34:35], v[46:47], 0, v[34:35]
	v_fma_f64 v[36:37], v[84:85], v[46:47], v[36:37]
	v_fma_f64 v[26:27], v[46:47], 0, v[26:27]
	v_fma_f64 v[19:20], v[86:87], v[48:49], v[19:20]
	v_fma_f64 v[24:25], v[88:89], v[48:49], v[24:25]
	v_fma_f64 v[28:29], 0x80000000, v[48:49], v[28:29]
	v_fma_f64 v[22:23], 0x80000000, v[48:49], v[22:23]
	v_fma_f64 v[30:31], 0x80000000, v[48:49], v[30:31]
	v_fma_f64 v[34:35], v[82:83], v[48:49], v[34:35]
	v_fma_f64 v[36:37], 0x80000000, v[48:49], v[36:37]
	v_fma_f64 v[26:27], v[84:85], v[48:49], v[26:27]
	;; [unrolled: 17-line block ×5, first 2 shown]
	s_wait_alu 0xfffe
	s_and_not1_b32 exec_lo, exec_lo, s7
	s_cbranch_execnz .LBB143_31
; %bb.32:
	s_or_b32 exec_lo, exec_lo, s7
.LBB143_33:
	s_wait_alu 0xfffe
	s_or_b32 exec_lo, exec_lo, s6
.LBB143_34:
	s_wait_alu 0xfffe
	s_or_b32 exec_lo, exec_lo, s3
.LBB143_35:
	v_mbcnt_lo_u32_b32 v42, -1, 0
	s_delay_alu instid0(VALU_DEP_1) | instskip(NEXT) | instid1(VALU_DEP_1)
	v_xor_b32_e32 v9, 16, v42
	v_cmp_gt_i32_e32 vcc_lo, 32, v9
	s_wait_alu 0xfffd
	v_cndmask_b32_e32 v9, v42, v9, vcc_lo
	s_delay_alu instid0(VALU_DEP_1)
	v_lshlrev_b32_e32 v41, 2, v9
	ds_bpermute_b32 v9, v41, v22
	ds_bpermute_b32 v10, v41, v23
	;; [unrolled: 1-line block ×6, first 2 shown]
	s_wait_dscnt 0x4
	v_add_f64_e32 v[9:10], v[22:23], v[9:10]
	s_wait_dscnt 0x2
	v_add_f64_e32 v[22:23], v[24:25], v[34:35]
	s_wait_dscnt 0x0
	v_add_f64_e32 v[24:25], v[26:27], v[36:37]
	v_xor_b32_e32 v26, 8, v42
	s_delay_alu instid0(VALU_DEP_1)
	v_cmp_gt_i32_e32 vcc_lo, 32, v26
	s_wait_alu 0xfffd
	v_cndmask_b32_e32 v26, v42, v26, vcc_lo
	ds_bpermute_b32 v11, v41, v19
	ds_bpermute_b32 v12, v41, v20
	;; [unrolled: 1-line block ×10, first 2 shown]
	s_wait_dscnt 0x8
	v_add_f64_e32 v[11:12], v[19:20], v[11:12]
	s_wait_dscnt 0x6
	v_add_f64_e32 v[13:14], v[30:31], v[13:14]
	;; [unrolled: 2-line block ×5, first 2 shown]
	v_lshlrev_b32_e32 v41, 2, v26
	ds_bpermute_b32 v26, v41, v9
	ds_bpermute_b32 v27, v41, v10
	;; [unrolled: 1-line block ×6, first 2 shown]
	s_wait_dscnt 0x4
	v_add_f64_e32 v[9:10], v[9:10], v[26:27]
	v_xor_b32_e32 v26, 4, v42
	s_wait_dscnt 0x2
	v_add_f64_e32 v[22:23], v[22:23], v[34:35]
	ds_bpermute_b32 v28, v41, v11
	ds_bpermute_b32 v29, v41, v12
	;; [unrolled: 1-line block ×10, first 2 shown]
	s_wait_dscnt 0xa
	v_add_f64_e32 v[24:25], v[24:25], v[36:37]
	v_cmp_gt_i32_e32 vcc_lo, 32, v26
	s_wait_alu 0xfffd
	v_cndmask_b32_e32 v26, v42, v26, vcc_lo
	s_wait_dscnt 0x8
	v_add_f64_e32 v[11:12], v[11:12], v[28:29]
	s_wait_dscnt 0x6
	v_add_f64_e32 v[13:14], v[13:14], v[30:31]
	;; [unrolled: 2-line block ×5, first 2 shown]
	v_lshlrev_b32_e32 v41, 2, v26
	ds_bpermute_b32 v26, v41, v9
	ds_bpermute_b32 v27, v41, v10
	;; [unrolled: 1-line block ×6, first 2 shown]
	s_wait_dscnt 0x4
	v_add_f64_e32 v[9:10], v[9:10], v[26:27]
	s_wait_dscnt 0x2
	v_add_f64_e32 v[22:23], v[22:23], v[34:35]
	ds_bpermute_b32 v28, v41, v11
	ds_bpermute_b32 v29, v41, v12
	;; [unrolled: 1-line block ×10, first 2 shown]
	s_wait_dscnt 0xa
	v_add_f64_e32 v[26:27], v[24:25], v[36:37]
	v_xor_b32_e32 v24, 2, v42
	s_delay_alu instid0(VALU_DEP_1)
	v_cmp_gt_i32_e32 vcc_lo, 32, v24
	s_wait_dscnt 0x8
	v_add_f64_e32 v[11:12], v[11:12], v[28:29]
	s_wait_alu 0xfffd
	v_cndmask_b32_e32 v24, v42, v24, vcc_lo
	s_wait_dscnt 0x6
	v_add_f64_e32 v[13:14], v[13:14], v[30:31]
	s_wait_dscnt 0x4
	v_add_f64_e32 v[19:20], v[19:20], v[32:33]
	;; [unrolled: 2-line block ×4, first 2 shown]
	v_lshlrev_b32_e32 v41, 2, v24
	ds_bpermute_b32 v24, v41, v9
	ds_bpermute_b32 v25, v41, v10
	;; [unrolled: 1-line block ×6, first 2 shown]
	s_wait_dscnt 0x4
	v_add_f64_e32 v[9:10], v[9:10], v[24:25]
	ds_bpermute_b32 v28, v41, v11
	ds_bpermute_b32 v29, v41, v12
	;; [unrolled: 1-line block ×10, first 2 shown]
	s_wait_dscnt 0x8
	v_add_f64_e32 v[28:29], v[11:12], v[28:29]
	s_wait_dscnt 0x6
	v_add_f64_e32 v[11:12], v[13:14], v[30:31]
	v_add_f64_e32 v[13:14], v[22:23], v[34:35]
	s_wait_dscnt 0x4
	v_add_f64_e32 v[24:25], v[19:20], v[32:33]
	;; [unrolled: 3-line block ×3, first 2 shown]
	v_xor_b32_e32 v22, 1, v42
	s_wait_dscnt 0x0
	v_add_f64_e32 v[17:18], v[17:18], v[40:41]
	s_delay_alu instid0(VALU_DEP_2) | instskip(SKIP_3) | instid1(VALU_DEP_2)
	v_cmp_gt_i32_e32 vcc_lo, 32, v22
	s_wait_alu 0xfffd
	v_cndmask_b32_e32 v22, v42, v22, vcc_lo
	v_cmp_eq_u32_e32 vcc_lo, 31, v0
	v_lshlrev_b32_e32 v35, 2, v22
	ds_bpermute_b32 v22, v35, v9
	ds_bpermute_b32 v23, v35, v10
	;; [unrolled: 1-line block ×16, first 2 shown]
	s_and_b32 exec_lo, exec_lo, vcc_lo
	s_cbranch_execz .LBB143_8
; %bb.36:
	s_wait_dscnt 0xc
	v_add_f64_e32 v[28:29], v[28:29], v[40:41]
	s_wait_dscnt 0x8
	v_add_f64_e32 v[24:25], v[24:25], v[38:39]
	;; [unrolled: 2-line block ×4, first 2 shown]
	v_add_f64_e32 v[9:10], v[9:10], v[22:23]
	v_add_f64_e32 v[11:12], v[11:12], v[26:27]
	;; [unrolled: 1-line block ×4, first 2 shown]
	v_cmp_eq_f64_e32 vcc_lo, 0, v[1:2]
	v_cmp_eq_f64_e64 s2, 0, v[3:4]
	s_load_b64 s[0:1], s[0:1], 0x60
	v_lshlrev_b32_e32 v21, 2, v21
	v_mul_f64_e64 v[13:14], v[28:29], -v[7:8]
	v_mul_f64_e32 v[15:16], v[5:6], v[28:29]
	v_mul_f64_e64 v[28:29], v[24:25], -v[7:8]
	v_mul_f64_e32 v[24:25], v[5:6], v[24:25]
	;; [unrolled: 2-line block ×4, first 2 shown]
	s_and_b32 s2, vcc_lo, s2
	v_fma_f64 v[17:18], v[5:6], v[9:10], v[13:14]
	v_fma_f64 v[19:20], v[7:8], v[9:10], v[15:16]
	;; [unrolled: 1-line block ×8, first 2 shown]
	s_wait_alu 0xfffe
	s_and_saveexec_b32 s3, s2
	s_wait_alu 0xfffe
	s_xor_b32 s2, exec_lo, s3
	s_cbranch_execz .LBB143_38
; %bb.37:
	v_ashrrev_i32_e32 v22, 31, v21
	s_delay_alu instid0(VALU_DEP_1) | instskip(SKIP_1) | instid1(VALU_DEP_1)
	v_lshlrev_b64_e32 v[0:1], 4, v[21:22]
                                        ; implicit-def: $vgpr21
	s_wait_kmcnt 0x0
	v_add_co_u32 v0, vcc_lo, s0, v0
	s_wait_alu 0xfffd
	s_delay_alu instid0(VALU_DEP_2)
	v_add_co_ci_u32_e64 v1, null, s1, v1, vcc_lo
	s_clause 0x3
	global_store_b128 v[0:1], v[17:20], off
	global_store_b128 v[0:1], v[13:16], off offset:16
	global_store_b128 v[0:1], v[9:12], off offset:32
	;; [unrolled: 1-line block ×3, first 2 shown]
                                        ; implicit-def: $vgpr3_vgpr4
                                        ; implicit-def: $vgpr17_vgpr18
                                        ; implicit-def: $vgpr13_vgpr14
                                        ; implicit-def: $vgpr9_vgpr10
                                        ; implicit-def: $vgpr5_vgpr6
.LBB143_38:
	s_wait_alu 0xfffe
	s_and_not1_saveexec_b32 s2, s2
	s_cbranch_execz .LBB143_8
; %bb.39:
	v_ashrrev_i32_e32 v22, 31, v21
	s_delay_alu instid0(VALU_DEP_1) | instskip(SKIP_1) | instid1(VALU_DEP_1)
	v_lshlrev_b64_e32 v[21:22], 4, v[21:22]
	s_wait_kmcnt 0x0
	v_add_co_u32 v37, vcc_lo, s0, v21
	s_wait_alu 0xfffd
	s_delay_alu instid0(VALU_DEP_2)
	v_add_co_ci_u32_e64 v38, null, s1, v22, vcc_lo
	s_clause 0x3
	global_load_b128 v[21:24], v[37:38], off
	global_load_b128 v[25:28], v[37:38], off offset:16
	global_load_b128 v[29:32], v[37:38], off offset:32
	;; [unrolled: 1-line block ×3, first 2 shown]
	s_wait_loadcnt 0x3
	v_fma_f64 v[17:18], v[1:2], v[21:22], v[17:18]
	v_fma_f64 v[19:20], v[3:4], v[21:22], v[19:20]
	s_wait_loadcnt 0x2
	v_fma_f64 v[13:14], v[1:2], v[25:26], v[13:14]
	v_fma_f64 v[15:16], v[3:4], v[25:26], v[15:16]
	;; [unrolled: 3-line block ×4, first 2 shown]
	v_fma_f64 v[5:6], -v[3:4], v[23:24], v[17:18]
	v_fma_f64 v[7:8], v[1:2], v[23:24], v[19:20]
	v_fma_f64 v[9:10], -v[3:4], v[27:28], v[13:14]
	v_fma_f64 v[11:12], v[1:2], v[27:28], v[15:16]
	;; [unrolled: 2-line block ×4, first 2 shown]
	s_clause 0x3
	global_store_b128 v[37:38], v[5:8], off
	global_store_b128 v[37:38], v[9:12], off offset:16
	global_store_b128 v[37:38], v[13:16], off offset:32
	;; [unrolled: 1-line block ×3, first 2 shown]
	s_nop 0
	s_sendmsg sendmsg(MSG_DEALLOC_VGPRS)
	s_endpgm
	.section	.rodata,"a",@progbits
	.p2align	6, 0x0
	.amdhsa_kernel _ZN9rocsparseL18bsrxmvn_4x4_kernelILj128ELj32E21rocsparse_complex_numIdElidS2_S2_EEvT3_20rocsparse_direction_NS_24const_host_device_scalarIT1_EES3_PKS3_PKT2_SC_S9_PKT4_PKT5_S7_PT6_21rocsparse_index_base_b
		.amdhsa_group_segment_fixed_size 0
		.amdhsa_private_segment_fixed_size 0
		.amdhsa_kernarg_size 112
		.amdhsa_user_sgpr_count 2
		.amdhsa_user_sgpr_dispatch_ptr 0
		.amdhsa_user_sgpr_queue_ptr 0
		.amdhsa_user_sgpr_kernarg_segment_ptr 1
		.amdhsa_user_sgpr_dispatch_id 0
		.amdhsa_user_sgpr_private_segment_size 0
		.amdhsa_wavefront_size32 1
		.amdhsa_uses_dynamic_stack 0
		.amdhsa_enable_private_segment 0
		.amdhsa_system_sgpr_workgroup_id_x 1
		.amdhsa_system_sgpr_workgroup_id_y 0
		.amdhsa_system_sgpr_workgroup_id_z 0
		.amdhsa_system_sgpr_workgroup_info 0
		.amdhsa_system_vgpr_workitem_id 0
		.amdhsa_next_free_vgpr 117
		.amdhsa_next_free_sgpr 14
		.amdhsa_reserve_vcc 1
		.amdhsa_float_round_mode_32 0
		.amdhsa_float_round_mode_16_64 0
		.amdhsa_float_denorm_mode_32 3
		.amdhsa_float_denorm_mode_16_64 3
		.amdhsa_fp16_overflow 0
		.amdhsa_workgroup_processor_mode 1
		.amdhsa_memory_ordered 1
		.amdhsa_forward_progress 1
		.amdhsa_inst_pref_size 94
		.amdhsa_round_robin_scheduling 0
		.amdhsa_exception_fp_ieee_invalid_op 0
		.amdhsa_exception_fp_denorm_src 0
		.amdhsa_exception_fp_ieee_div_zero 0
		.amdhsa_exception_fp_ieee_overflow 0
		.amdhsa_exception_fp_ieee_underflow 0
		.amdhsa_exception_fp_ieee_inexact 0
		.amdhsa_exception_int_div_zero 0
	.end_amdhsa_kernel
	.section	.text._ZN9rocsparseL18bsrxmvn_4x4_kernelILj128ELj32E21rocsparse_complex_numIdElidS2_S2_EEvT3_20rocsparse_direction_NS_24const_host_device_scalarIT1_EES3_PKS3_PKT2_SC_S9_PKT4_PKT5_S7_PT6_21rocsparse_index_base_b,"axG",@progbits,_ZN9rocsparseL18bsrxmvn_4x4_kernelILj128ELj32E21rocsparse_complex_numIdElidS2_S2_EEvT3_20rocsparse_direction_NS_24const_host_device_scalarIT1_EES3_PKS3_PKT2_SC_S9_PKT4_PKT5_S7_PT6_21rocsparse_index_base_b,comdat
.Lfunc_end143:
	.size	_ZN9rocsparseL18bsrxmvn_4x4_kernelILj128ELj32E21rocsparse_complex_numIdElidS2_S2_EEvT3_20rocsparse_direction_NS_24const_host_device_scalarIT1_EES3_PKS3_PKT2_SC_S9_PKT4_PKT5_S7_PT6_21rocsparse_index_base_b, .Lfunc_end143-_ZN9rocsparseL18bsrxmvn_4x4_kernelILj128ELj32E21rocsparse_complex_numIdElidS2_S2_EEvT3_20rocsparse_direction_NS_24const_host_device_scalarIT1_EES3_PKS3_PKT2_SC_S9_PKT4_PKT5_S7_PT6_21rocsparse_index_base_b
                                        ; -- End function
	.set _ZN9rocsparseL18bsrxmvn_4x4_kernelILj128ELj32E21rocsparse_complex_numIdElidS2_S2_EEvT3_20rocsparse_direction_NS_24const_host_device_scalarIT1_EES3_PKS3_PKT2_SC_S9_PKT4_PKT5_S7_PT6_21rocsparse_index_base_b.num_vgpr, 117
	.set _ZN9rocsparseL18bsrxmvn_4x4_kernelILj128ELj32E21rocsparse_complex_numIdElidS2_S2_EEvT3_20rocsparse_direction_NS_24const_host_device_scalarIT1_EES3_PKS3_PKT2_SC_S9_PKT4_PKT5_S7_PT6_21rocsparse_index_base_b.num_agpr, 0
	.set _ZN9rocsparseL18bsrxmvn_4x4_kernelILj128ELj32E21rocsparse_complex_numIdElidS2_S2_EEvT3_20rocsparse_direction_NS_24const_host_device_scalarIT1_EES3_PKS3_PKT2_SC_S9_PKT4_PKT5_S7_PT6_21rocsparse_index_base_b.numbered_sgpr, 14
	.set _ZN9rocsparseL18bsrxmvn_4x4_kernelILj128ELj32E21rocsparse_complex_numIdElidS2_S2_EEvT3_20rocsparse_direction_NS_24const_host_device_scalarIT1_EES3_PKS3_PKT2_SC_S9_PKT4_PKT5_S7_PT6_21rocsparse_index_base_b.num_named_barrier, 0
	.set _ZN9rocsparseL18bsrxmvn_4x4_kernelILj128ELj32E21rocsparse_complex_numIdElidS2_S2_EEvT3_20rocsparse_direction_NS_24const_host_device_scalarIT1_EES3_PKS3_PKT2_SC_S9_PKT4_PKT5_S7_PT6_21rocsparse_index_base_b.private_seg_size, 0
	.set _ZN9rocsparseL18bsrxmvn_4x4_kernelILj128ELj32E21rocsparse_complex_numIdElidS2_S2_EEvT3_20rocsparse_direction_NS_24const_host_device_scalarIT1_EES3_PKS3_PKT2_SC_S9_PKT4_PKT5_S7_PT6_21rocsparse_index_base_b.uses_vcc, 1
	.set _ZN9rocsparseL18bsrxmvn_4x4_kernelILj128ELj32E21rocsparse_complex_numIdElidS2_S2_EEvT3_20rocsparse_direction_NS_24const_host_device_scalarIT1_EES3_PKS3_PKT2_SC_S9_PKT4_PKT5_S7_PT6_21rocsparse_index_base_b.uses_flat_scratch, 0
	.set _ZN9rocsparseL18bsrxmvn_4x4_kernelILj128ELj32E21rocsparse_complex_numIdElidS2_S2_EEvT3_20rocsparse_direction_NS_24const_host_device_scalarIT1_EES3_PKS3_PKT2_SC_S9_PKT4_PKT5_S7_PT6_21rocsparse_index_base_b.has_dyn_sized_stack, 0
	.set _ZN9rocsparseL18bsrxmvn_4x4_kernelILj128ELj32E21rocsparse_complex_numIdElidS2_S2_EEvT3_20rocsparse_direction_NS_24const_host_device_scalarIT1_EES3_PKS3_PKT2_SC_S9_PKT4_PKT5_S7_PT6_21rocsparse_index_base_b.has_recursion, 0
	.set _ZN9rocsparseL18bsrxmvn_4x4_kernelILj128ELj32E21rocsparse_complex_numIdElidS2_S2_EEvT3_20rocsparse_direction_NS_24const_host_device_scalarIT1_EES3_PKS3_PKT2_SC_S9_PKT4_PKT5_S7_PT6_21rocsparse_index_base_b.has_indirect_call, 0
	.section	.AMDGPU.csdata,"",@progbits
; Kernel info:
; codeLenInByte = 12028
; TotalNumSgprs: 16
; NumVgprs: 117
; ScratchSize: 0
; MemoryBound: 0
; FloatMode: 240
; IeeeMode: 1
; LDSByteSize: 0 bytes/workgroup (compile time only)
; SGPRBlocks: 0
; VGPRBlocks: 14
; NumSGPRsForWavesPerEU: 16
; NumVGPRsForWavesPerEU: 117
; Occupancy: 12
; WaveLimiterHint : 1
; COMPUTE_PGM_RSRC2:SCRATCH_EN: 0
; COMPUTE_PGM_RSRC2:USER_SGPR: 2
; COMPUTE_PGM_RSRC2:TRAP_HANDLER: 0
; COMPUTE_PGM_RSRC2:TGID_X_EN: 1
; COMPUTE_PGM_RSRC2:TGID_Y_EN: 0
; COMPUTE_PGM_RSRC2:TGID_Z_EN: 0
; COMPUTE_PGM_RSRC2:TIDIG_COMP_CNT: 0
	.section	.text._ZN9rocsparseL18bsrxmvn_4x4_kernelILj128ELj64E21rocsparse_complex_numIdElidS2_S2_EEvT3_20rocsparse_direction_NS_24const_host_device_scalarIT1_EES3_PKS3_PKT2_SC_S9_PKT4_PKT5_S7_PT6_21rocsparse_index_base_b,"axG",@progbits,_ZN9rocsparseL18bsrxmvn_4x4_kernelILj128ELj64E21rocsparse_complex_numIdElidS2_S2_EEvT3_20rocsparse_direction_NS_24const_host_device_scalarIT1_EES3_PKS3_PKT2_SC_S9_PKT4_PKT5_S7_PT6_21rocsparse_index_base_b,comdat
	.globl	_ZN9rocsparseL18bsrxmvn_4x4_kernelILj128ELj64E21rocsparse_complex_numIdElidS2_S2_EEvT3_20rocsparse_direction_NS_24const_host_device_scalarIT1_EES3_PKS3_PKT2_SC_S9_PKT4_PKT5_S7_PT6_21rocsparse_index_base_b ; -- Begin function _ZN9rocsparseL18bsrxmvn_4x4_kernelILj128ELj64E21rocsparse_complex_numIdElidS2_S2_EEvT3_20rocsparse_direction_NS_24const_host_device_scalarIT1_EES3_PKS3_PKT2_SC_S9_PKT4_PKT5_S7_PT6_21rocsparse_index_base_b
	.p2align	8
	.type	_ZN9rocsparseL18bsrxmvn_4x4_kernelILj128ELj64E21rocsparse_complex_numIdElidS2_S2_EEvT3_20rocsparse_direction_NS_24const_host_device_scalarIT1_EES3_PKS3_PKT2_SC_S9_PKT4_PKT5_S7_PT6_21rocsparse_index_base_b,@function
_ZN9rocsparseL18bsrxmvn_4x4_kernelILj128ELj64E21rocsparse_complex_numIdElidS2_S2_EEvT3_20rocsparse_direction_NS_24const_host_device_scalarIT1_EES3_PKS3_PKT2_SC_S9_PKT4_PKT5_S7_PT6_21rocsparse_index_base_b: ; @_ZN9rocsparseL18bsrxmvn_4x4_kernelILj128ELj64E21rocsparse_complex_numIdElidS2_S2_EEvT3_20rocsparse_direction_NS_24const_host_device_scalarIT1_EES3_PKS3_PKT2_SC_S9_PKT4_PKT5_S7_PT6_21rocsparse_index_base_b
; %bb.0:
	s_clause 0x1
	s_load_b64 s[12:13], s[0:1], 0x68
	s_load_b64 s[2:3], s[0:1], 0x8
	s_add_nc_u64 s[4:5], s[0:1], 8
	s_load_b64 s[6:7], s[0:1], 0x50
	s_wait_kmcnt 0x0
	s_bitcmp1_b32 s13, 0
	s_cselect_b32 s2, s4, s2
	s_cselect_b32 s3, s5, s3
	s_delay_alu instid0(SALU_CYCLE_1)
	v_dual_mov_b32 v1, s2 :: v_dual_mov_b32 v2, s3
	s_add_nc_u64 s[2:3], s[0:1], 0x50
	s_wait_alu 0xfffe
	s_cselect_b32 s2, s2, s6
	s_cselect_b32 s3, s3, s7
	flat_load_b128 v[5:8], v[1:2]
	s_wait_alu 0xfffe
	v_dual_mov_b32 v1, s2 :: v_dual_mov_b32 v2, s3
	flat_load_b128 v[1:4], v[1:2]
	s_wait_loadcnt_dscnt 0x101
	v_cmp_eq_f64_e32 vcc_lo, 0, v[5:6]
	v_cmp_eq_f64_e64 s2, 0, v[7:8]
	s_and_b32 s4, vcc_lo, s2
	s_mov_b32 s2, -1
	s_and_saveexec_b32 s3, s4
	s_cbranch_execz .LBB144_2
; %bb.1:
	s_wait_loadcnt_dscnt 0x0
	v_cmp_neq_f64_e32 vcc_lo, 1.0, v[1:2]
	v_cmp_neq_f64_e64 s2, 0, v[3:4]
	s_wait_alu 0xfffe
	s_or_b32 s2, vcc_lo, s2
	s_wait_alu 0xfffe
	s_or_not1_b32 s2, s2, exec_lo
.LBB144_2:
	s_wait_alu 0xfffe
	s_or_b32 exec_lo, exec_lo, s3
	s_and_saveexec_b32 s3, s2
	s_cbranch_execz .LBB144_8
; %bb.3:
	s_clause 0x1
	s_load_b64 s[4:5], s[0:1], 0x20
	s_load_b64 s[2:3], s[0:1], 0x0
	v_lshrrev_b32_e32 v9, 6, v0
	s_delay_alu instid0(VALU_DEP_1)
	v_lshl_or_b32 v21, ttmp9, 1, v9
	s_wait_kmcnt 0x0
	s_cmp_lg_u64 s[4:5], 0
	s_cbranch_scc0 .LBB144_9
; %bb.4:
	s_load_b32 s6, s[0:1], 0x18
	s_mov_b32 s7, 0
                                        ; implicit-def: $vgpr9
	s_wait_kmcnt 0x0
	v_cmp_gt_i32_e32 vcc_lo, s6, v21
	s_mov_b32 s6, 0
	s_and_saveexec_b32 s8, vcc_lo
	s_delay_alu instid0(SALU_CYCLE_1)
	s_xor_b32 s8, exec_lo, s8
	s_cbranch_execz .LBB144_6
; %bb.5:
	v_ashrrev_i32_e32 v22, 31, v21
	s_mov_b32 s6, exec_lo
	s_delay_alu instid0(VALU_DEP_1) | instskip(NEXT) | instid1(VALU_DEP_1)
	v_lshlrev_b64_e32 v[9:10], 2, v[21:22]
	v_add_co_u32 v9, vcc_lo, s4, v9
	s_delay_alu instid0(VALU_DEP_1)
	v_add_co_ci_u32_e64 v10, null, s5, v10, vcc_lo
	global_load_b32 v9, v[9:10], off
	s_wait_loadcnt 0x0
	v_subrev_nc_u32_e32 v9, s12, v9
.LBB144_6:
	s_or_b32 exec_lo, exec_lo, s8
	s_delay_alu instid0(SALU_CYCLE_1)
	s_and_b32 vcc_lo, exec_lo, s7
	s_wait_alu 0xfffe
	s_cbranch_vccz .LBB144_10
.LBB144_7:
	v_cmp_gt_i32_e32 vcc_lo, s2, v21
	s_and_not1_b32 s2, s6, exec_lo
	s_and_b32 s4, vcc_lo, exec_lo
	s_wait_alu 0xfffe
	s_or_b32 s6, s2, s4
	s_wait_alu 0xfffe
	s_and_b32 exec_lo, exec_lo, s6
	s_cbranch_execnz .LBB144_11
.LBB144_8:
	s_nop 0
	s_sendmsg sendmsg(MSG_DEALLOC_VGPRS)
	s_endpgm
.LBB144_9:
	s_mov_b32 s6, 0
                                        ; implicit-def: $vgpr9
	s_cbranch_execnz .LBB144_7
.LBB144_10:
	v_mov_b32_e32 v21, v9
	s_and_b32 exec_lo, exec_lo, s6
	s_cbranch_execz .LBB144_8
.LBB144_11:
	s_load_b256 s[4:11], s[0:1], 0x28
	s_delay_alu instid0(VALU_DEP_1) | instskip(SKIP_1) | instid1(VALU_DEP_2)
	v_ashrrev_i32_e32 v22, 31, v21
	v_and_b32_e32 v0, 63, v0
	v_lshlrev_b64_e32 v[9:10], 3, v[21:22]
	s_wait_kmcnt 0x0
	s_delay_alu instid0(VALU_DEP_1) | instskip(SKIP_1) | instid1(VALU_DEP_2)
	v_add_co_u32 v11, vcc_lo, s4, v9
	s_wait_alu 0xfffd
	v_add_co_ci_u32_e64 v12, null, s5, v10, vcc_lo
	v_add_co_u32 v9, vcc_lo, s6, v9
	s_wait_alu 0xfffd
	v_add_co_ci_u32_e64 v10, null, s7, v10, vcc_lo
	v_add_co_u32 v13, vcc_lo, v11, 8
	global_load_b64 v[32:33], v[11:12], off
	s_wait_alu 0xfffd
	v_add_co_ci_u32_e64 v14, null, 0, v12, vcc_lo
	s_cmp_eq_u64 s[6:7], 0
	s_load_b64 s[4:5], s[0:1], 0x48
	s_cselect_b32 vcc_lo, -1, 0
	s_cmp_eq_u32 s3, 1
	s_wait_alu 0xfffe
	v_dual_cndmask_b32 v10, v10, v14 :: v_dual_cndmask_b32 v9, v9, v13
	global_load_b64 v[11:12], v[9:10], off
	s_wait_loadcnt 0x1
	v_sub_co_u32 v9, vcc_lo, v32, s12
	s_wait_alu 0xfffd
	v_subrev_co_ci_u32_e64 v10, null, 0, v33, vcc_lo
	s_delay_alu instid0(VALU_DEP_2) | instskip(SKIP_1) | instid1(VALU_DEP_2)
	v_add_co_u32 v9, vcc_lo, v9, v0
	s_wait_alu 0xfffd
	v_add_co_ci_u32_e64 v10, null, 0, v10, vcc_lo
	s_delay_alu instid0(VALU_DEP_1) | instskip(SKIP_4) | instid1(VALU_DEP_3)
	v_lshlrev_b64_e32 v[13:14], 7, v[9:10]
	s_wait_loadcnt 0x0
	v_sub_co_u32 v11, vcc_lo, v11, s12
	s_wait_alu 0xfffd
	v_subrev_co_ci_u32_e64 v12, null, 0, v12, vcc_lo
	v_add_co_u32 v13, vcc_lo, s10, v13
	s_delay_alu instid0(VALU_DEP_2)
	v_cmp_lt_i64_e64 s2, v[9:10], v[11:12]
	s_wait_alu 0xfffd
	v_add_co_ci_u32_e64 v14, null, s11, v14, vcc_lo
	s_cbranch_scc1 .LBB144_23
; %bb.12:
	v_mov_b32_e32 v28, 0
	v_dual_mov_b32 v26, 0 :: v_dual_mov_b32 v17, 0
	v_dual_mov_b32 v19, 0 :: v_dual_mov_b32 v22, 0
	;; [unrolled: 1-line block ×6, first 2 shown]
	v_mov_b32_e32 v31, 0
	v_dual_mov_b32 v25, 0 :: v_dual_mov_b32 v16, 0
	s_and_saveexec_b32 s6, s2
	s_cbranch_execz .LBB144_22
; %bb.13:
	v_or_b32_e32 v15, 64, v0
	v_not_b32_e32 v20, v32
	v_not_b32_e32 v19, v33
	v_dual_mov_b32 v35, 0 :: v_dual_mov_b32 v28, 0
	s_delay_alu instid0(VALU_DEP_4) | instskip(SKIP_3) | instid1(VALU_DEP_3)
	v_sub_co_u32 v15, s3, v15, s12
	s_wait_alu 0xf1ff
	v_sub_co_ci_u32_e64 v16, null, 0, 0, s3
	v_sub_co_u32 v22, s3, s12, v0
	v_add_co_u32 v17, vcc_lo, v15, v32
	s_wait_alu 0xfffd
	s_delay_alu instid0(VALU_DEP_3) | instskip(SKIP_3) | instid1(VALU_DEP_3)
	v_add_co_ci_u32_e64 v18, null, v16, v33, vcc_lo
	s_wait_alu 0xf1ff
	v_sub_co_ci_u32_e64 v23, null, 0, 0, s3
	v_add_co_u32 v20, s3, v22, v20
	v_cmp_gt_i64_e32 vcc_lo, v[17:18], v[11:12]
	v_mov_b32_e32 v15, 0
	s_wait_alu 0xf1ff
	v_add_co_ci_u32_e64 v19, null, v23, v19, s3
	v_mov_b32_e32 v16, 0
	v_mov_b32_e32 v26, 0
	s_wait_alu 0xfffd
	v_cndmask_b32_e32 v24, v11, v17, vcc_lo
	v_dual_cndmask_b32 v22, v12, v18 :: v_dual_mov_b32 v17, 0
	v_mov_b32_e32 v30, 0
	v_mov_b32_e32 v18, 0
	s_delay_alu instid0(VALU_DEP_4) | instskip(SKIP_2) | instid1(VALU_DEP_2)
	v_add_co_u32 v38, vcc_lo, v20, v24
	s_wait_alu 0xfffd
	v_add_co_ci_u32_e64 v39, null, v19, v22, vcc_lo
	v_dual_mov_b32 v19, 0 :: v_dual_and_b32 v34, 0xc0, v38
	v_dual_mov_b32 v29, 0 :: v_dual_mov_b32 v24, 0
	v_dual_mov_b32 v27, 0 :: v_dual_mov_b32 v22, 0
	;; [unrolled: 1-line block ×3, first 2 shown]
	s_delay_alu instid0(VALU_DEP_4)
	v_cmp_ne_u64_e32 vcc_lo, 0xc0, v[34:35]
	v_mov_b32_e32 v35, v10
	v_mov_b32_e32 v25, 0
	;; [unrolled: 1-line block ×3, first 2 shown]
	v_dual_mov_b32 v23, 0 :: v_dual_mov_b32 v36, v13
	v_mov_b32_e32 v34, v9
	s_and_saveexec_b32 s7, vcc_lo
	s_cbranch_execz .LBB144_17
; %bb.14:
	v_lshrrev_b32_e32 v17, 6, v38
	v_lshlrev_b64_e32 v[15:16], 2, v[9:10]
	v_mov_b32_e32 v19, 0
	v_dual_mov_b32 v35, v10 :: v_dual_mov_b32 v22, 0
	s_delay_alu instid0(VALU_DEP_4) | instskip(SKIP_2) | instid1(VALU_DEP_3)
	v_dual_mov_b32 v20, 0 :: v_dual_add_nc_u32 v17, 1, v17
	v_dual_mov_b32 v23, 0 :: v_dual_mov_b32 v28, 0
	v_add_co_u32 v40, vcc_lo, s8, v15
	v_dual_mov_b32 v26, 0 :: v_dual_and_b32 v17, 3, v17
	v_dual_mov_b32 v29, 0 :: v_dual_mov_b32 v30, 0
	s_wait_alu 0xfffd
	v_add_co_ci_u32_e64 v41, null, s9, v16, vcc_lo
	s_delay_alu instid0(VALU_DEP_3)
	v_sub_co_u32 v42, s3, 0, v17
	v_dual_mov_b32 v31, 0 :: v_dual_mov_b32 v24, 0
	v_mov_b32_e32 v17, 0
	v_mov_b32_e32 v15, 0
	v_dual_mov_b32 v37, v14 :: v_dual_mov_b32 v34, v9
	s_wait_alu 0xf1ff
	v_sub_co_ci_u32_e64 v43, null, 0, 0, s3
	v_dual_mov_b32 v27, 0 :: v_dual_mov_b32 v18, 0
	v_dual_mov_b32 v25, 0 :: v_dual_mov_b32 v16, 0
	v_mov_b32_e32 v36, v13
	s_mov_b32 s10, 0
.LBB144_15:                             ; =>This Inner Loop Header: Depth=1
	global_load_b32 v76, v[40:41], off
	s_clause 0x7
	global_load_b128 v[44:47], v[36:37], off offset:48
	global_load_b128 v[48:51], v[36:37], off offset:32
	;; [unrolled: 1-line block ×3, first 2 shown]
	global_load_b128 v[56:59], v[36:37], off
	global_load_b128 v[60:63], v[36:37], off offset:112
	global_load_b128 v[64:67], v[36:37], off offset:96
	;; [unrolled: 1-line block ×4, first 2 shown]
	v_add_co_u32 v40, s3, 0x100, v40
	s_wait_alu 0xf1ff
	v_add_co_ci_u32_e64 v41, null, 0, v41, s3
	s_wait_loadcnt 0x8
	v_subrev_nc_u32_e32 v76, s12, v76
	s_delay_alu instid0(VALU_DEP_1) | instskip(NEXT) | instid1(VALU_DEP_1)
	v_lshlrev_b32_e32 v76, 2, v76
	v_ashrrev_i32_e32 v77, 31, v76
	s_delay_alu instid0(VALU_DEP_1) | instskip(SKIP_1) | instid1(VALU_DEP_1)
	v_lshlrev_b64_e32 v[76:77], 4, v[76:77]
	s_wait_kmcnt 0x0
	v_add_co_u32 v88, vcc_lo, s4, v76
	s_wait_alu 0xfffd
	s_delay_alu instid0(VALU_DEP_2)
	v_add_co_ci_u32_e64 v89, null, s5, v77, vcc_lo
	v_add_co_u32 v36, vcc_lo, 0x2000, v36
	s_wait_alu 0xfffd
	v_add_co_ci_u32_e64 v37, null, 0, v37, vcc_lo
	s_clause 0x3
	global_load_b128 v[76:79], v[88:89], off
	global_load_b128 v[80:83], v[88:89], off offset:16
	global_load_b128 v[84:87], v[88:89], off offset:32
	;; [unrolled: 1-line block ×3, first 2 shown]
	v_add_co_u32 v42, vcc_lo, v42, 1
	s_wait_alu 0xfffd
	v_add_co_ci_u32_e64 v43, null, 0, v43, vcc_lo
	v_add_co_u32 v34, vcc_lo, v34, 64
	s_wait_alu 0xfffd
	v_add_co_ci_u32_e64 v35, null, 0, v35, vcc_lo
	s_delay_alu instid0(VALU_DEP_3)
	v_cmp_eq_u64_e32 vcc_lo, 0, v[42:43]
	s_wait_alu 0xfffe
	s_or_b32 s10, vcc_lo, s10
	s_wait_loadcnt 0x3
	v_fma_f64 v[22:23], v[56:57], v[76:77], v[22:23]
	v_fma_f64 v[19:20], v[76:77], 0, v[19:20]
	v_fma_f64 v[30:31], v[48:49], v[76:77], v[30:31]
	v_fma_f64 v[28:29], v[76:77], 0, v[28:29]
	v_fma_f64 v[24:25], v[72:73], v[76:77], v[24:25]
	v_fma_f64 v[26:27], v[76:77], 0, v[26:27]
	v_fma_f64 v[15:16], v[64:65], v[76:77], v[15:16]
	v_fma_f64 v[17:18], v[76:77], 0, v[17:18]
	v_fma_f64 v[22:23], 0x80000000, v[78:79], v[22:23]
	v_fma_f64 v[19:20], v[56:57], v[78:79], v[19:20]
	v_fma_f64 v[30:31], 0x80000000, v[78:79], v[30:31]
	v_fma_f64 v[28:29], v[48:49], v[78:79], v[28:29]
	v_fma_f64 v[24:25], 0x80000000, v[78:79], v[24:25]
	v_fma_f64 v[26:27], v[72:73], v[78:79], v[26:27]
	v_fma_f64 v[15:16], 0x80000000, v[78:79], v[15:16]
	v_fma_f64 v[17:18], v[64:65], v[78:79], v[17:18]
	s_wait_loadcnt 0x2
	v_fma_f64 v[22:23], v[58:59], v[80:81], v[22:23]
	v_fma_f64 v[19:20], v[80:81], 0, v[19:20]
	v_fma_f64 v[30:31], v[50:51], v[80:81], v[30:31]
	v_fma_f64 v[28:29], v[80:81], 0, v[28:29]
	v_fma_f64 v[24:25], v[74:75], v[80:81], v[24:25]
	v_fma_f64 v[26:27], v[80:81], 0, v[26:27]
	v_fma_f64 v[15:16], v[66:67], v[80:81], v[15:16]
	v_fma_f64 v[17:18], v[80:81], 0, v[17:18]
	v_fma_f64 v[22:23], 0x80000000, v[82:83], v[22:23]
	v_fma_f64 v[19:20], v[58:59], v[82:83], v[19:20]
	v_fma_f64 v[30:31], 0x80000000, v[82:83], v[30:31]
	v_fma_f64 v[28:29], v[50:51], v[82:83], v[28:29]
	v_fma_f64 v[24:25], 0x80000000, v[82:83], v[24:25]
	v_fma_f64 v[26:27], v[74:75], v[82:83], v[26:27]
	v_fma_f64 v[15:16], 0x80000000, v[82:83], v[15:16]
	v_fma_f64 v[17:18], v[66:67], v[82:83], v[17:18]
	;; [unrolled: 17-line block ×4, first 2 shown]
	s_wait_alu 0xfffe
	s_and_not1_b32 exec_lo, exec_lo, s10
	s_cbranch_execnz .LBB144_15
; %bb.16:
	s_or_b32 exec_lo, exec_lo, s10
.LBB144_17:
	s_wait_alu 0xfffe
	s_or_b32 exec_lo, exec_lo, s7
	s_delay_alu instid0(SALU_CYCLE_1)
	s_mov_b32 s7, exec_lo
	v_cmpx_lt_u64_e32 0xbf, v[38:39]
	s_cbranch_execz .LBB144_21
; %bb.18:
	v_lshlrev_b64_e32 v[38:39], 2, v[34:35]
	s_mov_b32 s10, 0
	s_delay_alu instid0(VALU_DEP_1) | instskip(SKIP_1) | instid1(VALU_DEP_2)
	v_add_co_u32 v38, vcc_lo, s8, v38
	s_wait_alu 0xfffd
	v_add_co_ci_u32_e64 v39, null, s9, v39, vcc_lo
	s_delay_alu instid0(VALU_DEP_2) | instskip(SKIP_1) | instid1(VALU_DEP_2)
	v_add_co_u32 v38, vcc_lo, 0x200, v38
	s_wait_alu 0xfffd
	v_add_co_ci_u32_e64 v39, null, 0, v39, vcc_lo
.LBB144_19:                             ; =>This Inner Loop Header: Depth=1
	s_clause 0x1
	global_load_b32 v56, v[38:39], off offset:-512
	global_load_b32 v104, v[38:39], off offset:-256
	s_clause 0x3
	global_load_b128 v[40:43], v[36:37], off offset:32
	global_load_b128 v[44:47], v[36:37], off
	global_load_b128 v[48:51], v[36:37], off offset:96
	global_load_b128 v[52:55], v[36:37], off offset:64
	s_clause 0x1
	global_load_b32 v114, v[38:39], off
	global_load_b32 v116, v[38:39], off offset:256
	v_add_co_u32 v38, s3, 0x400, v38
	s_wait_alu 0xf1ff
	v_add_co_ci_u32_e64 v39, null, 0, v39, s3
	s_wait_loadcnt 0x7
	v_subrev_nc_u32_e32 v56, s12, v56
	s_wait_loadcnt 0x6
	v_subrev_nc_u32_e32 v104, s12, v104
	s_delay_alu instid0(VALU_DEP_2) | instskip(NEXT) | instid1(VALU_DEP_2)
	v_lshlrev_b32_e32 v56, 2, v56
	v_lshlrev_b32_e32 v104, 2, v104
	s_wait_loadcnt 0x1
	v_subrev_nc_u32_e32 v114, s12, v114
	s_delay_alu instid0(VALU_DEP_3) | instskip(NEXT) | instid1(VALU_DEP_3)
	v_ashrrev_i32_e32 v57, 31, v56
	v_ashrrev_i32_e32 v105, 31, v104
	s_delay_alu instid0(VALU_DEP_3) | instskip(NEXT) | instid1(VALU_DEP_3)
	v_lshlrev_b32_e32 v114, 2, v114
	v_lshlrev_b64_e32 v[56:57], 4, v[56:57]
	s_delay_alu instid0(VALU_DEP_3) | instskip(NEXT) | instid1(VALU_DEP_3)
	v_lshlrev_b64_e32 v[104:105], 4, v[104:105]
	v_ashrrev_i32_e32 v115, 31, v114
	s_wait_kmcnt 0x0
	s_delay_alu instid0(VALU_DEP_3)
	v_add_co_u32 v84, vcc_lo, s4, v56
	s_wait_alu 0xfffd
	v_add_co_ci_u32_e64 v85, null, s5, v57, vcc_lo
	v_add_co_u32 v108, vcc_lo, s4, v104
	s_wait_alu 0xfffd
	v_add_co_ci_u32_e64 v109, null, s5, v105, vcc_lo
	s_clause 0x1
	global_load_b128 v[56:59], v[84:85], off
	global_load_b128 v[60:63], v[84:85], off offset:16
	s_clause 0x3
	global_load_b128 v[64:67], v[36:37], off offset:48
	global_load_b128 v[68:71], v[36:37], off offset:16
	;; [unrolled: 1-line block ×4, first 2 shown]
	s_clause 0x1
	global_load_b128 v[80:83], v[84:85], off offset:32
	global_load_b128 v[84:87], v[84:85], off offset:48
	s_clause 0x3
	global_load_b128 v[88:91], v[36:37], off offset:8224
	global_load_b128 v[92:95], v[36:37], off offset:8192
	global_load_b128 v[96:99], v[36:37], off offset:8288
	global_load_b128 v[100:103], v[36:37], off offset:8256
	global_load_b128 v[104:107], v[108:109], off
	s_wait_loadcnt 0xc
	v_fma_f64 v[19:20], v[56:57], 0, v[19:20]
	v_fma_f64 v[28:29], v[56:57], 0, v[28:29]
	;; [unrolled: 1-line block ×16, first 2 shown]
	global_load_b128 v[15:18], v[108:109], off offset:16
	s_wait_loadcnt 0xc
	v_fma_f64 v[19:20], v[60:61], 0, v[19:20]
	v_fma_f64 v[28:29], v[60:61], 0, v[28:29]
	;; [unrolled: 1-line block ×16, first 2 shown]
	s_clause 0x3
	global_load_b128 v[22:25], v[36:37], off offset:8240
	global_load_b128 v[26:29], v[36:37], off offset:8208
	;; [unrolled: 1-line block ×5, first 2 shown]
	s_wait_loadcnt 0xc
	v_fma_f64 v[19:20], v[80:81], 0, v[19:20]
	v_fma_f64 v[52:53], v[80:81], 0, v[52:53]
	;; [unrolled: 1-line block ×16, first 2 shown]
	global_load_b128 v[52:55], v[108:109], off offset:48
	s_wait_loadcnt 0xc
	v_fma_f64 v[19:20], v[84:85], 0, v[19:20]
	v_fma_f64 v[64:65], v[84:85], 0, v[64:65]
	;; [unrolled: 1-line block ×8, first 2 shown]
	s_clause 0x3
	global_load_b128 v[56:59], v[36:37], off offset:16416
	global_load_b128 v[60:63], v[36:37], off offset:16384
	;; [unrolled: 1-line block ×4, first 2 shown]
	v_fma_f64 v[19:20], v[70:71], v[86:87], v[19:20]
	v_fma_f64 v[70:71], v[66:67], v[86:87], v[64:65]
	;; [unrolled: 1-line block ×8, first 2 shown]
	v_lshlrev_b64_e32 v[64:65], 4, v[114:115]
	s_delay_alu instid0(VALU_DEP_1) | instskip(SKIP_1) | instid1(VALU_DEP_2)
	v_add_co_u32 v112, vcc_lo, s4, v64
	s_wait_alu 0xfffd
	v_add_co_ci_u32_e64 v113, null, s5, v65, vcc_lo
	global_load_b128 v[64:67], v[112:113], off
	s_wait_loadcnt 0xc
	v_fma_f64 v[19:20], v[104:105], 0, v[19:20]
	v_fma_f64 v[70:71], v[104:105], 0, v[70:71]
	;; [unrolled: 1-line block ×16, first 2 shown]
	global_load_b128 v[68:71], v[112:113], off offset:16
	s_wait_loadcnt 0xc
	v_fma_f64 v[19:20], v[15:16], 0, v[19:20]
	v_fma_f64 v[84:85], v[15:16], 0, v[84:85]
	;; [unrolled: 1-line block ×16, first 2 shown]
	s_clause 0x3
	global_load_b128 v[15:18], v[36:37], off offset:16432
	global_load_b128 v[72:75], v[36:37], off offset:16400
	;; [unrolled: 1-line block ×5, first 2 shown]
	s_wait_loadcnt 0xc
	v_fma_f64 v[19:20], v[48:49], 0, v[19:20]
	v_fma_f64 v[92:93], v[48:49], 0, v[92:93]
	;; [unrolled: 1-line block ×16, first 2 shown]
	global_load_b128 v[48:51], v[112:113], off offset:48
	s_wait_loadcnt 0xc
	v_fma_f64 v[19:20], v[52:53], 0, v[19:20]
	v_fma_f64 v[22:23], v[52:53], 0, v[22:23]
	;; [unrolled: 1-line block ×8, first 2 shown]
	v_subrev_nc_u32_e32 v52, s12, v116
	s_clause 0x3
	global_load_b128 v[92:95], v[36:37], off offset:24608
	global_load_b128 v[96:99], v[36:37], off offset:24576
	;; [unrolled: 1-line block ×4, first 2 shown]
	v_lshlrev_b32_e32 v52, 2, v52
	s_delay_alu instid0(VALU_DEP_1)
	v_ashrrev_i32_e32 v53, 31, v52
	v_fma_f64 v[19:20], v[28:29], v[54:55], v[19:20]
	v_fma_f64 v[28:29], v[24:25], v[54:55], v[22:23]
	;; [unrolled: 1-line block ×8, first 2 shown]
	v_lshlrev_b64_e32 v[22:23], 4, v[52:53]
	s_delay_alu instid0(VALU_DEP_1) | instskip(SKIP_1) | instid1(VALU_DEP_2)
	v_add_co_u32 v114, vcc_lo, s4, v22
	s_wait_alu 0xfffd
	v_add_co_ci_u32_e64 v115, null, s5, v23, vcc_lo
	v_add_co_u32 v34, vcc_lo, 0x100, v34
	s_wait_alu 0xfffd
	v_add_co_ci_u32_e64 v35, null, 0, v35, vcc_lo
	global_load_b128 v[22:25], v[114:115], off
	s_wait_loadcnt 0xc
	v_fma_f64 v[19:20], v[64:65], 0, v[19:20]
	v_fma_f64 v[28:29], v[64:65], 0, v[28:29]
	;; [unrolled: 1-line block ×16, first 2 shown]
	global_load_b128 v[26:29], v[114:115], off offset:16
	s_wait_loadcnt 0xc
	v_fma_f64 v[19:20], v[68:69], 0, v[19:20]
	v_fma_f64 v[52:53], v[68:69], 0, v[52:53]
	;; [unrolled: 1-line block ×16, first 2 shown]
	s_clause 0x3
	global_load_b128 v[40:43], v[36:37], off offset:24624
	global_load_b128 v[44:47], v[36:37], off offset:24592
	;; [unrolled: 1-line block ×5, first 2 shown]
	v_add_co_u32 v36, vcc_lo, 0x8000, v36
	s_wait_alu 0xfffd
	v_add_co_ci_u32_e64 v37, null, 0, v37, vcc_lo
	v_cmp_ge_i64_e32 vcc_lo, v[34:35], v[11:12]
	s_wait_alu 0xfffe
	s_or_b32 s10, vcc_lo, s10
	s_wait_loadcnt 0xc
	v_fma_f64 v[19:20], v[88:89], 0, v[19:20]
	v_fma_f64 v[66:67], v[88:89], 0, v[66:67]
	;; [unrolled: 1-line block ×16, first 2 shown]
	global_load_b128 v[64:67], v[114:115], off offset:48
	s_wait_loadcnt 0xc
	v_fma_f64 v[19:20], v[48:49], 0, v[19:20]
	v_fma_f64 v[15:16], v[48:49], 0, v[15:16]
	v_fma_f64 v[72:73], v[48:49], 0, v[72:73]
	v_fma_f64 v[76:77], v[74:75], v[48:49], v[88:89]
	v_fma_f64 v[30:31], v[17:18], v[48:49], v[30:31]
	v_fma_f64 v[68:69], v[86:87], v[48:49], v[68:69]
	v_fma_f64 v[80:81], v[78:79], v[48:49], v[80:81]
	v_fma_f64 v[48:49], v[48:49], 0, v[70:71]
	v_fma_f64 v[19:20], v[74:75], v[50:51], v[19:20]
	v_fma_f64 v[15:16], v[17:18], v[50:51], v[15:16]
	v_fma_f64 v[70:71], 0x80000000, v[50:51], v[76:77]
	v_fma_f64 v[30:31], 0x80000000, v[50:51], v[30:31]
	v_fma_f64 v[17:18], 0x80000000, v[50:51], v[68:69]
	v_fma_f64 v[68:69], v[86:87], v[50:51], v[72:73]
	v_fma_f64 v[72:73], 0x80000000, v[50:51], v[80:81]
	v_fma_f64 v[48:49], v[78:79], v[50:51], v[48:49]
	s_wait_loadcnt 0x7
	v_fma_f64 v[19:20], v[22:23], 0, v[19:20]
	v_fma_f64 v[15:16], v[22:23], 0, v[15:16]
	v_fma_f64 v[50:51], v[96:97], v[22:23], v[70:71]
	v_fma_f64 v[30:31], v[92:93], v[22:23], v[30:31]
	v_fma_f64 v[17:18], v[104:105], v[22:23], v[17:18]
	v_fma_f64 v[68:69], v[22:23], 0, v[68:69]
	v_fma_f64 v[70:71], v[100:101], v[22:23], v[72:73]
	v_fma_f64 v[22:23], v[22:23], 0, v[48:49]
	v_fma_f64 v[19:20], v[96:97], v[24:25], v[19:20]
	v_fma_f64 v[15:16], v[92:93], v[24:25], v[15:16]
	v_fma_f64 v[48:49], 0x80000000, v[24:25], v[50:51]
	v_fma_f64 v[30:31], 0x80000000, v[24:25], v[30:31]
	v_fma_f64 v[17:18], 0x80000000, v[24:25], v[17:18]
	v_fma_f64 v[50:51], v[104:105], v[24:25], v[68:69]
	v_fma_f64 v[68:69], 0x80000000, v[24:25], v[70:71]
	v_fma_f64 v[22:23], v[100:101], v[24:25], v[22:23]
	;; [unrolled: 17-line block ×5, first 2 shown]
	s_wait_alu 0xfffe
	s_and_not1_b32 exec_lo, exec_lo, s10
	s_cbranch_execnz .LBB144_19
; %bb.20:
	s_or_b32 exec_lo, exec_lo, s10
.LBB144_21:
	s_wait_alu 0xfffe
	s_or_b32 exec_lo, exec_lo, s7
.LBB144_22:
	s_wait_alu 0xfffe
	s_or_b32 exec_lo, exec_lo, s6
	s_cbranch_execz .LBB144_24
	s_branch .LBB144_35
.LBB144_23:
                                        ; implicit-def: $vgpr19_vgpr20
                                        ; implicit-def: $vgpr22_vgpr23
                                        ; implicit-def: $vgpr28_vgpr29
                                        ; implicit-def: $vgpr30_vgpr31
                                        ; implicit-def: $vgpr26_vgpr27
                                        ; implicit-def: $vgpr24_vgpr25
                                        ; implicit-def: $vgpr17_vgpr18
                                        ; implicit-def: $vgpr15_vgpr16
.LBB144_24:
	v_mov_b32_e32 v28, 0
	v_dual_mov_b32 v26, 0 :: v_dual_mov_b32 v17, 0
	v_dual_mov_b32 v19, 0 :: v_dual_mov_b32 v22, 0
	;; [unrolled: 1-line block ×6, first 2 shown]
	v_mov_b32_e32 v31, 0
	v_dual_mov_b32 v25, 0 :: v_dual_mov_b32 v16, 0
	s_and_saveexec_b32 s3, s2
	s_cbranch_execz .LBB144_34
; %bb.25:
	v_or_b32_e32 v15, 64, v0
	v_not_b32_e32 v18, v32
	v_not_b32_e32 v17, v33
	v_mov_b32_e32 v24, 0
	v_dual_mov_b32 v25, 0 :: v_dual_mov_b32 v26, 0
	v_sub_co_u32 v15, s2, v15, s12
	s_wait_alu 0xf1ff
	v_sub_co_ci_u32_e64 v16, null, 0, 0, s2
	v_sub_co_u32 v19, s2, s12, v0
	s_delay_alu instid0(VALU_DEP_3) | instskip(SKIP_1) | instid1(VALU_DEP_3)
	v_add_co_u32 v15, vcc_lo, v15, v32
	s_wait_alu 0xfffd
	v_add_co_ci_u32_e64 v16, null, v16, v33, vcc_lo
	s_wait_alu 0xf1ff
	v_sub_co_ci_u32_e64 v22, null, 0, 0, s2
	v_add_co_u32 v18, s2, v19, v18
	s_delay_alu instid0(VALU_DEP_3)
	v_cmp_gt_i64_e32 vcc_lo, v[15:16], v[11:12]
	v_mov_b32_e32 v20, 0
	s_wait_alu 0xf1ff
	v_add_co_ci_u32_e64 v22, null, v22, v17, s2
	v_dual_mov_b32 v27, 0 :: v_dual_mov_b32 v28, 0
	s_wait_alu 0xfffd
	v_cndmask_b32_e32 v23, v11, v15, vcc_lo
	v_cndmask_b32_e32 v19, v12, v16, vcc_lo
	v_mov_b32_e32 v15, 0
	v_dual_mov_b32 v16, 0 :: v_dual_mov_b32 v29, 0
	s_delay_alu instid0(VALU_DEP_4) | instskip(SKIP_3) | instid1(VALU_DEP_3)
	v_add_co_u32 v32, vcc_lo, v18, v23
	s_wait_alu 0xfffd
	v_add_co_ci_u32_e64 v33, null, v22, v19, vcc_lo
	v_mov_b32_e32 v17, 0
	v_dual_mov_b32 v30, 0 :: v_dual_and_b32 v19, 0xc0, v32
	v_dual_mov_b32 v31, 0 :: v_dual_mov_b32 v22, 0
	v_mov_b32_e32 v18, 0
	s_delay_alu instid0(VALU_DEP_3)
	v_cmp_ne_u64_e32 vcc_lo, 0xc0, v[19:20]
	v_mov_b32_e32 v19, 0
	v_dual_mov_b32 v23, 0 :: v_dual_mov_b32 v20, 0
	s_and_saveexec_b32 s6, vcc_lo
	s_cbranch_execz .LBB144_29
; %bb.26:
	v_lshrrev_b32_e32 v17, 6, v32
	v_mov_b32_e32 v28, 0
	v_lshlrev_b64_e32 v[15:16], 2, v[9:10]
	v_dual_mov_b32 v30, 0 :: v_dual_mov_b32 v19, 0
	s_delay_alu instid0(VALU_DEP_4) | instskip(SKIP_1) | instid1(VALU_DEP_4)
	v_dual_mov_b32 v22, 0 :: v_dual_add_nc_u32 v17, 1, v17
	v_mov_b32_e32 v29, 0
	v_add_co_u32 v34, vcc_lo, s8, v15
	s_wait_alu 0xfffd
	v_add_co_ci_u32_e64 v35, null, s9, v16, vcc_lo
	v_dual_mov_b32 v31, 0 :: v_dual_and_b32 v36, 3, v17
	v_mov_b32_e32 v26, 0
	v_dual_mov_b32 v24, 0 :: v_dual_mov_b32 v17, 0
	s_delay_alu instid0(VALU_DEP_3)
	v_sub_co_u32 v36, s2, 0, v36
	v_dual_mov_b32 v15, 0 :: v_dual_mov_b32 v20, 0
	v_mov_b32_e32 v23, 0
	v_mov_b32_e32 v27, 0
	v_dual_mov_b32 v25, 0 :: v_dual_mov_b32 v18, 0
	v_mov_b32_e32 v16, 0
	s_wait_alu 0xf1ff
	v_sub_co_ci_u32_e64 v37, null, 0, 0, s2
	s_mov_b32 s7, 0
.LBB144_27:                             ; =>This Inner Loop Header: Depth=1
	global_load_b32 v46, v[34:35], off
	s_clause 0x1
	global_load_b128 v[38:41], v[13:14], off offset:16
	global_load_b128 v[42:45], v[13:14], off
	v_add_co_u32 v34, s2, 0x100, v34
	s_wait_alu 0xf1ff
	v_add_co_ci_u32_e64 v35, null, 0, v35, s2
	s_wait_loadcnt 0x2
	v_subrev_nc_u32_e32 v46, s12, v46
	s_delay_alu instid0(VALU_DEP_1) | instskip(NEXT) | instid1(VALU_DEP_1)
	v_lshlrev_b32_e32 v46, 2, v46
	v_ashrrev_i32_e32 v47, 31, v46
	s_delay_alu instid0(VALU_DEP_1) | instskip(SKIP_1) | instid1(VALU_DEP_1)
	v_lshlrev_b64_e32 v[46:47], 4, v[46:47]
	s_wait_kmcnt 0x0
	v_add_co_u32 v74, vcc_lo, s4, v46
	s_wait_alu 0xfffd
	s_delay_alu instid0(VALU_DEP_2)
	v_add_co_ci_u32_e64 v75, null, s5, v47, vcc_lo
	s_clause 0x1
	global_load_b128 v[46:49], v[74:75], off
	global_load_b128 v[50:53], v[74:75], off offset:16
	s_clause 0x3
	global_load_b128 v[54:57], v[13:14], off offset:32
	global_load_b128 v[58:61], v[13:14], off offset:48
	;; [unrolled: 1-line block ×4, first 2 shown]
	s_clause 0x1
	global_load_b128 v[70:73], v[74:75], off offset:32
	global_load_b128 v[74:77], v[74:75], off offset:48
	s_clause 0x1
	global_load_b128 v[78:81], v[13:14], off offset:96
	global_load_b128 v[82:85], v[13:14], off offset:112
	v_add_co_u32 v13, vcc_lo, 0x2000, v13
	s_wait_alu 0xfffd
	v_add_co_ci_u32_e64 v14, null, 0, v14, vcc_lo
	v_add_co_u32 v36, vcc_lo, v36, 1
	s_wait_alu 0xfffd
	v_add_co_ci_u32_e64 v37, null, 0, v37, vcc_lo
	;; [unrolled: 3-line block ×3, first 2 shown]
	s_delay_alu instid0(VALU_DEP_3)
	v_cmp_eq_u64_e32 vcc_lo, 0, v[36:37]
	s_wait_alu 0xfffe
	s_or_b32 s7, vcc_lo, s7
	s_wait_loadcnt 0x9
	v_fma_f64 v[22:23], v[42:43], v[46:47], v[22:23]
	v_fma_f64 v[19:20], v[46:47], 0, v[19:20]
	;; [unrolled: 1-line block ×16, first 2 shown]
	s_wait_loadcnt 0x7
	v_fma_f64 v[22:23], v[54:55], v[50:51], v[22:23]
	v_fma_f64 v[19:20], v[50:51], 0, v[19:20]
	;; [unrolled: 1-line block ×4, first 2 shown]
	s_wait_loadcnt 0x6
	v_fma_f64 v[24:25], v[58:59], v[50:51], v[24:25]
	v_fma_f64 v[26:27], v[50:51], 0, v[26:27]
	;; [unrolled: 1-line block ×12, first 2 shown]
	s_wait_loadcnt 0x3
	v_fma_f64 v[22:23], v[66:67], v[70:71], v[22:23]
	v_fma_f64 v[19:20], v[70:71], 0, v[19:20]
	;; [unrolled: 1-line block ×16, first 2 shown]
	s_wait_loadcnt 0x1
	v_fma_f64 v[22:23], v[78:79], v[74:75], v[22:23]
	v_fma_f64 v[19:20], v[74:75], 0, v[19:20]
	;; [unrolled: 1-line block ×4, first 2 shown]
	s_wait_loadcnt 0x0
	v_fma_f64 v[24:25], v[82:83], v[74:75], v[24:25]
	v_fma_f64 v[26:27], v[74:75], 0, v[26:27]
	;; [unrolled: 1-line block ×12, first 2 shown]
	s_wait_alu 0xfffe
	s_and_not1_b32 exec_lo, exec_lo, s7
	s_cbranch_execnz .LBB144_27
; %bb.28:
	s_or_b32 exec_lo, exec_lo, s7
.LBB144_29:
	s_wait_alu 0xfffe
	s_or_b32 exec_lo, exec_lo, s6
	s_delay_alu instid0(SALU_CYCLE_1)
	s_mov_b32 s6, exec_lo
	v_cmpx_lt_u64_e32 0xbf, v[32:33]
	s_cbranch_execz .LBB144_33
; %bb.30:
	v_lshlrev_b64_e32 v[32:33], 2, v[9:10]
	s_mov_b32 s7, 0
	s_delay_alu instid0(VALU_DEP_1) | instskip(SKIP_1) | instid1(VALU_DEP_2)
	v_add_co_u32 v32, vcc_lo, s8, v32
	s_wait_alu 0xfffd
	v_add_co_ci_u32_e64 v33, null, s9, v33, vcc_lo
	s_delay_alu instid0(VALU_DEP_2) | instskip(SKIP_1) | instid1(VALU_DEP_2)
	v_add_co_u32 v32, vcc_lo, 0x200, v32
	s_wait_alu 0xfffd
	v_add_co_ci_u32_e64 v33, null, 0, v33, vcc_lo
.LBB144_31:                             ; =>This Inner Loop Header: Depth=1
	s_clause 0x1
	global_load_b32 v42, v[32:33], off offset:-512
	global_load_b32 v90, v[32:33], off offset:-256
	s_clause 0x1
	global_load_b128 v[34:37], v[13:14], off offset:16
	global_load_b128 v[38:41], v[13:14], off
	s_clause 0x1
	global_load_b32 v100, v[32:33], off
	global_load_b32 v102, v[32:33], off offset:256
	v_add_co_u32 v32, s2, 0x400, v32
	s_wait_alu 0xf1ff
	v_add_co_ci_u32_e64 v33, null, 0, v33, s2
	s_wait_loadcnt 0x5
	v_subrev_nc_u32_e32 v42, s12, v42
	s_wait_loadcnt 0x4
	v_subrev_nc_u32_e32 v90, s12, v90
	;; [unrolled: 2-line block ×3, first 2 shown]
	v_lshlrev_b32_e32 v42, 2, v42
	s_delay_alu instid0(VALU_DEP_3) | instskip(NEXT) | instid1(VALU_DEP_3)
	v_lshlrev_b32_e32 v90, 2, v90
	v_lshlrev_b32_e32 v100, 2, v100
	s_delay_alu instid0(VALU_DEP_3) | instskip(NEXT) | instid1(VALU_DEP_3)
	v_ashrrev_i32_e32 v43, 31, v42
	v_ashrrev_i32_e32 v91, 31, v90
	s_delay_alu instid0(VALU_DEP_3) | instskip(NEXT) | instid1(VALU_DEP_3)
	v_ashrrev_i32_e32 v101, 31, v100
	v_lshlrev_b64_e32 v[42:43], 4, v[42:43]
	s_delay_alu instid0(VALU_DEP_3) | instskip(SKIP_1) | instid1(VALU_DEP_2)
	v_lshlrev_b64_e32 v[90:91], 4, v[90:91]
	s_wait_kmcnt 0x0
	v_add_co_u32 v78, vcc_lo, s4, v42
	s_wait_alu 0xfffd
	s_delay_alu instid0(VALU_DEP_3) | instskip(NEXT) | instid1(VALU_DEP_3)
	v_add_co_ci_u32_e64 v79, null, s5, v43, vcc_lo
	v_add_co_u32 v94, vcc_lo, s4, v90
	s_wait_alu 0xfffd
	v_add_co_ci_u32_e64 v95, null, s5, v91, vcc_lo
	global_load_b128 v[42:45], v[78:79], off
	s_clause 0x1
	global_load_b128 v[46:49], v[13:14], off offset:32
	global_load_b128 v[50:53], v[13:14], off offset:48
	global_load_b128 v[54:57], v[78:79], off offset:16
	s_clause 0x1
	global_load_b128 v[58:61], v[13:14], off offset:80
	global_load_b128 v[62:65], v[13:14], off offset:64
	global_load_b128 v[66:69], v[78:79], off offset:32
	;; [unrolled: 4-line block ×3, first 2 shown]
	s_clause 0x1
	global_load_b128 v[82:85], v[13:14], off offset:8208
	global_load_b128 v[86:89], v[13:14], off offset:8192
	global_load_b128 v[90:93], v[94:95], off
	s_wait_loadcnt 0xc
	v_fma_f64 v[19:20], v[42:43], 0, v[19:20]
	v_fma_f64 v[28:29], v[42:43], 0, v[28:29]
	v_fma_f64 v[22:23], v[38:39], v[42:43], v[22:23]
	v_fma_f64 v[30:31], v[40:41], v[42:43], v[30:31]
	v_fma_f64 v[24:25], v[34:35], v[42:43], v[24:25]
	v_fma_f64 v[26:27], v[42:43], 0, v[26:27]
	v_fma_f64 v[15:16], v[36:37], v[42:43], v[15:16]
	v_fma_f64 v[17:18], v[42:43], 0, v[17:18]
	v_fma_f64 v[19:20], v[38:39], v[44:45], v[19:20]
	v_fma_f64 v[38:39], v[40:41], v[44:45], v[28:29]
	v_fma_f64 v[40:41], 0x80000000, v[44:45], v[22:23]
	v_fma_f64 v[30:31], 0x80000000, v[44:45], v[30:31]
	v_fma_f64 v[42:43], 0x80000000, v[44:45], v[24:25]
	v_fma_f64 v[34:35], v[34:35], v[44:45], v[26:27]
	v_fma_f64 v[96:97], 0x80000000, v[44:45], v[15:16]
	v_fma_f64 v[36:37], v[36:37], v[44:45], v[17:18]
	s_clause 0x1
	global_load_b128 v[15:18], v[13:14], off offset:8224
	global_load_b128 v[22:25], v[13:14], off offset:8240
	global_load_b128 v[26:29], v[94:95], off offset:16
	s_wait_loadcnt 0xc
	v_fma_f64 v[19:20], v[54:55], 0, v[19:20]
	v_fma_f64 v[38:39], v[54:55], 0, v[38:39]
	v_fma_f64 v[40:41], v[46:47], v[54:55], v[40:41]
	v_fma_f64 v[30:31], v[48:49], v[54:55], v[30:31]
	v_fma_f64 v[42:43], v[50:51], v[54:55], v[42:43]
	v_fma_f64 v[34:35], v[54:55], 0, v[34:35]
	v_fma_f64 v[44:45], v[52:53], v[54:55], v[96:97]
	v_fma_f64 v[36:37], v[54:55], 0, v[36:37]
	v_fma_f64 v[19:20], v[46:47], v[56:57], v[19:20]
	v_fma_f64 v[46:47], v[48:49], v[56:57], v[38:39]
	v_fma_f64 v[48:49], 0x80000000, v[56:57], v[40:41]
	v_fma_f64 v[30:31], 0x80000000, v[56:57], v[30:31]
	v_fma_f64 v[54:55], 0x80000000, v[56:57], v[42:43]
	v_fma_f64 v[50:51], v[50:51], v[56:57], v[34:35]
	v_fma_f64 v[96:97], 0x80000000, v[56:57], v[44:45]
	v_fma_f64 v[52:53], v[52:53], v[56:57], v[36:37]
	s_clause 0x1
	global_load_b128 v[34:37], v[13:14], off offset:8272
	global_load_b128 v[38:41], v[13:14], off offset:8256
	global_load_b128 v[42:45], v[94:95], off offset:32
	;; [unrolled: 21-line block ×3, first 2 shown]
	s_wait_loadcnt 0xc
	v_fma_f64 v[19:20], v[78:79], 0, v[19:20]
	v_fma_f64 v[68:69], v[78:79], 0, v[62:63]
	;; [unrolled: 1-line block ×8, first 2 shown]
	s_clause 0x1
	global_load_b128 v[58:61], v[13:14], off offset:16400
	global_load_b128 v[62:65], v[13:14], off offset:16384
	v_fma_f64 v[19:20], v[70:71], v[80:81], v[19:20]
	v_fma_f64 v[70:71], v[72:73], v[80:81], v[68:69]
	;; [unrolled: 1-line block ×8, first 2 shown]
	v_lshlrev_b64_e32 v[66:67], 4, v[100:101]
	s_delay_alu instid0(VALU_DEP_1) | instskip(SKIP_1) | instid1(VALU_DEP_2)
	v_add_co_u32 v98, vcc_lo, s4, v66
	s_wait_alu 0xfffd
	v_add_co_ci_u32_e64 v99, null, s5, v67, vcc_lo
	global_load_b128 v[66:69], v[98:99], off
	s_wait_loadcnt 0xc
	v_fma_f64 v[19:20], v[90:91], 0, v[19:20]
	v_fma_f64 v[70:71], v[90:91], 0, v[70:71]
	v_fma_f64 v[72:73], v[86:87], v[90:91], v[72:73]
	v_fma_f64 v[30:31], v[88:89], v[90:91], v[30:31]
	v_fma_f64 v[78:79], v[82:83], v[90:91], v[94:95]
	v_fma_f64 v[74:75], v[90:91], 0, v[74:75]
	v_fma_f64 v[80:81], v[84:85], v[90:91], v[96:97]
	v_fma_f64 v[76:77], v[90:91], 0, v[76:77]
	v_fma_f64 v[19:20], v[86:87], v[92:93], v[19:20]
	v_fma_f64 v[86:87], v[88:89], v[92:93], v[70:71]
	v_fma_f64 v[88:89], 0x80000000, v[92:93], v[72:73]
	v_fma_f64 v[30:31], 0x80000000, v[92:93], v[30:31]
	v_fma_f64 v[90:91], 0x80000000, v[92:93], v[78:79]
	v_fma_f64 v[82:83], v[82:83], v[92:93], v[74:75]
	v_fma_f64 v[94:95], 0x80000000, v[92:93], v[80:81]
	v_fma_f64 v[84:85], v[84:85], v[92:93], v[76:77]
	s_clause 0x1
	global_load_b128 v[70:73], v[13:14], off offset:16416
	global_load_b128 v[74:77], v[13:14], off offset:16432
	global_load_b128 v[78:81], v[98:99], off offset:16
	s_wait_loadcnt 0xc
	v_fma_f64 v[19:20], v[26:27], 0, v[19:20]
	v_fma_f64 v[86:87], v[26:27], 0, v[86:87]
	v_fma_f64 v[88:89], v[15:16], v[26:27], v[88:89]
	v_fma_f64 v[30:31], v[17:18], v[26:27], v[30:31]
	v_fma_f64 v[90:91], v[22:23], v[26:27], v[90:91]
	v_fma_f64 v[82:83], v[26:27], 0, v[82:83]
	v_fma_f64 v[92:93], v[24:25], v[26:27], v[94:95]
	v_fma_f64 v[26:27], v[26:27], 0, v[84:85]
	v_fma_f64 v[19:20], v[15:16], v[28:29], v[19:20]
	v_fma_f64 v[84:85], v[17:18], v[28:29], v[86:87]
	v_fma_f64 v[86:87], 0x80000000, v[28:29], v[88:89]
	v_fma_f64 v[30:31], 0x80000000, v[28:29], v[30:31]
	v_fma_f64 v[88:89], 0x80000000, v[28:29], v[90:91]
	v_fma_f64 v[82:83], v[22:23], v[28:29], v[82:83]
	v_fma_f64 v[90:91], 0x80000000, v[28:29], v[92:93]
	v_fma_f64 v[92:93], v[24:25], v[28:29], v[26:27]
	s_clause 0x1
	global_load_b128 v[15:18], v[13:14], off offset:16464
	global_load_b128 v[22:25], v[13:14], off offset:16448
	global_load_b128 v[26:29], v[98:99], off offset:32
	;; [unrolled: 21-line block ×3, first 2 shown]
	s_wait_loadcnt 0xc
	v_fma_f64 v[19:20], v[54:55], 0, v[19:20]
	v_fma_f64 v[94:95], v[54:55], 0, v[84:85]
	;; [unrolled: 1-line block ×8, first 2 shown]
	v_subrev_nc_u32_e32 v92, s12, v102
	s_clause 0x1
	global_load_b128 v[82:85], v[13:14], off offset:24592
	global_load_b128 v[86:89], v[13:14], off offset:24576
	v_lshlrev_b32_e32 v92, 2, v92
	s_delay_alu instid0(VALU_DEP_1)
	v_ashrrev_i32_e32 v93, 31, v92
	v_fma_f64 v[19:20], v[46:47], v[56:57], v[19:20]
	v_fma_f64 v[94:95], v[48:49], v[56:57], v[94:95]
	;; [unrolled: 1-line block ×8, first 2 shown]
	v_lshlrev_b64_e32 v[46:47], 4, v[92:93]
	s_delay_alu instid0(VALU_DEP_1) | instskip(SKIP_1) | instid1(VALU_DEP_2)
	v_add_co_u32 v92, vcc_lo, s4, v46
	s_wait_alu 0xfffd
	v_add_co_ci_u32_e64 v93, null, s5, v47, vcc_lo
	v_add_co_u32 v9, vcc_lo, 0x100, v9
	s_wait_alu 0xfffd
	v_add_co_ci_u32_e64 v10, null, 0, v10, vcc_lo
	global_load_b128 v[46:49], v[92:93], off
	s_wait_loadcnt 0xc
	v_fma_f64 v[19:20], v[66:67], 0, v[19:20]
	v_fma_f64 v[56:57], v[66:67], 0, v[94:95]
	v_fma_f64 v[54:55], v[62:63], v[66:67], v[96:97]
	v_fma_f64 v[30:31], v[64:65], v[66:67], v[30:31]
	v_fma_f64 v[94:95], v[58:59], v[66:67], v[98:99]
	v_fma_f64 v[50:51], v[66:67], 0, v[50:51]
	v_fma_f64 v[90:91], v[60:61], v[66:67], v[90:91]
	v_fma_f64 v[52:53], v[66:67], 0, v[52:53]
	v_fma_f64 v[19:20], v[62:63], v[68:69], v[19:20]
	v_fma_f64 v[62:63], v[64:65], v[68:69], v[56:57]
	v_fma_f64 v[66:67], 0x80000000, v[68:69], v[54:55]
	v_fma_f64 v[30:31], 0x80000000, v[68:69], v[30:31]
	v_fma_f64 v[64:65], 0x80000000, v[68:69], v[94:95]
	v_fma_f64 v[94:95], v[58:59], v[68:69], v[50:51]
	v_fma_f64 v[90:91], 0x80000000, v[68:69], v[90:91]
	v_fma_f64 v[68:69], v[60:61], v[68:69], v[52:53]
	s_clause 0x1
	global_load_b128 v[50:53], v[13:14], off offset:24608
	global_load_b128 v[54:57], v[13:14], off offset:24624
	global_load_b128 v[58:61], v[92:93], off offset:16
	s_wait_loadcnt 0xc
	v_fma_f64 v[19:20], v[78:79], 0, v[19:20]
	v_fma_f64 v[62:63], v[78:79], 0, v[62:63]
	v_fma_f64 v[66:67], v[70:71], v[78:79], v[66:67]
	v_fma_f64 v[30:31], v[72:73], v[78:79], v[30:31]
	v_fma_f64 v[64:65], v[74:75], v[78:79], v[64:65]
	v_fma_f64 v[94:95], v[78:79], 0, v[94:95]
	v_fma_f64 v[90:91], v[76:77], v[78:79], v[90:91]
	v_fma_f64 v[68:69], v[78:79], 0, v[68:69]
	v_fma_f64 v[19:20], v[70:71], v[80:81], v[19:20]
	v_fma_f64 v[96:97], v[72:73], v[80:81], v[62:63]
	v_fma_f64 v[78:79], 0x80000000, v[80:81], v[66:67]
	v_fma_f64 v[30:31], 0x80000000, v[80:81], v[30:31]
	v_fma_f64 v[98:99], 0x80000000, v[80:81], v[64:65]
	v_fma_f64 v[74:75], v[74:75], v[80:81], v[94:95]
	v_fma_f64 v[90:91], 0x80000000, v[80:81], v[90:91]
	v_fma_f64 v[76:77], v[76:77], v[80:81], v[68:69]
	s_clause 0x1
	global_load_b128 v[62:65], v[13:14], off offset:24656
	global_load_b128 v[66:69], v[13:14], off offset:24640
	global_load_b128 v[70:73], v[92:93], off offset:32
	;; [unrolled: 21-line block ×3, first 2 shown]
	v_add_co_u32 v13, vcc_lo, 0x8000, v13
	s_wait_alu 0xfffd
	v_add_co_ci_u32_e64 v14, null, 0, v14, vcc_lo
	v_cmp_ge_i64_e32 vcc_lo, v[9:10], v[11:12]
	s_wait_alu 0xfffe
	s_or_b32 s7, vcc_lo, s7
	s_wait_loadcnt 0xc
	v_fma_f64 v[19:20], v[42:43], 0, v[19:20]
	v_fma_f64 v[24:25], v[42:43], 0, v[24:25]
	v_fma_f64 v[28:29], v[34:35], v[42:43], v[96:97]
	v_fma_f64 v[22:23], v[36:37], v[42:43], v[22:23]
	v_fma_f64 v[30:31], v[38:39], v[42:43], v[30:31]
	v_fma_f64 v[92:93], v[42:43], 0, v[94:95]
	v_fma_f64 v[90:91], v[40:41], v[42:43], v[90:91]
	v_fma_f64 v[26:27], v[42:43], 0, v[26:27]
	v_fma_f64 v[19:20], v[34:35], v[44:45], v[19:20]
	v_fma_f64 v[24:25], v[36:37], v[44:45], v[24:25]
	v_fma_f64 v[28:29], 0x80000000, v[44:45], v[28:29]
	v_fma_f64 v[22:23], 0x80000000, v[44:45], v[22:23]
	v_fma_f64 v[30:31], 0x80000000, v[44:45], v[30:31]
	v_fma_f64 v[34:35], v[38:39], v[44:45], v[92:93]
	v_fma_f64 v[36:37], 0x80000000, v[44:45], v[90:91]
	v_fma_f64 v[26:27], v[40:41], v[44:45], v[26:27]
	s_wait_loadcnt 0x9
	v_fma_f64 v[19:20], v[46:47], 0, v[19:20]
	v_fma_f64 v[24:25], v[46:47], 0, v[24:25]
	v_fma_f64 v[28:29], v[86:87], v[46:47], v[28:29]
	v_fma_f64 v[22:23], v[88:89], v[46:47], v[22:23]
	v_fma_f64 v[30:31], v[82:83], v[46:47], v[30:31]
	v_fma_f64 v[34:35], v[46:47], 0, v[34:35]
	v_fma_f64 v[36:37], v[84:85], v[46:47], v[36:37]
	v_fma_f64 v[26:27], v[46:47], 0, v[26:27]
	v_fma_f64 v[19:20], v[86:87], v[48:49], v[19:20]
	v_fma_f64 v[24:25], v[88:89], v[48:49], v[24:25]
	v_fma_f64 v[28:29], 0x80000000, v[48:49], v[28:29]
	v_fma_f64 v[22:23], 0x80000000, v[48:49], v[22:23]
	v_fma_f64 v[30:31], 0x80000000, v[48:49], v[30:31]
	v_fma_f64 v[34:35], v[82:83], v[48:49], v[34:35]
	v_fma_f64 v[36:37], 0x80000000, v[48:49], v[36:37]
	v_fma_f64 v[26:27], v[84:85], v[48:49], v[26:27]
	;; [unrolled: 17-line block ×5, first 2 shown]
	s_wait_alu 0xfffe
	s_and_not1_b32 exec_lo, exec_lo, s7
	s_cbranch_execnz .LBB144_31
; %bb.32:
	s_or_b32 exec_lo, exec_lo, s7
.LBB144_33:
	s_wait_alu 0xfffe
	s_or_b32 exec_lo, exec_lo, s6
.LBB144_34:
	s_wait_alu 0xfffe
	s_or_b32 exec_lo, exec_lo, s3
.LBB144_35:
	v_mbcnt_lo_u32_b32 v42, -1, 0
	s_delay_alu instid0(VALU_DEP_1) | instskip(NEXT) | instid1(VALU_DEP_1)
	v_or_b32_e32 v9, 32, v42
	v_cmp_gt_i32_e32 vcc_lo, 32, v9
	s_wait_alu 0xfffd
	v_cndmask_b32_e32 v9, v42, v9, vcc_lo
	s_delay_alu instid0(VALU_DEP_1)
	v_lshlrev_b32_e32 v41, 2, v9
	ds_bpermute_b32 v9, v41, v22
	ds_bpermute_b32 v10, v41, v23
	ds_bpermute_b32 v34, v41, v24
	ds_bpermute_b32 v35, v41, v25
	ds_bpermute_b32 v36, v41, v26
	ds_bpermute_b32 v37, v41, v27
	s_wait_dscnt 0x4
	v_add_f64_e32 v[9:10], v[22:23], v[9:10]
	s_wait_dscnt 0x2
	v_add_f64_e32 v[22:23], v[24:25], v[34:35]
	;; [unrolled: 2-line block ×3, first 2 shown]
	v_xor_b32_e32 v26, 16, v42
	s_delay_alu instid0(VALU_DEP_1)
	v_cmp_gt_i32_e32 vcc_lo, 32, v26
	s_wait_alu 0xfffd
	v_cndmask_b32_e32 v26, v42, v26, vcc_lo
	ds_bpermute_b32 v11, v41, v19
	ds_bpermute_b32 v12, v41, v20
	;; [unrolled: 1-line block ×10, first 2 shown]
	s_wait_dscnt 0x8
	v_add_f64_e32 v[11:12], v[19:20], v[11:12]
	s_wait_dscnt 0x6
	v_add_f64_e32 v[13:14], v[30:31], v[13:14]
	;; [unrolled: 2-line block ×5, first 2 shown]
	v_lshlrev_b32_e32 v41, 2, v26
	ds_bpermute_b32 v26, v41, v9
	ds_bpermute_b32 v27, v41, v10
	;; [unrolled: 1-line block ×6, first 2 shown]
	s_wait_dscnt 0x4
	v_add_f64_e32 v[9:10], v[9:10], v[26:27]
	v_xor_b32_e32 v26, 8, v42
	s_wait_dscnt 0x2
	v_add_f64_e32 v[22:23], v[22:23], v[34:35]
	ds_bpermute_b32 v28, v41, v11
	ds_bpermute_b32 v29, v41, v12
	;; [unrolled: 1-line block ×10, first 2 shown]
	s_wait_dscnt 0xa
	v_add_f64_e32 v[24:25], v[24:25], v[36:37]
	v_cmp_gt_i32_e32 vcc_lo, 32, v26
	s_wait_alu 0xfffd
	v_cndmask_b32_e32 v26, v42, v26, vcc_lo
	s_wait_dscnt 0x8
	v_add_f64_e32 v[11:12], v[11:12], v[28:29]
	s_wait_dscnt 0x6
	v_add_f64_e32 v[13:14], v[13:14], v[30:31]
	;; [unrolled: 2-line block ×5, first 2 shown]
	v_lshlrev_b32_e32 v41, 2, v26
	ds_bpermute_b32 v26, v41, v9
	ds_bpermute_b32 v27, v41, v10
	;; [unrolled: 1-line block ×6, first 2 shown]
	s_wait_dscnt 0x4
	v_add_f64_e32 v[9:10], v[9:10], v[26:27]
	v_xor_b32_e32 v26, 4, v42
	s_wait_dscnt 0x2
	v_add_f64_e32 v[22:23], v[22:23], v[34:35]
	ds_bpermute_b32 v28, v41, v11
	ds_bpermute_b32 v29, v41, v12
	;; [unrolled: 1-line block ×10, first 2 shown]
	s_wait_dscnt 0xa
	v_add_f64_e32 v[24:25], v[24:25], v[36:37]
	v_cmp_gt_i32_e32 vcc_lo, 32, v26
	s_wait_alu 0xfffd
	v_cndmask_b32_e32 v26, v42, v26, vcc_lo
	s_wait_dscnt 0x8
	v_add_f64_e32 v[11:12], v[11:12], v[28:29]
	s_wait_dscnt 0x6
	v_add_f64_e32 v[13:14], v[13:14], v[30:31]
	;; [unrolled: 2-line block ×5, first 2 shown]
	v_lshlrev_b32_e32 v41, 2, v26
	ds_bpermute_b32 v26, v41, v9
	ds_bpermute_b32 v27, v41, v10
	;; [unrolled: 1-line block ×6, first 2 shown]
	s_wait_dscnt 0x4
	v_add_f64_e32 v[9:10], v[9:10], v[26:27]
	s_wait_dscnt 0x2
	v_add_f64_e32 v[22:23], v[22:23], v[34:35]
	ds_bpermute_b32 v28, v41, v11
	ds_bpermute_b32 v29, v41, v12
	;; [unrolled: 1-line block ×10, first 2 shown]
	s_wait_dscnt 0xa
	v_add_f64_e32 v[26:27], v[24:25], v[36:37]
	v_xor_b32_e32 v24, 2, v42
	s_delay_alu instid0(VALU_DEP_1)
	v_cmp_gt_i32_e32 vcc_lo, 32, v24
	s_wait_dscnt 0x8
	v_add_f64_e32 v[11:12], v[11:12], v[28:29]
	s_wait_alu 0xfffd
	v_cndmask_b32_e32 v24, v42, v24, vcc_lo
	s_wait_dscnt 0x6
	v_add_f64_e32 v[13:14], v[13:14], v[30:31]
	s_wait_dscnt 0x4
	v_add_f64_e32 v[19:20], v[19:20], v[32:33]
	;; [unrolled: 2-line block ×4, first 2 shown]
	v_lshlrev_b32_e32 v41, 2, v24
	ds_bpermute_b32 v24, v41, v9
	ds_bpermute_b32 v25, v41, v10
	;; [unrolled: 1-line block ×6, first 2 shown]
	s_wait_dscnt 0x4
	v_add_f64_e32 v[9:10], v[9:10], v[24:25]
	ds_bpermute_b32 v28, v41, v11
	ds_bpermute_b32 v29, v41, v12
	;; [unrolled: 1-line block ×10, first 2 shown]
	s_wait_dscnt 0x8
	v_add_f64_e32 v[28:29], v[11:12], v[28:29]
	s_wait_dscnt 0x6
	v_add_f64_e32 v[11:12], v[13:14], v[30:31]
	v_add_f64_e32 v[13:14], v[22:23], v[34:35]
	s_wait_dscnt 0x4
	v_add_f64_e32 v[24:25], v[19:20], v[32:33]
	;; [unrolled: 3-line block ×3, first 2 shown]
	v_xor_b32_e32 v22, 1, v42
	s_wait_dscnt 0x0
	v_add_f64_e32 v[17:18], v[17:18], v[40:41]
	s_delay_alu instid0(VALU_DEP_2) | instskip(SKIP_3) | instid1(VALU_DEP_2)
	v_cmp_gt_i32_e32 vcc_lo, 32, v22
	s_wait_alu 0xfffd
	v_cndmask_b32_e32 v22, v42, v22, vcc_lo
	v_cmp_eq_u32_e32 vcc_lo, 63, v0
	v_lshlrev_b32_e32 v35, 2, v22
	ds_bpermute_b32 v22, v35, v9
	ds_bpermute_b32 v23, v35, v10
	;; [unrolled: 1-line block ×16, first 2 shown]
	s_and_b32 exec_lo, exec_lo, vcc_lo
	s_cbranch_execz .LBB144_8
; %bb.36:
	s_wait_dscnt 0xc
	v_add_f64_e32 v[28:29], v[28:29], v[40:41]
	s_wait_dscnt 0x8
	v_add_f64_e32 v[24:25], v[24:25], v[38:39]
	;; [unrolled: 2-line block ×4, first 2 shown]
	v_add_f64_e32 v[9:10], v[9:10], v[22:23]
	v_add_f64_e32 v[11:12], v[11:12], v[26:27]
	;; [unrolled: 1-line block ×4, first 2 shown]
	v_cmp_eq_f64_e32 vcc_lo, 0, v[1:2]
	v_cmp_eq_f64_e64 s2, 0, v[3:4]
	s_load_b64 s[0:1], s[0:1], 0x60
	v_lshlrev_b32_e32 v21, 2, v21
	v_mul_f64_e64 v[13:14], v[28:29], -v[7:8]
	v_mul_f64_e32 v[15:16], v[5:6], v[28:29]
	v_mul_f64_e64 v[28:29], v[24:25], -v[7:8]
	v_mul_f64_e32 v[24:25], v[5:6], v[24:25]
	;; [unrolled: 2-line block ×4, first 2 shown]
	s_and_b32 s2, vcc_lo, s2
	v_fma_f64 v[17:18], v[5:6], v[9:10], v[13:14]
	v_fma_f64 v[19:20], v[7:8], v[9:10], v[15:16]
	;; [unrolled: 1-line block ×8, first 2 shown]
	s_wait_alu 0xfffe
	s_and_saveexec_b32 s3, s2
	s_wait_alu 0xfffe
	s_xor_b32 s2, exec_lo, s3
	s_cbranch_execz .LBB144_38
; %bb.37:
	v_ashrrev_i32_e32 v22, 31, v21
	s_delay_alu instid0(VALU_DEP_1) | instskip(SKIP_1) | instid1(VALU_DEP_1)
	v_lshlrev_b64_e32 v[0:1], 4, v[21:22]
                                        ; implicit-def: $vgpr21
	s_wait_kmcnt 0x0
	v_add_co_u32 v0, vcc_lo, s0, v0
	s_wait_alu 0xfffd
	s_delay_alu instid0(VALU_DEP_2)
	v_add_co_ci_u32_e64 v1, null, s1, v1, vcc_lo
	s_clause 0x3
	global_store_b128 v[0:1], v[17:20], off
	global_store_b128 v[0:1], v[13:16], off offset:16
	global_store_b128 v[0:1], v[9:12], off offset:32
	;; [unrolled: 1-line block ×3, first 2 shown]
                                        ; implicit-def: $vgpr3_vgpr4
                                        ; implicit-def: $vgpr17_vgpr18
                                        ; implicit-def: $vgpr13_vgpr14
                                        ; implicit-def: $vgpr9_vgpr10
                                        ; implicit-def: $vgpr5_vgpr6
.LBB144_38:
	s_wait_alu 0xfffe
	s_and_not1_saveexec_b32 s2, s2
	s_cbranch_execz .LBB144_8
; %bb.39:
	v_ashrrev_i32_e32 v22, 31, v21
	s_delay_alu instid0(VALU_DEP_1) | instskip(SKIP_1) | instid1(VALU_DEP_1)
	v_lshlrev_b64_e32 v[21:22], 4, v[21:22]
	s_wait_kmcnt 0x0
	v_add_co_u32 v37, vcc_lo, s0, v21
	s_wait_alu 0xfffd
	s_delay_alu instid0(VALU_DEP_2)
	v_add_co_ci_u32_e64 v38, null, s1, v22, vcc_lo
	s_clause 0x3
	global_load_b128 v[21:24], v[37:38], off
	global_load_b128 v[25:28], v[37:38], off offset:16
	global_load_b128 v[29:32], v[37:38], off offset:32
	global_load_b128 v[33:36], v[37:38], off offset:48
	s_wait_loadcnt 0x3
	v_fma_f64 v[17:18], v[1:2], v[21:22], v[17:18]
	v_fma_f64 v[19:20], v[3:4], v[21:22], v[19:20]
	s_wait_loadcnt 0x2
	v_fma_f64 v[13:14], v[1:2], v[25:26], v[13:14]
	v_fma_f64 v[15:16], v[3:4], v[25:26], v[15:16]
	;; [unrolled: 3-line block ×4, first 2 shown]
	v_fma_f64 v[5:6], -v[3:4], v[23:24], v[17:18]
	v_fma_f64 v[7:8], v[1:2], v[23:24], v[19:20]
	v_fma_f64 v[9:10], -v[3:4], v[27:28], v[13:14]
	v_fma_f64 v[11:12], v[1:2], v[27:28], v[15:16]
	;; [unrolled: 2-line block ×4, first 2 shown]
	s_clause 0x3
	global_store_b128 v[37:38], v[5:8], off
	global_store_b128 v[37:38], v[9:12], off offset:16
	global_store_b128 v[37:38], v[13:16], off offset:32
	;; [unrolled: 1-line block ×3, first 2 shown]
	s_nop 0
	s_sendmsg sendmsg(MSG_DEALLOC_VGPRS)
	s_endpgm
	.section	.rodata,"a",@progbits
	.p2align	6, 0x0
	.amdhsa_kernel _ZN9rocsparseL18bsrxmvn_4x4_kernelILj128ELj64E21rocsparse_complex_numIdElidS2_S2_EEvT3_20rocsparse_direction_NS_24const_host_device_scalarIT1_EES3_PKS3_PKT2_SC_S9_PKT4_PKT5_S7_PT6_21rocsparse_index_base_b
		.amdhsa_group_segment_fixed_size 0
		.amdhsa_private_segment_fixed_size 0
		.amdhsa_kernarg_size 112
		.amdhsa_user_sgpr_count 2
		.amdhsa_user_sgpr_dispatch_ptr 0
		.amdhsa_user_sgpr_queue_ptr 0
		.amdhsa_user_sgpr_kernarg_segment_ptr 1
		.amdhsa_user_sgpr_dispatch_id 0
		.amdhsa_user_sgpr_private_segment_size 0
		.amdhsa_wavefront_size32 1
		.amdhsa_uses_dynamic_stack 0
		.amdhsa_enable_private_segment 0
		.amdhsa_system_sgpr_workgroup_id_x 1
		.amdhsa_system_sgpr_workgroup_id_y 0
		.amdhsa_system_sgpr_workgroup_id_z 0
		.amdhsa_system_sgpr_workgroup_info 0
		.amdhsa_system_vgpr_workitem_id 0
		.amdhsa_next_free_vgpr 117
		.amdhsa_next_free_sgpr 14
		.amdhsa_reserve_vcc 1
		.amdhsa_float_round_mode_32 0
		.amdhsa_float_round_mode_16_64 0
		.amdhsa_float_denorm_mode_32 3
		.amdhsa_float_denorm_mode_16_64 3
		.amdhsa_fp16_overflow 0
		.amdhsa_workgroup_processor_mode 1
		.amdhsa_memory_ordered 1
		.amdhsa_forward_progress 1
		.amdhsa_inst_pref_size 96
		.amdhsa_round_robin_scheduling 0
		.amdhsa_exception_fp_ieee_invalid_op 0
		.amdhsa_exception_fp_denorm_src 0
		.amdhsa_exception_fp_ieee_div_zero 0
		.amdhsa_exception_fp_ieee_overflow 0
		.amdhsa_exception_fp_ieee_underflow 0
		.amdhsa_exception_fp_ieee_inexact 0
		.amdhsa_exception_int_div_zero 0
	.end_amdhsa_kernel
	.section	.text._ZN9rocsparseL18bsrxmvn_4x4_kernelILj128ELj64E21rocsparse_complex_numIdElidS2_S2_EEvT3_20rocsparse_direction_NS_24const_host_device_scalarIT1_EES3_PKS3_PKT2_SC_S9_PKT4_PKT5_S7_PT6_21rocsparse_index_base_b,"axG",@progbits,_ZN9rocsparseL18bsrxmvn_4x4_kernelILj128ELj64E21rocsparse_complex_numIdElidS2_S2_EEvT3_20rocsparse_direction_NS_24const_host_device_scalarIT1_EES3_PKS3_PKT2_SC_S9_PKT4_PKT5_S7_PT6_21rocsparse_index_base_b,comdat
.Lfunc_end144:
	.size	_ZN9rocsparseL18bsrxmvn_4x4_kernelILj128ELj64E21rocsparse_complex_numIdElidS2_S2_EEvT3_20rocsparse_direction_NS_24const_host_device_scalarIT1_EES3_PKS3_PKT2_SC_S9_PKT4_PKT5_S7_PT6_21rocsparse_index_base_b, .Lfunc_end144-_ZN9rocsparseL18bsrxmvn_4x4_kernelILj128ELj64E21rocsparse_complex_numIdElidS2_S2_EEvT3_20rocsparse_direction_NS_24const_host_device_scalarIT1_EES3_PKS3_PKT2_SC_S9_PKT4_PKT5_S7_PT6_21rocsparse_index_base_b
                                        ; -- End function
	.set _ZN9rocsparseL18bsrxmvn_4x4_kernelILj128ELj64E21rocsparse_complex_numIdElidS2_S2_EEvT3_20rocsparse_direction_NS_24const_host_device_scalarIT1_EES3_PKS3_PKT2_SC_S9_PKT4_PKT5_S7_PT6_21rocsparse_index_base_b.num_vgpr, 117
	.set _ZN9rocsparseL18bsrxmvn_4x4_kernelILj128ELj64E21rocsparse_complex_numIdElidS2_S2_EEvT3_20rocsparse_direction_NS_24const_host_device_scalarIT1_EES3_PKS3_PKT2_SC_S9_PKT4_PKT5_S7_PT6_21rocsparse_index_base_b.num_agpr, 0
	.set _ZN9rocsparseL18bsrxmvn_4x4_kernelILj128ELj64E21rocsparse_complex_numIdElidS2_S2_EEvT3_20rocsparse_direction_NS_24const_host_device_scalarIT1_EES3_PKS3_PKT2_SC_S9_PKT4_PKT5_S7_PT6_21rocsparse_index_base_b.numbered_sgpr, 14
	.set _ZN9rocsparseL18bsrxmvn_4x4_kernelILj128ELj64E21rocsparse_complex_numIdElidS2_S2_EEvT3_20rocsparse_direction_NS_24const_host_device_scalarIT1_EES3_PKS3_PKT2_SC_S9_PKT4_PKT5_S7_PT6_21rocsparse_index_base_b.num_named_barrier, 0
	.set _ZN9rocsparseL18bsrxmvn_4x4_kernelILj128ELj64E21rocsparse_complex_numIdElidS2_S2_EEvT3_20rocsparse_direction_NS_24const_host_device_scalarIT1_EES3_PKS3_PKT2_SC_S9_PKT4_PKT5_S7_PT6_21rocsparse_index_base_b.private_seg_size, 0
	.set _ZN9rocsparseL18bsrxmvn_4x4_kernelILj128ELj64E21rocsparse_complex_numIdElidS2_S2_EEvT3_20rocsparse_direction_NS_24const_host_device_scalarIT1_EES3_PKS3_PKT2_SC_S9_PKT4_PKT5_S7_PT6_21rocsparse_index_base_b.uses_vcc, 1
	.set _ZN9rocsparseL18bsrxmvn_4x4_kernelILj128ELj64E21rocsparse_complex_numIdElidS2_S2_EEvT3_20rocsparse_direction_NS_24const_host_device_scalarIT1_EES3_PKS3_PKT2_SC_S9_PKT4_PKT5_S7_PT6_21rocsparse_index_base_b.uses_flat_scratch, 0
	.set _ZN9rocsparseL18bsrxmvn_4x4_kernelILj128ELj64E21rocsparse_complex_numIdElidS2_S2_EEvT3_20rocsparse_direction_NS_24const_host_device_scalarIT1_EES3_PKS3_PKT2_SC_S9_PKT4_PKT5_S7_PT6_21rocsparse_index_base_b.has_dyn_sized_stack, 0
	.set _ZN9rocsparseL18bsrxmvn_4x4_kernelILj128ELj64E21rocsparse_complex_numIdElidS2_S2_EEvT3_20rocsparse_direction_NS_24const_host_device_scalarIT1_EES3_PKS3_PKT2_SC_S9_PKT4_PKT5_S7_PT6_21rocsparse_index_base_b.has_recursion, 0
	.set _ZN9rocsparseL18bsrxmvn_4x4_kernelILj128ELj64E21rocsparse_complex_numIdElidS2_S2_EEvT3_20rocsparse_direction_NS_24const_host_device_scalarIT1_EES3_PKS3_PKT2_SC_S9_PKT4_PKT5_S7_PT6_21rocsparse_index_base_b.has_indirect_call, 0
	.section	.AMDGPU.csdata,"",@progbits
; Kernel info:
; codeLenInByte = 12240
; TotalNumSgprs: 16
; NumVgprs: 117
; ScratchSize: 0
; MemoryBound: 0
; FloatMode: 240
; IeeeMode: 1
; LDSByteSize: 0 bytes/workgroup (compile time only)
; SGPRBlocks: 0
; VGPRBlocks: 14
; NumSGPRsForWavesPerEU: 16
; NumVGPRsForWavesPerEU: 117
; Occupancy: 12
; WaveLimiterHint : 1
; COMPUTE_PGM_RSRC2:SCRATCH_EN: 0
; COMPUTE_PGM_RSRC2:USER_SGPR: 2
; COMPUTE_PGM_RSRC2:TRAP_HANDLER: 0
; COMPUTE_PGM_RSRC2:TGID_X_EN: 1
; COMPUTE_PGM_RSRC2:TGID_Y_EN: 0
; COMPUTE_PGM_RSRC2:TGID_Z_EN: 0
; COMPUTE_PGM_RSRC2:TIDIG_COMP_CNT: 0
	.section	.text._ZN9rocsparseL18bsrxmvn_4x4_kernelILj128ELj4E21rocsparse_complex_numIdElldS2_S2_EEvT3_20rocsparse_direction_NS_24const_host_device_scalarIT1_EES3_PKS3_PKT2_SC_S9_PKT4_PKT5_S7_PT6_21rocsparse_index_base_b,"axG",@progbits,_ZN9rocsparseL18bsrxmvn_4x4_kernelILj128ELj4E21rocsparse_complex_numIdElldS2_S2_EEvT3_20rocsparse_direction_NS_24const_host_device_scalarIT1_EES3_PKS3_PKT2_SC_S9_PKT4_PKT5_S7_PT6_21rocsparse_index_base_b,comdat
	.globl	_ZN9rocsparseL18bsrxmvn_4x4_kernelILj128ELj4E21rocsparse_complex_numIdElldS2_S2_EEvT3_20rocsparse_direction_NS_24const_host_device_scalarIT1_EES3_PKS3_PKT2_SC_S9_PKT4_PKT5_S7_PT6_21rocsparse_index_base_b ; -- Begin function _ZN9rocsparseL18bsrxmvn_4x4_kernelILj128ELj4E21rocsparse_complex_numIdElldS2_S2_EEvT3_20rocsparse_direction_NS_24const_host_device_scalarIT1_EES3_PKS3_PKT2_SC_S9_PKT4_PKT5_S7_PT6_21rocsparse_index_base_b
	.p2align	8
	.type	_ZN9rocsparseL18bsrxmvn_4x4_kernelILj128ELj4E21rocsparse_complex_numIdElldS2_S2_EEvT3_20rocsparse_direction_NS_24const_host_device_scalarIT1_EES3_PKS3_PKT2_SC_S9_PKT4_PKT5_S7_PT6_21rocsparse_index_base_b,@function
_ZN9rocsparseL18bsrxmvn_4x4_kernelILj128ELj4E21rocsparse_complex_numIdElldS2_S2_EEvT3_20rocsparse_direction_NS_24const_host_device_scalarIT1_EES3_PKS3_PKT2_SC_S9_PKT4_PKT5_S7_PT6_21rocsparse_index_base_b: ; @_ZN9rocsparseL18bsrxmvn_4x4_kernelILj128ELj4E21rocsparse_complex_numIdElldS2_S2_EEvT3_20rocsparse_direction_NS_24const_host_device_scalarIT1_EES3_PKS3_PKT2_SC_S9_PKT4_PKT5_S7_PT6_21rocsparse_index_base_b
; %bb.0:
	s_clause 0x1
	s_load_b64 s[4:5], s[0:1], 0x70
	s_load_b64 s[2:3], s[0:1], 0x10
	s_add_nc_u64 s[6:7], s[0:1], 16
	s_load_b64 s[8:9], s[0:1], 0x58
	s_wait_kmcnt 0x0
	s_bitcmp1_b32 s5, 0
	s_cselect_b32 s2, s6, s2
	s_cselect_b32 s3, s7, s3
	s_delay_alu instid0(SALU_CYCLE_1)
	v_dual_mov_b32 v1, s2 :: v_dual_mov_b32 v2, s3
	s_add_nc_u64 s[2:3], s[0:1], 0x58
	s_wait_alu 0xfffe
	s_cselect_b32 s2, s2, s8
	s_cselect_b32 s3, s3, s9
	flat_load_b128 v[5:8], v[1:2]
	s_wait_alu 0xfffe
	v_dual_mov_b32 v1, s2 :: v_dual_mov_b32 v2, s3
	flat_load_b128 v[1:4], v[1:2]
	s_wait_loadcnt_dscnt 0x101
	v_cmp_eq_f64_e32 vcc_lo, 0, v[5:6]
	v_cmp_eq_f64_e64 s2, 0, v[7:8]
	s_and_b32 s5, vcc_lo, s2
	s_mov_b32 s2, -1
	s_and_saveexec_b32 s3, s5
	s_cbranch_execz .LBB145_2
; %bb.1:
	s_wait_loadcnt_dscnt 0x0
	v_cmp_neq_f64_e32 vcc_lo, 1.0, v[1:2]
	v_cmp_neq_f64_e64 s2, 0, v[3:4]
	s_wait_alu 0xfffe
	s_or_b32 s2, vcc_lo, s2
	s_wait_alu 0xfffe
	s_or_not1_b32 s2, s2, exec_lo
.LBB145_2:
	s_wait_alu 0xfffe
	s_or_b32 exec_lo, exec_lo, s3
	s_and_saveexec_b32 s3, s2
	s_cbranch_execz .LBB145_8
; %bb.3:
	s_load_b64 s[2:3], s[0:1], 0x28
	v_lshrrev_b32_e32 v9, 2, v0
	v_mov_b32_e32 v12, 0
	s_delay_alu instid0(VALU_DEP_2)
	v_lshl_or_b32 v11, ttmp9, 5, v9
	s_wait_kmcnt 0x0
	s_cmp_lg_u64 s[2:3], 0
	s_cbranch_scc0 .LBB145_9
; %bb.4:
	s_load_b64 s[6:7], s[0:1], 0x20
                                        ; implicit-def: $vgpr21_vgpr22
                                        ; implicit-def: $vgpr9_vgpr10
	s_wait_kmcnt 0x0
	v_cmp_gt_i64_e32 vcc_lo, s[6:7], v[11:12]
	s_mov_b32 s7, 0
	s_mov_b32 s6, 0
	s_and_saveexec_b32 s5, vcc_lo
	s_delay_alu instid0(SALU_CYCLE_1)
	s_xor_b32 s8, exec_lo, s5
	s_cbranch_execz .LBB145_6
; %bb.5:
	v_lshlrev_b64_e32 v[9:10], 3, v[11:12]
	s_mov_b32 s5, 0
	s_mov_b32 s6, exec_lo
	s_delay_alu instid0(VALU_DEP_1) | instskip(NEXT) | instid1(VALU_DEP_1)
	v_add_co_u32 v9, vcc_lo, s2, v9
	v_add_co_ci_u32_e64 v10, null, s3, v10, vcc_lo
	global_load_b64 v[9:10], v[9:10], off
	s_wait_loadcnt 0x0
	v_sub_co_u32 v21, vcc_lo, v9, s4
	s_wait_alu 0xfffd
	v_subrev_co_ci_u32_e64 v22, null, 0, v10, vcc_lo
	v_dual_mov_b32 v10, s5 :: v_dual_mov_b32 v9, s4
.LBB145_6:
	s_or_b32 exec_lo, exec_lo, s8
	s_wait_alu 0xfffe
	s_and_b32 vcc_lo, exec_lo, s7
	s_wait_alu 0xfffe
	s_cbranch_vccnz .LBB145_10
.LBB145_7:
	s_and_b32 exec_lo, exec_lo, s6
	s_cbranch_execnz .LBB145_13
.LBB145_8:
	s_nop 0
	s_sendmsg sendmsg(MSG_DEALLOC_VGPRS)
	s_endpgm
.LBB145_9:
	s_mov_b32 s6, 0
                                        ; implicit-def: $vgpr21_vgpr22
                                        ; implicit-def: $vgpr9_vgpr10
	s_cbranch_execz .LBB145_7
.LBB145_10:
	s_load_b64 s[2:3], s[0:1], 0x0
	s_wait_kmcnt 0x0
	v_cmp_gt_i64_e32 vcc_lo, s[2:3], v[11:12]
	s_and_saveexec_b32 s2, vcc_lo
; %bb.11:
	s_mov_b32 s5, 0
	s_or_b32 s6, s6, exec_lo
; %bb.12:
	s_wait_alu 0xfffe
	s_or_b32 exec_lo, exec_lo, s2
	v_dual_mov_b32 v10, s5 :: v_dual_mov_b32 v9, s4
	v_dual_mov_b32 v22, v12 :: v_dual_mov_b32 v21, v11
	s_and_b32 exec_lo, exec_lo, s6
	s_cbranch_execz .LBB145_8
.LBB145_13:
	s_load_b256 s[4:11], s[0:1], 0x30
	s_delay_alu instid0(VALU_DEP_1) | instskip(SKIP_3) | instid1(VALU_DEP_2)
	v_lshlrev_b64_e32 v[11:12], 3, v[21:22]
	v_and_b32_e32 v0, 3, v0
	s_load_b32 s3, s[0:1], 0x8
	s_wait_kmcnt 0x0
	v_add_co_u32 v13, vcc_lo, s4, v11
	s_wait_alu 0xfffd
	v_add_co_ci_u32_e64 v14, null, s5, v12, vcc_lo
	v_add_co_u32 v11, vcc_lo, s6, v11
	s_wait_alu 0xfffd
	v_add_co_ci_u32_e64 v12, null, s7, v12, vcc_lo
	v_add_co_u32 v15, vcc_lo, v13, 8
	global_load_b64 v[35:36], v[13:14], off
	s_wait_alu 0xfffd
	v_add_co_ci_u32_e64 v16, null, 0, v14, vcc_lo
	s_cmp_eq_u64 s[6:7], 0
	s_load_b64 s[4:5], s[0:1], 0x50
	s_cselect_b32 vcc_lo, -1, 0
	s_cmp_eq_u32 s3, 1
	s_wait_alu 0xfffe
	v_dual_cndmask_b32 v12, v12, v16 :: v_dual_cndmask_b32 v11, v11, v15
	global_load_b64 v[13:14], v[11:12], off
	s_wait_loadcnt 0x1
	v_sub_co_u32 v11, vcc_lo, v35, v9
	s_wait_alu 0xfffd
	v_sub_co_ci_u32_e64 v12, null, v36, v10, vcc_lo
	s_delay_alu instid0(VALU_DEP_2) | instskip(SKIP_1) | instid1(VALU_DEP_2)
	v_add_co_u32 v11, vcc_lo, v11, v0
	s_wait_alu 0xfffd
	v_add_co_ci_u32_e64 v12, null, 0, v12, vcc_lo
	s_delay_alu instid0(VALU_DEP_1) | instskip(SKIP_4) | instid1(VALU_DEP_3)
	v_lshlrev_b64_e32 v[15:16], 7, v[11:12]
	s_wait_loadcnt 0x0
	v_sub_co_u32 v13, vcc_lo, v13, v9
	s_wait_alu 0xfffd
	v_sub_co_ci_u32_e64 v14, null, v14, v10, vcc_lo
	v_add_co_u32 v15, vcc_lo, s10, v15
	s_delay_alu instid0(VALU_DEP_2)
	v_cmp_lt_i64_e64 s2, v[11:12], v[13:14]
	s_wait_alu 0xfffd
	v_add_co_ci_u32_e64 v16, null, s11, v16, vcc_lo
	s_cbranch_scc1 .LBB145_25
; %bb.14:
	v_mov_b32_e32 v23, 0
	v_mov_b32_e32 v31, 0
	;; [unrolled: 1-line block ×3, first 2 shown]
	v_dual_mov_b32 v19, 0 :: v_dual_mov_b32 v24, 0
	v_dual_mov_b32 v27, 0 :: v_dual_mov_b32 v32, 0
	;; [unrolled: 1-line block ×5, first 2 shown]
	v_mov_b32_e32 v34, 0
	v_mov_b32_e32 v26, 0
	;; [unrolled: 1-line block ×3, first 2 shown]
	s_and_saveexec_b32 s6, s2
	s_cbranch_execz .LBB145_24
; %bb.15:
	v_or_b32_e32 v17, 4, v0
	v_not_b32_e32 v24, v35
	v_mov_b32_e32 v38, 0
	v_not_b32_e32 v23, v36
	v_mov_b32_e32 v31, 0
	v_sub_co_u32 v17, vcc_lo, v17, v9
	s_wait_alu 0xfffd
	v_sub_co_ci_u32_e64 v18, null, 0, v10, vcc_lo
	v_mov_b32_e32 v29, 0
	s_delay_alu instid0(VALU_DEP_3) | instskip(SKIP_1) | instid1(VALU_DEP_3)
	v_add_co_u32 v19, vcc_lo, v17, v35
	s_wait_alu 0xfffd
	v_add_co_ci_u32_e64 v20, null, v18, v36, vcc_lo
	v_sub_co_u32 v25, vcc_lo, v9, v0
	s_wait_alu 0xfffd
	v_subrev_co_ci_u32_e64 v26, null, 0, v10, vcc_lo
	s_delay_alu instid0(VALU_DEP_3) | instskip(NEXT) | instid1(VALU_DEP_3)
	v_cmp_gt_i64_e32 vcc_lo, v[19:20], v[13:14]
	v_add_co_u32 v24, s3, v25, v24
	v_mov_b32_e32 v17, 0
	v_mov_b32_e32 v18, 0
	s_wait_alu 0xf1ff
	v_add_co_ci_u32_e64 v23, null, v26, v23, s3
	s_wait_alu 0xfffd
	v_cndmask_b32_e32 v25, v13, v19, vcc_lo
	v_cndmask_b32_e32 v27, v14, v20, vcc_lo
	v_mov_b32_e32 v19, 0
	v_dual_mov_b32 v20, 0 :: v_dual_mov_b32 v33, 0
	s_delay_alu instid0(VALU_DEP_4) | instskip(SKIP_3) | instid1(VALU_DEP_3)
	v_add_co_u32 v41, vcc_lo, v24, v25
	v_dual_mov_b32 v25, 0 :: v_dual_mov_b32 v30, 0
	s_wait_alu 0xfffd
	v_add_co_ci_u32_e64 v42, null, v23, v27, vcc_lo
	v_dual_mov_b32 v32, 0 :: v_dual_and_b32 v37, 12, v41
	v_dual_mov_b32 v27, 0 :: v_dual_mov_b32 v40, v16
	v_mov_b32_e32 v23, 0
	s_delay_alu instid0(VALU_DEP_3)
	v_cmp_ne_u64_e32 vcc_lo, 12, v[37:38]
	v_mov_b32_e32 v38, v12
	v_mov_b32_e32 v26, 0
	;; [unrolled: 1-line block ×4, first 2 shown]
	v_dual_mov_b32 v24, 0 :: v_dual_mov_b32 v39, v15
	v_mov_b32_e32 v37, v11
	s_and_saveexec_b32 s7, vcc_lo
	s_cbranch_execz .LBB145_19
; %bb.16:
	v_lshrrev_b32_e32 v19, 2, v41
	v_lshlrev_b64_e32 v[17:18], 3, v[11:12]
	v_dual_mov_b32 v23, 0 :: v_dual_mov_b32 v38, v12
	v_mov_b32_e32 v29, 0
	s_delay_alu instid0(VALU_DEP_4) | instskip(NEXT) | instid1(VALU_DEP_4)
	v_dual_mov_b32 v24, 0 :: v_dual_add_nc_u32 v19, 1, v19
	v_add_co_u32 v43, vcc_lo, s8, v17
	v_mov_b32_e32 v27, 0
	s_delay_alu instid0(VALU_DEP_3) | instskip(SKIP_3) | instid1(VALU_DEP_3)
	v_dual_mov_b32 v30, 0 :: v_dual_and_b32 v19, 3, v19
	v_mov_b32_e32 v31, 0
	s_wait_alu 0xfffd
	v_add_co_ci_u32_e64 v44, null, s9, v18, vcc_lo
	v_sub_co_u32 v45, s3, 0, v19
	v_mov_b32_e32 v33, 0
	v_mov_b32_e32 v25, 0
	v_dual_mov_b32 v19, 0 :: v_dual_mov_b32 v40, v16
	v_mov_b32_e32 v17, 0
	v_dual_mov_b32 v37, v11 :: v_dual_mov_b32 v28, 0
	v_mov_b32_e32 v32, 0
	s_wait_alu 0xf1ff
	v_sub_co_ci_u32_e64 v46, null, 0, 0, s3
	v_mov_b32_e32 v34, 0
	v_mov_b32_e32 v26, 0
	;; [unrolled: 1-line block ×3, first 2 shown]
	v_dual_mov_b32 v18, 0 :: v_dual_mov_b32 v39, v15
	s_mov_b32 s10, 0
.LBB145_17:                             ; =>This Inner Loop Header: Depth=1
	global_load_b64 v[79:80], v[43:44], off
	s_clause 0x7
	global_load_b128 v[47:50], v[39:40], off offset:48
	global_load_b128 v[51:54], v[39:40], off offset:32
	;; [unrolled: 1-line block ×3, first 2 shown]
	global_load_b128 v[59:62], v[39:40], off
	global_load_b128 v[63:66], v[39:40], off offset:112
	global_load_b128 v[67:70], v[39:40], off offset:96
	;; [unrolled: 1-line block ×4, first 2 shown]
	v_add_co_u32 v43, s3, v43, 32
	s_wait_alu 0xf1ff
	v_add_co_ci_u32_e64 v44, null, 0, v44, s3
	s_wait_loadcnt 0x8
	v_sub_co_u32 v79, vcc_lo, v79, v9
	s_wait_alu 0xfffd
	v_sub_co_ci_u32_e64 v80, null, v80, v10, vcc_lo
	s_delay_alu instid0(VALU_DEP_1) | instskip(SKIP_1) | instid1(VALU_DEP_1)
	v_lshlrev_b64_e32 v[79:80], 6, v[79:80]
	s_wait_kmcnt 0x0
	v_add_co_u32 v91, vcc_lo, s4, v79
	s_wait_alu 0xfffd
	s_delay_alu instid0(VALU_DEP_2)
	v_add_co_ci_u32_e64 v92, null, s5, v80, vcc_lo
	v_add_co_u32 v39, vcc_lo, 0x200, v39
	s_wait_alu 0xfffd
	v_add_co_ci_u32_e64 v40, null, 0, v40, vcc_lo
	s_clause 0x3
	global_load_b128 v[79:82], v[91:92], off
	global_load_b128 v[83:86], v[91:92], off offset:16
	global_load_b128 v[87:90], v[91:92], off offset:32
	;; [unrolled: 1-line block ×3, first 2 shown]
	v_add_co_u32 v45, vcc_lo, v45, 1
	s_wait_alu 0xfffd
	v_add_co_ci_u32_e64 v46, null, 0, v46, vcc_lo
	v_add_co_u32 v37, vcc_lo, v37, 4
	s_wait_alu 0xfffd
	v_add_co_ci_u32_e64 v38, null, 0, v38, vcc_lo
	s_delay_alu instid0(VALU_DEP_3)
	v_cmp_eq_u64_e32 vcc_lo, 0, v[45:46]
	s_wait_alu 0xfffe
	s_or_b32 s10, vcc_lo, s10
	s_wait_loadcnt 0x3
	v_fma_f64 v[27:28], v[59:60], v[79:80], v[27:28]
	v_fma_f64 v[23:24], v[79:80], 0, v[23:24]
	v_fma_f64 v[33:34], v[51:52], v[79:80], v[33:34]
	v_fma_f64 v[31:32], v[79:80], 0, v[31:32]
	v_fma_f64 v[25:26], v[75:76], v[79:80], v[25:26]
	v_fma_f64 v[29:30], v[79:80], 0, v[29:30]
	v_fma_f64 v[17:18], v[67:68], v[79:80], v[17:18]
	v_fma_f64 v[19:20], v[79:80], 0, v[19:20]
	v_fma_f64 v[27:28], 0x80000000, v[81:82], v[27:28]
	v_fma_f64 v[23:24], v[59:60], v[81:82], v[23:24]
	v_fma_f64 v[33:34], 0x80000000, v[81:82], v[33:34]
	v_fma_f64 v[31:32], v[51:52], v[81:82], v[31:32]
	v_fma_f64 v[25:26], 0x80000000, v[81:82], v[25:26]
	v_fma_f64 v[29:30], v[75:76], v[81:82], v[29:30]
	v_fma_f64 v[17:18], 0x80000000, v[81:82], v[17:18]
	v_fma_f64 v[19:20], v[67:68], v[81:82], v[19:20]
	s_wait_loadcnt 0x2
	v_fma_f64 v[27:28], v[61:62], v[83:84], v[27:28]
	v_fma_f64 v[23:24], v[83:84], 0, v[23:24]
	v_fma_f64 v[33:34], v[53:54], v[83:84], v[33:34]
	v_fma_f64 v[31:32], v[83:84], 0, v[31:32]
	v_fma_f64 v[25:26], v[77:78], v[83:84], v[25:26]
	v_fma_f64 v[29:30], v[83:84], 0, v[29:30]
	v_fma_f64 v[17:18], v[69:70], v[83:84], v[17:18]
	v_fma_f64 v[19:20], v[83:84], 0, v[19:20]
	v_fma_f64 v[27:28], 0x80000000, v[85:86], v[27:28]
	v_fma_f64 v[23:24], v[61:62], v[85:86], v[23:24]
	v_fma_f64 v[33:34], 0x80000000, v[85:86], v[33:34]
	v_fma_f64 v[31:32], v[53:54], v[85:86], v[31:32]
	v_fma_f64 v[25:26], 0x80000000, v[85:86], v[25:26]
	v_fma_f64 v[29:30], v[77:78], v[85:86], v[29:30]
	v_fma_f64 v[17:18], 0x80000000, v[85:86], v[17:18]
	v_fma_f64 v[19:20], v[69:70], v[85:86], v[19:20]
	;; [unrolled: 17-line block ×4, first 2 shown]
	s_wait_alu 0xfffe
	s_and_not1_b32 exec_lo, exec_lo, s10
	s_cbranch_execnz .LBB145_17
; %bb.18:
	s_or_b32 exec_lo, exec_lo, s10
.LBB145_19:
	s_wait_alu 0xfffe
	s_or_b32 exec_lo, exec_lo, s7
	s_delay_alu instid0(SALU_CYCLE_1)
	s_mov_b32 s7, exec_lo
	v_cmpx_lt_u64_e32 11, v[41:42]
	s_cbranch_execz .LBB145_23
; %bb.20:
	v_lshlrev_b64_e32 v[41:42], 3, v[37:38]
	s_mov_b32 s10, 0
	s_delay_alu instid0(VALU_DEP_1) | instskip(SKIP_1) | instid1(VALU_DEP_2)
	v_add_co_u32 v41, vcc_lo, s8, v41
	s_wait_alu 0xfffd
	v_add_co_ci_u32_e64 v42, null, s9, v42, vcc_lo
	s_delay_alu instid0(VALU_DEP_2) | instskip(SKIP_1) | instid1(VALU_DEP_2)
	v_add_co_u32 v41, vcc_lo, v41, 64
	s_wait_alu 0xfffd
	v_add_co_ci_u32_e64 v42, null, 0, v42, vcc_lo
.LBB145_21:                             ; =>This Inner Loop Header: Depth=1
	s_clause 0x1
	global_load_b64 v[59:60], v[41:42], off offset:-64
	global_load_b64 v[107:108], v[41:42], off offset:-32
	s_clause 0x3
	global_load_b128 v[43:46], v[39:40], off offset:32
	global_load_b128 v[47:50], v[39:40], off
	global_load_b128 v[51:54], v[39:40], off offset:96
	global_load_b128 v[55:58], v[39:40], off offset:64
	s_clause 0x1
	global_load_b64 v[111:112], v[41:42], off
	global_load_b64 v[113:114], v[41:42], off offset:32
	v_add_co_u32 v41, s3, 0x80, v41
	s_wait_alu 0xf1ff
	v_add_co_ci_u32_e64 v42, null, 0, v42, s3
	s_wait_loadcnt 0x7
	v_sub_co_u32 v59, vcc_lo, v59, v9
	s_wait_alu 0xfffd
	v_sub_co_ci_u32_e64 v60, null, v60, v10, vcc_lo
	s_delay_alu instid0(VALU_DEP_1) | instskip(SKIP_1) | instid1(VALU_DEP_1)
	v_lshlrev_b64_e32 v[59:60], 6, v[59:60]
	s_wait_kmcnt 0x0
	v_add_co_u32 v87, vcc_lo, s4, v59
	s_wait_alu 0xfffd
	s_delay_alu instid0(VALU_DEP_2)
	v_add_co_ci_u32_e64 v88, null, s5, v60, vcc_lo
	s_wait_loadcnt 0x6
	v_sub_co_u32 v107, vcc_lo, v107, v9
	s_wait_alu 0xfffd
	v_sub_co_ci_u32_e64 v108, null, v108, v10, vcc_lo
	s_clause 0x1
	global_load_b128 v[59:62], v[87:88], off
	global_load_b128 v[63:66], v[87:88], off offset:16
	s_clause 0x3
	global_load_b128 v[67:70], v[39:40], off offset:48
	global_load_b128 v[71:74], v[39:40], off offset:16
	;; [unrolled: 1-line block ×4, first 2 shown]
	s_clause 0x1
	global_load_b128 v[83:86], v[87:88], off offset:32
	global_load_b128 v[87:90], v[87:88], off offset:48
	s_clause 0x3
	global_load_b128 v[91:94], v[39:40], off offset:544
	global_load_b128 v[95:98], v[39:40], off offset:512
	;; [unrolled: 1-line block ×4, first 2 shown]
	v_lshlrev_b64_e32 v[107:108], 6, v[107:108]
	s_delay_alu instid0(VALU_DEP_1) | instskip(SKIP_1) | instid1(VALU_DEP_2)
	v_add_co_u32 v115, vcc_lo, s4, v107
	s_wait_alu 0xfffd
	v_add_co_ci_u32_e64 v116, null, s5, v108, vcc_lo
	s_wait_loadcnt 0xd
	v_sub_co_u32 v111, vcc_lo, v111, v9
	s_wait_alu 0xfffd
	v_sub_co_ci_u32_e64 v112, null, v112, v10, vcc_lo
	global_load_b128 v[107:110], v[115:116], off
	s_wait_loadcnt 0xc
	v_fma_f64 v[23:24], v[59:60], 0, v[23:24]
	v_fma_f64 v[31:32], v[59:60], 0, v[31:32]
	;; [unrolled: 1-line block ×16, first 2 shown]
	global_load_b128 v[17:20], v[115:116], off offset:16
	s_wait_loadcnt 0xc
	v_fma_f64 v[23:24], v[63:64], 0, v[23:24]
	v_fma_f64 v[31:32], v[63:64], 0, v[31:32]
	;; [unrolled: 1-line block ×16, first 2 shown]
	s_clause 0x3
	global_load_b128 v[23:26], v[39:40], off offset:560
	global_load_b128 v[27:30], v[39:40], off offset:528
	;; [unrolled: 1-line block ×5, first 2 shown]
	s_wait_loadcnt 0xc
	v_fma_f64 v[51:52], v[83:84], 0, v[51:52]
	v_fma_f64 v[55:56], v[83:84], 0, v[55:56]
	;; [unrolled: 1-line block ×16, first 2 shown]
	global_load_b128 v[51:54], v[115:116], off offset:48
	s_wait_loadcnt 0xc
	v_fma_f64 v[71:72], v[87:88], 0, v[71:72]
	v_fma_f64 v[75:76], v[87:88], 0, v[55:56]
	;; [unrolled: 1-line block ×8, first 2 shown]
	s_clause 0x3
	global_load_b128 v[55:58], v[39:40], off offset:1056
	global_load_b128 v[59:62], v[39:40], off offset:1024
	global_load_b128 v[63:66], v[39:40], off offset:1120
	global_load_b128 v[83:86], v[39:40], off offset:1088
	v_fma_f64 v[71:72], v[73:74], v[89:90], v[71:72]
	v_fma_f64 v[73:74], v[69:70], v[89:90], v[75:76]
	;; [unrolled: 1-line block ×8, first 2 shown]
	v_lshlrev_b64_e32 v[67:68], 6, v[111:112]
	s_delay_alu instid0(VALU_DEP_1) | instskip(SKIP_1) | instid1(VALU_DEP_2)
	v_add_co_u32 v111, vcc_lo, s4, v67
	s_wait_alu 0xfffd
	v_add_co_ci_u32_e64 v112, null, s5, v68, vcc_lo
	v_sub_co_u32 v113, vcc_lo, v113, v9
	s_wait_alu 0xfffd
	v_sub_co_ci_u32_e64 v114, null, v114, v10, vcc_lo
	global_load_b128 v[67:70], v[111:112], off
	s_wait_loadcnt 0xc
	v_fma_f64 v[71:72], v[107:108], 0, v[71:72]
	v_fma_f64 v[73:74], v[107:108], 0, v[73:74]
	;; [unrolled: 1-line block ×16, first 2 shown]
	global_load_b128 v[71:74], v[111:112], off offset:16
	s_wait_loadcnt 0xc
	v_fma_f64 v[95:96], v[17:18], 0, v[95:96]
	v_fma_f64 v[91:92], v[17:18], 0, v[91:92]
	;; [unrolled: 1-line block ×16, first 2 shown]
	s_clause 0x3
	global_load_b128 v[17:20], v[39:40], off offset:1072
	global_load_b128 v[75:78], v[39:40], off offset:1040
	;; [unrolled: 1-line block ×5, first 2 shown]
	s_wait_loadcnt 0xc
	v_fma_f64 v[95:96], v[47:48], 0, v[95:96]
	v_fma_f64 v[97:98], v[47:48], 0, v[97:98]
	;; [unrolled: 1-line block ×16, first 2 shown]
	global_load_b128 v[47:50], v[111:112], off offset:48
	s_wait_loadcnt 0xc
	v_fma_f64 v[27:28], v[51:52], 0, v[27:28]
	v_fma_f64 v[23:24], v[51:52], 0, v[23:24]
	;; [unrolled: 1-line block ×8, first 2 shown]
	s_clause 0x3
	global_load_b128 v[95:98], v[39:40], off offset:1568
	global_load_b128 v[99:102], v[39:40], off offset:1536
	;; [unrolled: 1-line block ×4, first 2 shown]
	v_fma_f64 v[27:28], v[29:30], v[53:54], v[27:28]
	v_fma_f64 v[29:30], v[25:26], v[53:54], v[23:24]
	;; [unrolled: 1-line block ×8, first 2 shown]
	v_lshlrev_b64_e32 v[23:24], 6, v[113:114]
	s_delay_alu instid0(VALU_DEP_1) | instskip(SKIP_1) | instid1(VALU_DEP_2)
	v_add_co_u32 v113, vcc_lo, s4, v23
	s_wait_alu 0xfffd
	v_add_co_ci_u32_e64 v114, null, s5, v24, vcc_lo
	v_add_co_u32 v37, vcc_lo, v37, 16
	s_wait_alu 0xfffd
	v_add_co_ci_u32_e64 v38, null, 0, v38, vcc_lo
	global_load_b128 v[23:26], v[113:114], off
	s_wait_loadcnt 0xc
	v_fma_f64 v[27:28], v[67:68], 0, v[27:28]
	v_fma_f64 v[29:30], v[67:68], 0, v[29:30]
	;; [unrolled: 1-line block ×16, first 2 shown]
	global_load_b128 v[27:30], v[113:114], off offset:16
	s_wait_loadcnt 0xc
	v_fma_f64 v[59:60], v[71:72], 0, v[59:60]
	v_fma_f64 v[55:56], v[71:72], 0, v[55:56]
	;; [unrolled: 1-line block ×16, first 2 shown]
	s_clause 0x3
	global_load_b128 v[43:46], v[39:40], off offset:1584
	global_load_b128 v[31:34], v[39:40], off offset:1552
	;; [unrolled: 1-line block ×5, first 2 shown]
	v_add_co_u32 v39, vcc_lo, 0x800, v39
	s_wait_alu 0xfffd
	v_add_co_ci_u32_e64 v40, null, 0, v40, vcc_lo
	v_cmp_ge_i64_e32 vcc_lo, v[37:38], v[13:14]
	s_wait_alu 0xfffe
	s_or_b32 s10, vcc_lo, s10
	s_wait_loadcnt 0xc
	v_fma_f64 v[67:68], v[91:92], 0, v[67:68]
	v_fma_f64 v[71:72], v[91:92], 0, v[71:72]
	;; [unrolled: 1-line block ×16, first 2 shown]
	global_load_b128 v[63:66], v[113:114], off offset:48
	s_wait_loadcnt 0xc
	v_fma_f64 v[67:68], v[47:48], 0, v[67:68]
	v_fma_f64 v[17:18], v[47:48], 0, v[17:18]
	v_fma_f64 v[83:84], v[77:78], v[47:48], v[91:92]
	v_fma_f64 v[69:70], v[19:20], v[47:48], v[69:70]
	v_fma_f64 v[71:72], v[89:90], v[47:48], v[71:72]
	v_fma_f64 v[73:74], v[47:48], 0, v[73:74]
	v_fma_f64 v[75:76], v[81:82], v[47:48], v[75:76]
	v_fma_f64 v[47:48], v[47:48], 0, v[79:80]
	v_fma_f64 v[67:68], v[77:78], v[49:50], v[67:68]
	v_fma_f64 v[17:18], v[19:20], v[49:50], v[17:18]
	v_fma_f64 v[79:80], 0x80000000, v[49:50], v[83:84]
	v_fma_f64 v[69:70], 0x80000000, v[49:50], v[69:70]
	v_fma_f64 v[19:20], 0x80000000, v[49:50], v[71:72]
	v_fma_f64 v[71:72], v[89:90], v[49:50], v[73:74]
	v_fma_f64 v[73:74], 0x80000000, v[49:50], v[75:76]
	v_fma_f64 v[47:48], v[81:82], v[49:50], v[47:48]
	s_wait_loadcnt 0x7
	v_fma_f64 v[67:68], v[23:24], 0, v[67:68]
	v_fma_f64 v[17:18], v[23:24], 0, v[17:18]
	v_fma_f64 v[49:50], v[99:100], v[23:24], v[79:80]
	v_fma_f64 v[69:70], v[95:96], v[23:24], v[69:70]
	v_fma_f64 v[19:20], v[107:108], v[23:24], v[19:20]
	v_fma_f64 v[71:72], v[23:24], 0, v[71:72]
	v_fma_f64 v[73:74], v[103:104], v[23:24], v[73:74]
	v_fma_f64 v[23:24], v[23:24], 0, v[47:48]
	v_fma_f64 v[17:18], v[95:96], v[25:26], v[17:18]
	v_fma_f64 v[47:48], 0x80000000, v[25:26], v[49:50]
	v_fma_f64 v[49:50], v[99:100], v[25:26], v[67:68]
	v_fma_f64 v[67:68], 0x80000000, v[25:26], v[69:70]
	v_fma_f64 v[19:20], 0x80000000, v[25:26], v[19:20]
	v_fma_f64 v[69:70], v[107:108], v[25:26], v[71:72]
	v_fma_f64 v[71:72], 0x80000000, v[25:26], v[73:74]
	v_fma_f64 v[23:24], v[103:104], v[25:26], v[23:24]
	;; [unrolled: 17-line block ×5, first 2 shown]
	s_wait_alu 0xfffe
	s_and_not1_b32 exec_lo, exec_lo, s10
	s_cbranch_execnz .LBB145_21
; %bb.22:
	s_or_b32 exec_lo, exec_lo, s10
.LBB145_23:
	s_wait_alu 0xfffe
	s_or_b32 exec_lo, exec_lo, s7
.LBB145_24:
	s_wait_alu 0xfffe
	s_or_b32 exec_lo, exec_lo, s6
	s_cbranch_execz .LBB145_26
	s_branch .LBB145_37
.LBB145_25:
                                        ; implicit-def: $vgpr23_vgpr24
                                        ; implicit-def: $vgpr27_vgpr28
                                        ; implicit-def: $vgpr31_vgpr32
                                        ; implicit-def: $vgpr33_vgpr34
                                        ; implicit-def: $vgpr29_vgpr30
                                        ; implicit-def: $vgpr25_vgpr26
                                        ; implicit-def: $vgpr19_vgpr20
                                        ; implicit-def: $vgpr17_vgpr18
.LBB145_26:
	v_mov_b32_e32 v23, 0
	v_mov_b32_e32 v31, 0
	;; [unrolled: 1-line block ×3, first 2 shown]
	v_dual_mov_b32 v19, 0 :: v_dual_mov_b32 v24, 0
	v_dual_mov_b32 v27, 0 :: v_dual_mov_b32 v32, 0
	;; [unrolled: 1-line block ×5, first 2 shown]
	v_mov_b32_e32 v34, 0
	v_mov_b32_e32 v26, 0
	;; [unrolled: 1-line block ×3, first 2 shown]
	s_and_saveexec_b32 s3, s2
	s_cbranch_execz .LBB145_36
; %bb.27:
	v_or_b32_e32 v17, 4, v0
	v_not_b32_e32 v20, v35
	v_sub_co_u32 v23, s2, v9, v0
	v_not_b32_e32 v19, v36
	s_delay_alu instid0(VALU_DEP_4)
	v_sub_co_u32 v17, vcc_lo, v17, v9
	s_wait_alu 0xfffd
	v_sub_co_ci_u32_e64 v18, null, 0, v10, vcc_lo
	s_wait_alu 0xf1ff
	v_subrev_co_ci_u32_e64 v25, null, 0, v10, s2
	v_add_co_u32 v17, vcc_lo, v17, v35
	s_wait_alu 0xfffd
	v_add_co_ci_u32_e64 v18, null, v18, v36, vcc_lo
	v_add_co_u32 v20, s2, v23, v20
	s_wait_alu 0xf1ff
	v_add_co_ci_u32_e64 v27, null, v25, v19, s2
	s_delay_alu instid0(VALU_DEP_3)
	v_cmp_gt_i64_e32 vcc_lo, v[17:18], v[13:14]
	v_dual_mov_b32 v24, 0 :: v_dual_mov_b32 v29, 0
	v_dual_mov_b32 v31, 0 :: v_dual_mov_b32 v30, 0
	s_wait_alu 0xfffd
	v_dual_mov_b32 v33, 0 :: v_dual_cndmask_b32 v26, v13, v17
	v_cndmask_b32_e32 v23, v14, v18, vcc_lo
	v_mov_b32_e32 v17, 0
	v_mov_b32_e32 v18, 0
	;; [unrolled: 1-line block ×3, first 2 shown]
	v_add_co_u32 v35, vcc_lo, v20, v26
	v_mov_b32_e32 v19, 0
	v_dual_mov_b32 v20, 0 :: v_dual_mov_b32 v25, 0
	v_mov_b32_e32 v26, 0
	s_wait_alu 0xfffd
	v_add_co_ci_u32_e64 v36, null, v27, v23, vcc_lo
	v_and_b32_e32 v23, 12, v35
	v_dual_mov_b32 v27, 0 :: v_dual_mov_b32 v34, 0
	v_mov_b32_e32 v28, 0
	s_delay_alu instid0(VALU_DEP_3)
	v_cmp_ne_u64_e32 vcc_lo, 12, v[23:24]
	v_mov_b32_e32 v23, 0
	v_mov_b32_e32 v24, 0
	s_and_saveexec_b32 s6, vcc_lo
	s_cbranch_execz .LBB145_31
; %bb.28:
	v_lshrrev_b32_e32 v19, 2, v35
	v_mov_b32_e32 v31, 0
	v_mov_b32_e32 v32, 0
	v_lshlrev_b64_e32 v[17:18], 3, v[11:12]
	v_mov_b32_e32 v29, 0
	v_add_nc_u32_e32 v19, 1, v19
	v_mov_b32_e32 v23, 0
	v_dual_mov_b32 v24, 0 :: v_dual_mov_b32 v27, 0
	v_add_co_u32 v37, vcc_lo, s8, v17
	s_delay_alu instid0(VALU_DEP_4) | instskip(SKIP_3) | instid1(VALU_DEP_3)
	v_dual_mov_b32 v30, 0 :: v_dual_and_b32 v39, 3, v19
	s_wait_alu 0xfffd
	v_add_co_ci_u32_e64 v38, null, s9, v18, vcc_lo
	v_mov_b32_e32 v33, 0
	v_sub_co_u32 v39, s2, 0, v39
	v_mov_b32_e32 v25, 0
	v_mov_b32_e32 v19, 0
	v_dual_mov_b32 v17, 0 :: v_dual_mov_b32 v28, 0
	v_mov_b32_e32 v34, 0
	v_mov_b32_e32 v26, 0
	;; [unrolled: 1-line block ×4, first 2 shown]
	s_wait_alu 0xf1ff
	v_sub_co_ci_u32_e64 v40, null, 0, 0, s2
	s_mov_b32 s7, 0
.LBB145_29:                             ; =>This Inner Loop Header: Depth=1
	global_load_b64 v[49:50], v[37:38], off
	s_clause 0x1
	global_load_b128 v[41:44], v[15:16], off offset:16
	global_load_b128 v[45:48], v[15:16], off
	v_add_co_u32 v37, s2, v37, 32
	s_wait_alu 0xf1ff
	v_add_co_ci_u32_e64 v38, null, 0, v38, s2
	s_wait_loadcnt 0x2
	v_sub_co_u32 v49, vcc_lo, v49, v9
	s_wait_alu 0xfffd
	v_sub_co_ci_u32_e64 v50, null, v50, v10, vcc_lo
	s_delay_alu instid0(VALU_DEP_1) | instskip(SKIP_1) | instid1(VALU_DEP_1)
	v_lshlrev_b64_e32 v[49:50], 6, v[49:50]
	s_wait_kmcnt 0x0
	v_add_co_u32 v77, vcc_lo, s4, v49
	s_wait_alu 0xfffd
	s_delay_alu instid0(VALU_DEP_2)
	v_add_co_ci_u32_e64 v78, null, s5, v50, vcc_lo
	s_clause 0x1
	global_load_b128 v[49:52], v[77:78], off
	global_load_b128 v[53:56], v[77:78], off offset:16
	s_clause 0x3
	global_load_b128 v[57:60], v[15:16], off offset:32
	global_load_b128 v[61:64], v[15:16], off offset:48
	;; [unrolled: 1-line block ×4, first 2 shown]
	s_clause 0x1
	global_load_b128 v[73:76], v[77:78], off offset:32
	global_load_b128 v[77:80], v[77:78], off offset:48
	s_clause 0x1
	global_load_b128 v[81:84], v[15:16], off offset:96
	global_load_b128 v[85:88], v[15:16], off offset:112
	v_add_co_u32 v15, vcc_lo, 0x200, v15
	s_wait_alu 0xfffd
	v_add_co_ci_u32_e64 v16, null, 0, v16, vcc_lo
	v_add_co_u32 v39, vcc_lo, v39, 1
	s_wait_alu 0xfffd
	v_add_co_ci_u32_e64 v40, null, 0, v40, vcc_lo
	;; [unrolled: 3-line block ×3, first 2 shown]
	s_delay_alu instid0(VALU_DEP_3)
	v_cmp_eq_u64_e32 vcc_lo, 0, v[39:40]
	s_wait_alu 0xfffe
	s_or_b32 s7, vcc_lo, s7
	s_wait_loadcnt 0x9
	v_fma_f64 v[27:28], v[45:46], v[49:50], v[27:28]
	v_fma_f64 v[23:24], v[49:50], 0, v[23:24]
	;; [unrolled: 1-line block ×16, first 2 shown]
	s_wait_loadcnt 0x7
	v_fma_f64 v[27:28], v[57:58], v[53:54], v[27:28]
	v_fma_f64 v[23:24], v[53:54], 0, v[23:24]
	;; [unrolled: 1-line block ×4, first 2 shown]
	s_wait_loadcnt 0x6
	v_fma_f64 v[25:26], v[61:62], v[53:54], v[25:26]
	v_fma_f64 v[29:30], v[53:54], 0, v[29:30]
	;; [unrolled: 1-line block ×12, first 2 shown]
	s_wait_loadcnt 0x3
	v_fma_f64 v[27:28], v[69:70], v[73:74], v[27:28]
	v_fma_f64 v[23:24], v[73:74], 0, v[23:24]
	v_fma_f64 v[33:34], v[71:72], v[73:74], v[33:34]
	v_fma_f64 v[31:32], v[73:74], 0, v[31:32]
	v_fma_f64 v[25:26], v[65:66], v[73:74], v[25:26]
	v_fma_f64 v[29:30], v[73:74], 0, v[29:30]
	v_fma_f64 v[17:18], v[67:68], v[73:74], v[17:18]
	v_fma_f64 v[19:20], v[73:74], 0, v[19:20]
	v_fma_f64 v[27:28], 0x80000000, v[75:76], v[27:28]
	v_fma_f64 v[23:24], v[69:70], v[75:76], v[23:24]
	v_fma_f64 v[33:34], 0x80000000, v[75:76], v[33:34]
	v_fma_f64 v[31:32], v[71:72], v[75:76], v[31:32]
	v_fma_f64 v[25:26], 0x80000000, v[75:76], v[25:26]
	v_fma_f64 v[29:30], v[65:66], v[75:76], v[29:30]
	v_fma_f64 v[17:18], 0x80000000, v[75:76], v[17:18]
	v_fma_f64 v[19:20], v[67:68], v[75:76], v[19:20]
	s_wait_loadcnt 0x1
	v_fma_f64 v[27:28], v[81:82], v[77:78], v[27:28]
	v_fma_f64 v[23:24], v[77:78], 0, v[23:24]
	;; [unrolled: 1-line block ×4, first 2 shown]
	s_wait_loadcnt 0x0
	v_fma_f64 v[25:26], v[85:86], v[77:78], v[25:26]
	v_fma_f64 v[29:30], v[77:78], 0, v[29:30]
	v_fma_f64 v[17:18], v[87:88], v[77:78], v[17:18]
	v_fma_f64 v[19:20], v[77:78], 0, v[19:20]
	v_fma_f64 v[27:28], 0x80000000, v[79:80], v[27:28]
	v_fma_f64 v[23:24], v[81:82], v[79:80], v[23:24]
	v_fma_f64 v[33:34], 0x80000000, v[79:80], v[33:34]
	v_fma_f64 v[31:32], v[83:84], v[79:80], v[31:32]
	v_fma_f64 v[25:26], 0x80000000, v[79:80], v[25:26]
	v_fma_f64 v[29:30], v[85:86], v[79:80], v[29:30]
	v_fma_f64 v[17:18], 0x80000000, v[79:80], v[17:18]
	v_fma_f64 v[19:20], v[87:88], v[79:80], v[19:20]
	s_wait_alu 0xfffe
	s_and_not1_b32 exec_lo, exec_lo, s7
	s_cbranch_execnz .LBB145_29
; %bb.30:
	s_or_b32 exec_lo, exec_lo, s7
.LBB145_31:
	s_wait_alu 0xfffe
	s_or_b32 exec_lo, exec_lo, s6
	s_delay_alu instid0(SALU_CYCLE_1)
	s_mov_b32 s6, exec_lo
	v_cmpx_lt_u64_e32 11, v[35:36]
	s_cbranch_execz .LBB145_35
; %bb.32:
	v_lshlrev_b64_e32 v[35:36], 3, v[11:12]
	s_mov_b32 s7, 0
	s_delay_alu instid0(VALU_DEP_1) | instskip(SKIP_1) | instid1(VALU_DEP_2)
	v_add_co_u32 v35, vcc_lo, s8, v35
	s_wait_alu 0xfffd
	v_add_co_ci_u32_e64 v36, null, s9, v36, vcc_lo
	s_delay_alu instid0(VALU_DEP_2) | instskip(SKIP_1) | instid1(VALU_DEP_2)
	v_add_co_u32 v35, vcc_lo, v35, 64
	s_wait_alu 0xfffd
	v_add_co_ci_u32_e64 v36, null, 0, v36, vcc_lo
.LBB145_33:                             ; =>This Inner Loop Header: Depth=1
	s_clause 0x1
	global_load_b64 v[45:46], v[35:36], off offset:-64
	global_load_b64 v[93:94], v[35:36], off offset:-32
	s_clause 0x1
	global_load_b128 v[37:40], v[15:16], off offset:16
	global_load_b128 v[41:44], v[15:16], off
	s_clause 0x1
	global_load_b64 v[101:102], v[35:36], off
	global_load_b64 v[103:104], v[35:36], off offset:32
	v_add_co_u32 v35, s2, 0x80, v35
	s_wait_alu 0xf1ff
	v_add_co_ci_u32_e64 v36, null, 0, v36, s2
	s_wait_loadcnt 0x5
	v_sub_co_u32 v45, vcc_lo, v45, v9
	s_wait_alu 0xfffd
	v_sub_co_ci_u32_e64 v46, null, v46, v10, vcc_lo
	s_delay_alu instid0(VALU_DEP_1) | instskip(SKIP_1) | instid1(VALU_DEP_1)
	v_lshlrev_b64_e32 v[45:46], 6, v[45:46]
	s_wait_kmcnt 0x0
	v_add_co_u32 v73, vcc_lo, s4, v45
	s_wait_alu 0xfffd
	s_delay_alu instid0(VALU_DEP_2)
	v_add_co_ci_u32_e64 v74, null, s5, v46, vcc_lo
	s_wait_loadcnt 0x4
	v_sub_co_u32 v93, vcc_lo, v93, v9
	s_wait_alu 0xfffd
	v_sub_co_ci_u32_e64 v94, null, v94, v10, vcc_lo
	s_clause 0x1
	global_load_b128 v[45:48], v[73:74], off
	global_load_b128 v[49:52], v[73:74], off offset:16
	s_clause 0x3
	global_load_b128 v[53:56], v[15:16], off offset:32
	global_load_b128 v[57:60], v[15:16], off offset:48
	;; [unrolled: 1-line block ×4, first 2 shown]
	s_clause 0x1
	global_load_b128 v[69:72], v[73:74], off offset:32
	global_load_b128 v[73:76], v[73:74], off offset:48
	s_clause 0x3
	global_load_b128 v[77:80], v[15:16], off offset:96
	global_load_b128 v[81:84], v[15:16], off offset:112
	;; [unrolled: 1-line block ×4, first 2 shown]
	v_lshlrev_b64_e32 v[93:94], 6, v[93:94]
	s_delay_alu instid0(VALU_DEP_1) | instskip(SKIP_1) | instid1(VALU_DEP_2)
	v_add_co_u32 v105, vcc_lo, s4, v93
	s_wait_alu 0xfffd
	v_add_co_ci_u32_e64 v106, null, s5, v94, vcc_lo
	s_clause 0x1
	global_load_b128 v[93:96], v[105:106], off
	global_load_b128 v[97:100], v[105:106], off offset:16
	s_wait_loadcnt 0xd
	v_fma_f64 v[27:28], v[41:42], v[45:46], v[27:28]
	v_fma_f64 v[23:24], v[45:46], 0, v[23:24]
	;; [unrolled: 1-line block ×16, first 2 shown]
	s_clause 0x1
	global_load_b128 v[17:20], v[15:16], off offset:544
	global_load_b128 v[23:26], v[15:16], off offset:560
	s_wait_loadcnt 0xd
	v_fma_f64 v[27:28], v[53:54], v[49:50], v[27:28]
	v_fma_f64 v[41:42], v[49:50], 0, v[41:42]
	;; [unrolled: 1-line block ×4, first 2 shown]
	s_wait_loadcnt 0xc
	v_fma_f64 v[43:44], v[57:58], v[49:50], v[43:44]
	v_fma_f64 v[29:30], v[49:50], 0, v[29:30]
	;; [unrolled: 1-line block ×12, first 2 shown]
	s_clause 0x1
	global_load_b128 v[27:30], v[15:16], off offset:592
	global_load_b128 v[31:34], v[15:16], off offset:576
	s_clause 0x1
	global_load_b128 v[37:40], v[105:106], off offset:32
	global_load_b128 v[41:44], v[105:106], off offset:48
	s_wait_loadcnt 0xd
	v_fma_f64 v[45:46], v[65:66], v[69:70], v[45:46]
	v_fma_f64 v[47:48], v[69:70], 0, v[47:48]
	;; [unrolled: 1-line block ×16, first 2 shown]
	s_clause 0x1
	global_load_b128 v[45:48], v[15:16], off offset:608
	global_load_b128 v[49:52], v[15:16], off offset:624
	s_wait_loadcnt 0xd
	v_fma_f64 v[63:64], v[77:78], v[73:74], v[69:70]
	v_fma_f64 v[65:66], v[73:74], 0, v[65:66]
	;; [unrolled: 1-line block ×4, first 2 shown]
	s_wait_loadcnt 0xc
	v_fma_f64 v[71:72], v[81:82], v[73:74], v[55:56]
	v_fma_f64 v[105:106], v[73:74], 0, v[57:58]
	;; [unrolled: 1-line block ×4, first 2 shown]
	v_sub_co_u32 v73, vcc_lo, v101, v9
	s_wait_alu 0xfffd
	v_sub_co_ci_u32_e64 v74, null, v102, v10, vcc_lo
	s_clause 0x1
	global_load_b128 v[53:56], v[15:16], off offset:1040
	global_load_b128 v[57:60], v[15:16], off offset:1024
	v_fma_f64 v[109:110], 0x80000000, v[75:76], v[63:64]
	v_fma_f64 v[77:78], v[77:78], v[75:76], v[65:66]
	;; [unrolled: 1-line block ×8, first 2 shown]
	v_lshlrev_b64_e32 v[61:62], 6, v[73:74]
	s_delay_alu instid0(VALU_DEP_1) | instskip(SKIP_1) | instid1(VALU_DEP_2)
	v_add_co_u32 v83, vcc_lo, s4, v61
	s_wait_alu 0xfffd
	v_add_co_ci_u32_e64 v84, null, s5, v62, vcc_lo
	s_clause 0x1
	global_load_b128 v[61:64], v[83:84], off
	global_load_b128 v[65:68], v[83:84], off offset:16
	v_sub_co_u32 v103, vcc_lo, v103, v9
	s_wait_alu 0xfffd
	v_sub_co_ci_u32_e64 v104, null, v104, v10, vcc_lo
	s_wait_loadcnt 0xd
	v_fma_f64 v[73:74], v[89:90], v[93:94], v[109:110]
	v_fma_f64 v[77:78], v[93:94], 0, v[77:78]
	;; [unrolled: 1-line block ×16, first 2 shown]
	s_clause 0x1
	global_load_b128 v[69:72], v[15:16], off offset:1056
	global_load_b128 v[73:76], v[15:16], off offset:1072
	s_wait_loadcnt 0xd
	v_fma_f64 v[87:88], v[17:18], v[97:98], v[93:94]
	v_fma_f64 v[77:78], v[97:98], 0, v[77:78]
	;; [unrolled: 1-line block ×4, first 2 shown]
	s_wait_loadcnt 0xc
	v_fma_f64 v[93:94], v[23:24], v[97:98], v[101:102]
	v_fma_f64 v[79:80], v[97:98], 0, v[79:80]
	v_fma_f64 v[81:82], v[25:26], v[97:98], v[81:82]
	v_fma_f64 v[85:86], v[97:98], 0, v[85:86]
	v_fma_f64 v[87:88], 0x80000000, v[99:100], v[87:88]
	v_fma_f64 v[95:96], v[17:18], v[99:100], v[77:78]
	v_fma_f64 v[89:90], 0x80000000, v[99:100], v[89:90]
	v_fma_f64 v[91:92], v[19:20], v[99:100], v[91:92]
	v_fma_f64 v[93:94], 0x80000000, v[99:100], v[93:94]
	v_fma_f64 v[97:98], v[23:24], v[99:100], v[79:80]
	v_fma_f64 v[101:102], 0x80000000, v[99:100], v[81:82]
	v_fma_f64 v[85:86], v[25:26], v[99:100], v[85:86]
	s_clause 0x1
	global_load_b128 v[17:20], v[15:16], off offset:1104
	global_load_b128 v[23:26], v[15:16], off offset:1088
	s_clause 0x1
	global_load_b128 v[77:80], v[83:84], off offset:32
	global_load_b128 v[81:84], v[83:84], off offset:48
	s_wait_loadcnt 0xd
	v_fma_f64 v[87:88], v[31:32], v[37:38], v[87:88]
	v_fma_f64 v[95:96], v[37:38], 0, v[95:96]
	;; [unrolled: 1-line block ×16, first 2 shown]
	s_clause 0x1
	global_load_b128 v[27:30], v[15:16], off offset:1120
	global_load_b128 v[31:34], v[15:16], off offset:1136
	s_wait_loadcnt 0xd
	v_fma_f64 v[99:100], v[45:46], v[41:42], v[85:86]
	v_fma_f64 v[101:102], v[41:42], 0, v[87:88]
	;; [unrolled: 1-line block ×4, first 2 shown]
	s_wait_loadcnt 0xc
	v_fma_f64 v[93:94], v[49:50], v[41:42], v[93:94]
	v_fma_f64 v[95:96], v[41:42], 0, v[95:96]
	;; [unrolled: 1-line block ×4, first 2 shown]
	s_clause 0x1
	global_load_b128 v[37:40], v[15:16], off offset:1552
	global_load_b128 v[85:88], v[15:16], off offset:1536
	v_fma_f64 v[99:100], 0x80000000, v[43:44], v[99:100]
	v_fma_f64 v[101:102], v[45:46], v[43:44], v[101:102]
	;; [unrolled: 1-line block ×8, first 2 shown]
	v_lshlrev_b64_e32 v[41:42], 6, v[103:104]
	s_delay_alu instid0(VALU_DEP_1) | instskip(SKIP_1) | instid1(VALU_DEP_2)
	v_add_co_u32 v97, vcc_lo, s4, v41
	s_wait_alu 0xfffd
	v_add_co_ci_u32_e64 v98, null, s5, v42, vcc_lo
	s_clause 0x1
	global_load_b128 v[41:44], v[97:98], off
	global_load_b128 v[45:48], v[97:98], off offset:16
	v_add_co_u32 v11, vcc_lo, v11, 16
	s_wait_alu 0xfffd
	v_add_co_ci_u32_e64 v12, null, 0, v12, vcc_lo
	s_wait_loadcnt 0xd
	v_fma_f64 v[99:100], v[57:58], v[61:62], v[99:100]
	v_fma_f64 v[101:102], v[61:62], 0, v[101:102]
	;; [unrolled: 1-line block ×16, first 2 shown]
	s_clause 0x1
	global_load_b128 v[49:52], v[15:16], off offset:1568
	global_load_b128 v[53:56], v[15:16], off offset:1584
	s_wait_loadcnt 0xd
	v_fma_f64 v[61:62], v[69:70], v[65:66], v[61:62]
	v_fma_f64 v[57:58], v[65:66], 0, v[57:58]
	;; [unrolled: 1-line block ×4, first 2 shown]
	s_wait_loadcnt 0xc
	v_fma_f64 v[91:92], v[73:74], v[65:66], v[91:92]
	v_fma_f64 v[93:94], v[65:66], 0, v[93:94]
	;; [unrolled: 1-line block ×12, first 2 shown]
	s_clause 0x1
	global_load_b128 v[57:60], v[15:16], off offset:1616
	global_load_b128 v[61:64], v[15:16], off offset:1600
	s_clause 0x1
	global_load_b128 v[65:68], v[97:98], off offset:32
	global_load_b128 v[69:72], v[97:98], off offset:48
	s_wait_loadcnt 0xd
	v_fma_f64 v[95:96], v[23:24], v[77:78], v[99:100]
	v_fma_f64 v[97:98], v[77:78], 0, v[101:102]
	;; [unrolled: 1-line block ×16, first 2 shown]
	s_clause 0x1
	global_load_b128 v[17:20], v[15:16], off offset:1632
	global_load_b128 v[73:76], v[15:16], off offset:1648
	v_add_co_u32 v15, vcc_lo, 0x800, v15
	s_wait_alu 0xfffd
	v_add_co_ci_u32_e64 v16, null, 0, v16, vcc_lo
	v_cmp_ge_i64_e32 vcc_lo, v[11:12], v[13:14]
	s_wait_alu 0xfffe
	s_or_b32 s7, vcc_lo, s7
	s_wait_loadcnt 0xd
	v_fma_f64 v[77:78], v[27:28], v[81:82], v[77:78]
	v_fma_f64 v[23:24], v[81:82], 0, v[23:24]
	;; [unrolled: 1-line block ×4, first 2 shown]
	s_wait_loadcnt 0xc
	v_fma_f64 v[91:92], v[31:32], v[81:82], v[91:92]
	v_fma_f64 v[95:96], v[81:82], 0, v[95:96]
	;; [unrolled: 1-line block ×12, first 2 shown]
	s_wait_loadcnt 0x9
	v_fma_f64 v[77:78], v[85:86], v[41:42], v[77:78]
	v_fma_f64 v[23:24], v[41:42], 0, v[23:24]
	;; [unrolled: 1-line block ×16, first 2 shown]
	s_wait_loadcnt 0x7
	v_fma_f64 v[39:40], v[49:50], v[45:46], v[41:42]
	v_fma_f64 v[23:24], v[45:46], 0, v[23:24]
	;; [unrolled: 1-line block ×4, first 2 shown]
	s_wait_loadcnt 0x6
	v_fma_f64 v[29:30], v[53:54], v[45:46], v[29:30]
	v_fma_f64 v[31:32], v[45:46], 0, v[31:32]
	;; [unrolled: 1-line block ×12, first 2 shown]
	s_wait_loadcnt 0x3
	v_fma_f64 v[39:40], v[61:62], v[65:66], v[39:40]
	v_fma_f64 v[23:24], v[65:66], 0, v[23:24]
	;; [unrolled: 1-line block ×16, first 2 shown]
	s_wait_loadcnt 0x1
	v_fma_f64 v[39:40], v[17:18], v[69:70], v[39:40]
	v_fma_f64 v[23:24], v[69:70], 0, v[23:24]
	;; [unrolled: 1-line block ×4, first 2 shown]
	s_wait_loadcnt 0x0
	v_fma_f64 v[29:30], v[73:74], v[69:70], v[29:30]
	v_fma_f64 v[43:44], v[69:70], 0, v[31:32]
	;; [unrolled: 1-line block ×12, first 2 shown]
	s_wait_alu 0xfffe
	s_and_not1_b32 exec_lo, exec_lo, s7
	s_cbranch_execnz .LBB145_33
; %bb.34:
	s_or_b32 exec_lo, exec_lo, s7
.LBB145_35:
	s_wait_alu 0xfffe
	s_or_b32 exec_lo, exec_lo, s6
.LBB145_36:
	s_wait_alu 0xfffe
	s_or_b32 exec_lo, exec_lo, s3
.LBB145_37:
	v_mbcnt_lo_u32_b32 v45, -1, 0
	s_delay_alu instid0(VALU_DEP_1) | instskip(NEXT) | instid1(VALU_DEP_1)
	v_xor_b32_e32 v9, 2, v45
	v_cmp_gt_i32_e32 vcc_lo, 32, v9
	s_wait_alu 0xfffd
	v_cndmask_b32_e32 v9, v45, v9, vcc_lo
	s_delay_alu instid0(VALU_DEP_1)
	v_lshlrev_b32_e32 v35, 2, v9
	ds_bpermute_b32 v9, v35, v27
	ds_bpermute_b32 v10, v35, v28
	;; [unrolled: 1-line block ×16, first 2 shown]
	s_wait_dscnt 0xe
	v_add_f64_e32 v[9:10], v[27:28], v[9:10]
	s_wait_dscnt 0xc
	v_add_f64_e32 v[35:36], v[23:24], v[11:12]
	;; [unrolled: 2-line block ×8, first 2 shown]
	v_xor_b32_e32 v19, 1, v45
	s_delay_alu instid0(VALU_DEP_1) | instskip(SKIP_3) | instid1(VALU_DEP_2)
	v_cmp_gt_i32_e32 vcc_lo, 32, v19
	s_wait_alu 0xfffd
	v_cndmask_b32_e32 v19, v45, v19, vcc_lo
	v_cmp_eq_u32_e32 vcc_lo, 3, v0
	v_lshlrev_b32_e32 v34, 2, v19
	ds_bpermute_b32 v19, v34, v9
	ds_bpermute_b32 v20, v34, v10
	;; [unrolled: 1-line block ×16, first 2 shown]
	s_and_b32 exec_lo, exec_lo, vcc_lo
	s_cbranch_execz .LBB145_8
; %bb.38:
	s_wait_dscnt 0xc
	v_add_f64_e32 v[35:36], v[35:36], v[41:42]
	s_wait_dscnt 0x8
	v_add_f64_e32 v[27:28], v[27:28], v[39:40]
	;; [unrolled: 2-line block ×4, first 2 shown]
	v_add_f64_e32 v[9:10], v[9:10], v[19:20]
	v_add_f64_e32 v[11:12], v[11:12], v[25:26]
	;; [unrolled: 1-line block ×4, first 2 shown]
	v_cmp_eq_f64_e32 vcc_lo, 0, v[1:2]
	v_cmp_eq_f64_e64 s2, 0, v[3:4]
	s_load_b64 s[0:1], s[0:1], 0x68
	v_lshlrev_b64_e32 v[21:22], 6, v[21:22]
	v_mul_f64_e64 v[13:14], v[35:36], -v[7:8]
	v_mul_f64_e32 v[15:16], v[5:6], v[35:36]
	v_mul_f64_e64 v[31:32], v[27:28], -v[7:8]
	v_mul_f64_e32 v[27:28], v[5:6], v[27:28]
	;; [unrolled: 2-line block ×4, first 2 shown]
	s_and_b32 s2, vcc_lo, s2
	v_fma_f64 v[17:18], v[5:6], v[9:10], v[13:14]
	v_fma_f64 v[19:20], v[7:8], v[9:10], v[15:16]
	;; [unrolled: 1-line block ×8, first 2 shown]
	s_wait_alu 0xfffe
	s_and_saveexec_b32 s3, s2
	s_wait_alu 0xfffe
	s_xor_b32 s2, exec_lo, s3
	s_cbranch_execz .LBB145_40
; %bb.39:
	s_wait_kmcnt 0x0
	v_add_co_u32 v0, vcc_lo, s0, v21
	s_wait_alu 0xfffd
	v_add_co_ci_u32_e64 v1, null, s1, v22, vcc_lo
                                        ; implicit-def: $vgpr21_vgpr22
	s_clause 0x3
	global_store_b128 v[0:1], v[17:20], off
	global_store_b128 v[0:1], v[13:16], off offset:16
	global_store_b128 v[0:1], v[9:12], off offset:32
	;; [unrolled: 1-line block ×3, first 2 shown]
                                        ; implicit-def: $vgpr3_vgpr4
                                        ; implicit-def: $vgpr17_vgpr18
                                        ; implicit-def: $vgpr13_vgpr14
                                        ; implicit-def: $vgpr9_vgpr10
                                        ; implicit-def: $vgpr5_vgpr6
.LBB145_40:
	s_wait_alu 0xfffe
	s_and_not1_saveexec_b32 s2, s2
	s_cbranch_execz .LBB145_8
; %bb.41:
	s_wait_kmcnt 0x0
	v_add_co_u32 v37, vcc_lo, s0, v21
	s_wait_alu 0xfffd
	v_add_co_ci_u32_e64 v38, null, s1, v22, vcc_lo
	s_clause 0x3
	global_load_b128 v[21:24], v[37:38], off
	global_load_b128 v[25:28], v[37:38], off offset:16
	global_load_b128 v[29:32], v[37:38], off offset:32
	;; [unrolled: 1-line block ×3, first 2 shown]
	s_wait_loadcnt 0x3
	v_fma_f64 v[17:18], v[1:2], v[21:22], v[17:18]
	v_fma_f64 v[19:20], v[3:4], v[21:22], v[19:20]
	s_wait_loadcnt 0x2
	v_fma_f64 v[13:14], v[1:2], v[25:26], v[13:14]
	v_fma_f64 v[15:16], v[3:4], v[25:26], v[15:16]
	;; [unrolled: 3-line block ×4, first 2 shown]
	v_fma_f64 v[5:6], -v[3:4], v[23:24], v[17:18]
	v_fma_f64 v[7:8], v[1:2], v[23:24], v[19:20]
	v_fma_f64 v[9:10], -v[3:4], v[27:28], v[13:14]
	v_fma_f64 v[11:12], v[1:2], v[27:28], v[15:16]
	;; [unrolled: 2-line block ×4, first 2 shown]
	s_clause 0x3
	global_store_b128 v[37:38], v[5:8], off
	global_store_b128 v[37:38], v[9:12], off offset:16
	global_store_b128 v[37:38], v[13:16], off offset:32
	;; [unrolled: 1-line block ×3, first 2 shown]
	s_nop 0
	s_sendmsg sendmsg(MSG_DEALLOC_VGPRS)
	s_endpgm
	.section	.rodata,"a",@progbits
	.p2align	6, 0x0
	.amdhsa_kernel _ZN9rocsparseL18bsrxmvn_4x4_kernelILj128ELj4E21rocsparse_complex_numIdElldS2_S2_EEvT3_20rocsparse_direction_NS_24const_host_device_scalarIT1_EES3_PKS3_PKT2_SC_S9_PKT4_PKT5_S7_PT6_21rocsparse_index_base_b
		.amdhsa_group_segment_fixed_size 0
		.amdhsa_private_segment_fixed_size 0
		.amdhsa_kernarg_size 120
		.amdhsa_user_sgpr_count 2
		.amdhsa_user_sgpr_dispatch_ptr 0
		.amdhsa_user_sgpr_queue_ptr 0
		.amdhsa_user_sgpr_kernarg_segment_ptr 1
		.amdhsa_user_sgpr_dispatch_id 0
		.amdhsa_user_sgpr_private_segment_size 0
		.amdhsa_wavefront_size32 1
		.amdhsa_uses_dynamic_stack 0
		.amdhsa_enable_private_segment 0
		.amdhsa_system_sgpr_workgroup_id_x 1
		.amdhsa_system_sgpr_workgroup_id_y 0
		.amdhsa_system_sgpr_workgroup_id_z 0
		.amdhsa_system_sgpr_workgroup_info 0
		.amdhsa_system_vgpr_workitem_id 0
		.amdhsa_next_free_vgpr 121
		.amdhsa_next_free_sgpr 12
		.amdhsa_reserve_vcc 1
		.amdhsa_float_round_mode_32 0
		.amdhsa_float_round_mode_16_64 0
		.amdhsa_float_denorm_mode_32 3
		.amdhsa_float_denorm_mode_16_64 3
		.amdhsa_fp16_overflow 0
		.amdhsa_workgroup_processor_mode 1
		.amdhsa_memory_ordered 1
		.amdhsa_forward_progress 1
		.amdhsa_inst_pref_size 90
		.amdhsa_round_robin_scheduling 0
		.amdhsa_exception_fp_ieee_invalid_op 0
		.amdhsa_exception_fp_denorm_src 0
		.amdhsa_exception_fp_ieee_div_zero 0
		.amdhsa_exception_fp_ieee_overflow 0
		.amdhsa_exception_fp_ieee_underflow 0
		.amdhsa_exception_fp_ieee_inexact 0
		.amdhsa_exception_int_div_zero 0
	.end_amdhsa_kernel
	.section	.text._ZN9rocsparseL18bsrxmvn_4x4_kernelILj128ELj4E21rocsparse_complex_numIdElldS2_S2_EEvT3_20rocsparse_direction_NS_24const_host_device_scalarIT1_EES3_PKS3_PKT2_SC_S9_PKT4_PKT5_S7_PT6_21rocsparse_index_base_b,"axG",@progbits,_ZN9rocsparseL18bsrxmvn_4x4_kernelILj128ELj4E21rocsparse_complex_numIdElldS2_S2_EEvT3_20rocsparse_direction_NS_24const_host_device_scalarIT1_EES3_PKS3_PKT2_SC_S9_PKT4_PKT5_S7_PT6_21rocsparse_index_base_b,comdat
.Lfunc_end145:
	.size	_ZN9rocsparseL18bsrxmvn_4x4_kernelILj128ELj4E21rocsparse_complex_numIdElldS2_S2_EEvT3_20rocsparse_direction_NS_24const_host_device_scalarIT1_EES3_PKS3_PKT2_SC_S9_PKT4_PKT5_S7_PT6_21rocsparse_index_base_b, .Lfunc_end145-_ZN9rocsparseL18bsrxmvn_4x4_kernelILj128ELj4E21rocsparse_complex_numIdElldS2_S2_EEvT3_20rocsparse_direction_NS_24const_host_device_scalarIT1_EES3_PKS3_PKT2_SC_S9_PKT4_PKT5_S7_PT6_21rocsparse_index_base_b
                                        ; -- End function
	.set _ZN9rocsparseL18bsrxmvn_4x4_kernelILj128ELj4E21rocsparse_complex_numIdElldS2_S2_EEvT3_20rocsparse_direction_NS_24const_host_device_scalarIT1_EES3_PKS3_PKT2_SC_S9_PKT4_PKT5_S7_PT6_21rocsparse_index_base_b.num_vgpr, 121
	.set _ZN9rocsparseL18bsrxmvn_4x4_kernelILj128ELj4E21rocsparse_complex_numIdElldS2_S2_EEvT3_20rocsparse_direction_NS_24const_host_device_scalarIT1_EES3_PKS3_PKT2_SC_S9_PKT4_PKT5_S7_PT6_21rocsparse_index_base_b.num_agpr, 0
	.set _ZN9rocsparseL18bsrxmvn_4x4_kernelILj128ELj4E21rocsparse_complex_numIdElldS2_S2_EEvT3_20rocsparse_direction_NS_24const_host_device_scalarIT1_EES3_PKS3_PKT2_SC_S9_PKT4_PKT5_S7_PT6_21rocsparse_index_base_b.numbered_sgpr, 12
	.set _ZN9rocsparseL18bsrxmvn_4x4_kernelILj128ELj4E21rocsparse_complex_numIdElldS2_S2_EEvT3_20rocsparse_direction_NS_24const_host_device_scalarIT1_EES3_PKS3_PKT2_SC_S9_PKT4_PKT5_S7_PT6_21rocsparse_index_base_b.num_named_barrier, 0
	.set _ZN9rocsparseL18bsrxmvn_4x4_kernelILj128ELj4E21rocsparse_complex_numIdElldS2_S2_EEvT3_20rocsparse_direction_NS_24const_host_device_scalarIT1_EES3_PKS3_PKT2_SC_S9_PKT4_PKT5_S7_PT6_21rocsparse_index_base_b.private_seg_size, 0
	.set _ZN9rocsparseL18bsrxmvn_4x4_kernelILj128ELj4E21rocsparse_complex_numIdElldS2_S2_EEvT3_20rocsparse_direction_NS_24const_host_device_scalarIT1_EES3_PKS3_PKT2_SC_S9_PKT4_PKT5_S7_PT6_21rocsparse_index_base_b.uses_vcc, 1
	.set _ZN9rocsparseL18bsrxmvn_4x4_kernelILj128ELj4E21rocsparse_complex_numIdElldS2_S2_EEvT3_20rocsparse_direction_NS_24const_host_device_scalarIT1_EES3_PKS3_PKT2_SC_S9_PKT4_PKT5_S7_PT6_21rocsparse_index_base_b.uses_flat_scratch, 0
	.set _ZN9rocsparseL18bsrxmvn_4x4_kernelILj128ELj4E21rocsparse_complex_numIdElldS2_S2_EEvT3_20rocsparse_direction_NS_24const_host_device_scalarIT1_EES3_PKS3_PKT2_SC_S9_PKT4_PKT5_S7_PT6_21rocsparse_index_base_b.has_dyn_sized_stack, 0
	.set _ZN9rocsparseL18bsrxmvn_4x4_kernelILj128ELj4E21rocsparse_complex_numIdElldS2_S2_EEvT3_20rocsparse_direction_NS_24const_host_device_scalarIT1_EES3_PKS3_PKT2_SC_S9_PKT4_PKT5_S7_PT6_21rocsparse_index_base_b.has_recursion, 0
	.set _ZN9rocsparseL18bsrxmvn_4x4_kernelILj128ELj4E21rocsparse_complex_numIdElldS2_S2_EEvT3_20rocsparse_direction_NS_24const_host_device_scalarIT1_EES3_PKS3_PKT2_SC_S9_PKT4_PKT5_S7_PT6_21rocsparse_index_base_b.has_indirect_call, 0
	.section	.AMDGPU.csdata,"",@progbits
; Kernel info:
; codeLenInByte = 11440
; TotalNumSgprs: 14
; NumVgprs: 121
; ScratchSize: 0
; MemoryBound: 0
; FloatMode: 240
; IeeeMode: 1
; LDSByteSize: 0 bytes/workgroup (compile time only)
; SGPRBlocks: 0
; VGPRBlocks: 15
; NumSGPRsForWavesPerEU: 14
; NumVGPRsForWavesPerEU: 121
; Occupancy: 10
; WaveLimiterHint : 1
; COMPUTE_PGM_RSRC2:SCRATCH_EN: 0
; COMPUTE_PGM_RSRC2:USER_SGPR: 2
; COMPUTE_PGM_RSRC2:TRAP_HANDLER: 0
; COMPUTE_PGM_RSRC2:TGID_X_EN: 1
; COMPUTE_PGM_RSRC2:TGID_Y_EN: 0
; COMPUTE_PGM_RSRC2:TGID_Z_EN: 0
; COMPUTE_PGM_RSRC2:TIDIG_COMP_CNT: 0
	.section	.text._ZN9rocsparseL18bsrxmvn_4x4_kernelILj128ELj8E21rocsparse_complex_numIdElldS2_S2_EEvT3_20rocsparse_direction_NS_24const_host_device_scalarIT1_EES3_PKS3_PKT2_SC_S9_PKT4_PKT5_S7_PT6_21rocsparse_index_base_b,"axG",@progbits,_ZN9rocsparseL18bsrxmvn_4x4_kernelILj128ELj8E21rocsparse_complex_numIdElldS2_S2_EEvT3_20rocsparse_direction_NS_24const_host_device_scalarIT1_EES3_PKS3_PKT2_SC_S9_PKT4_PKT5_S7_PT6_21rocsparse_index_base_b,comdat
	.globl	_ZN9rocsparseL18bsrxmvn_4x4_kernelILj128ELj8E21rocsparse_complex_numIdElldS2_S2_EEvT3_20rocsparse_direction_NS_24const_host_device_scalarIT1_EES3_PKS3_PKT2_SC_S9_PKT4_PKT5_S7_PT6_21rocsparse_index_base_b ; -- Begin function _ZN9rocsparseL18bsrxmvn_4x4_kernelILj128ELj8E21rocsparse_complex_numIdElldS2_S2_EEvT3_20rocsparse_direction_NS_24const_host_device_scalarIT1_EES3_PKS3_PKT2_SC_S9_PKT4_PKT5_S7_PT6_21rocsparse_index_base_b
	.p2align	8
	.type	_ZN9rocsparseL18bsrxmvn_4x4_kernelILj128ELj8E21rocsparse_complex_numIdElldS2_S2_EEvT3_20rocsparse_direction_NS_24const_host_device_scalarIT1_EES3_PKS3_PKT2_SC_S9_PKT4_PKT5_S7_PT6_21rocsparse_index_base_b,@function
_ZN9rocsparseL18bsrxmvn_4x4_kernelILj128ELj8E21rocsparse_complex_numIdElldS2_S2_EEvT3_20rocsparse_direction_NS_24const_host_device_scalarIT1_EES3_PKS3_PKT2_SC_S9_PKT4_PKT5_S7_PT6_21rocsparse_index_base_b: ; @_ZN9rocsparseL18bsrxmvn_4x4_kernelILj128ELj8E21rocsparse_complex_numIdElldS2_S2_EEvT3_20rocsparse_direction_NS_24const_host_device_scalarIT1_EES3_PKS3_PKT2_SC_S9_PKT4_PKT5_S7_PT6_21rocsparse_index_base_b
; %bb.0:
	s_clause 0x1
	s_load_b64 s[4:5], s[0:1], 0x70
	s_load_b64 s[2:3], s[0:1], 0x10
	s_add_nc_u64 s[6:7], s[0:1], 16
	s_load_b64 s[8:9], s[0:1], 0x58
	s_wait_kmcnt 0x0
	s_bitcmp1_b32 s5, 0
	s_cselect_b32 s2, s6, s2
	s_cselect_b32 s3, s7, s3
	s_delay_alu instid0(SALU_CYCLE_1)
	v_dual_mov_b32 v1, s2 :: v_dual_mov_b32 v2, s3
	s_add_nc_u64 s[2:3], s[0:1], 0x58
	s_wait_alu 0xfffe
	s_cselect_b32 s2, s2, s8
	s_cselect_b32 s3, s3, s9
	flat_load_b128 v[5:8], v[1:2]
	s_wait_alu 0xfffe
	v_dual_mov_b32 v1, s2 :: v_dual_mov_b32 v2, s3
	flat_load_b128 v[1:4], v[1:2]
	s_wait_loadcnt_dscnt 0x101
	v_cmp_eq_f64_e32 vcc_lo, 0, v[5:6]
	v_cmp_eq_f64_e64 s2, 0, v[7:8]
	s_and_b32 s5, vcc_lo, s2
	s_mov_b32 s2, -1
	s_and_saveexec_b32 s3, s5
	s_cbranch_execz .LBB146_2
; %bb.1:
	s_wait_loadcnt_dscnt 0x0
	v_cmp_neq_f64_e32 vcc_lo, 1.0, v[1:2]
	v_cmp_neq_f64_e64 s2, 0, v[3:4]
	s_wait_alu 0xfffe
	s_or_b32 s2, vcc_lo, s2
	s_wait_alu 0xfffe
	s_or_not1_b32 s2, s2, exec_lo
.LBB146_2:
	s_wait_alu 0xfffe
	s_or_b32 exec_lo, exec_lo, s3
	s_and_saveexec_b32 s3, s2
	s_cbranch_execz .LBB146_8
; %bb.3:
	s_load_b64 s[2:3], s[0:1], 0x28
	v_lshrrev_b32_e32 v9, 3, v0
	v_mov_b32_e32 v12, 0
	s_delay_alu instid0(VALU_DEP_2)
	v_lshl_or_b32 v11, ttmp9, 4, v9
	s_wait_kmcnt 0x0
	s_cmp_lg_u64 s[2:3], 0
	s_cbranch_scc0 .LBB146_9
; %bb.4:
	s_load_b64 s[6:7], s[0:1], 0x20
                                        ; implicit-def: $vgpr21_vgpr22
                                        ; implicit-def: $vgpr9_vgpr10
	s_wait_kmcnt 0x0
	v_cmp_gt_i64_e32 vcc_lo, s[6:7], v[11:12]
	s_mov_b32 s7, 0
	s_mov_b32 s6, 0
	s_and_saveexec_b32 s5, vcc_lo
	s_delay_alu instid0(SALU_CYCLE_1)
	s_xor_b32 s8, exec_lo, s5
	s_cbranch_execz .LBB146_6
; %bb.5:
	v_lshlrev_b64_e32 v[9:10], 3, v[11:12]
	s_mov_b32 s5, 0
	s_mov_b32 s6, exec_lo
	s_delay_alu instid0(VALU_DEP_1) | instskip(NEXT) | instid1(VALU_DEP_1)
	v_add_co_u32 v9, vcc_lo, s2, v9
	v_add_co_ci_u32_e64 v10, null, s3, v10, vcc_lo
	global_load_b64 v[9:10], v[9:10], off
	s_wait_loadcnt 0x0
	v_sub_co_u32 v21, vcc_lo, v9, s4
	s_wait_alu 0xfffd
	v_subrev_co_ci_u32_e64 v22, null, 0, v10, vcc_lo
	v_dual_mov_b32 v10, s5 :: v_dual_mov_b32 v9, s4
.LBB146_6:
	s_or_b32 exec_lo, exec_lo, s8
	s_wait_alu 0xfffe
	s_and_b32 vcc_lo, exec_lo, s7
	s_wait_alu 0xfffe
	s_cbranch_vccnz .LBB146_10
.LBB146_7:
	s_and_b32 exec_lo, exec_lo, s6
	s_cbranch_execnz .LBB146_13
.LBB146_8:
	s_nop 0
	s_sendmsg sendmsg(MSG_DEALLOC_VGPRS)
	s_endpgm
.LBB146_9:
	s_mov_b32 s6, 0
                                        ; implicit-def: $vgpr21_vgpr22
                                        ; implicit-def: $vgpr9_vgpr10
	s_cbranch_execz .LBB146_7
.LBB146_10:
	s_load_b64 s[2:3], s[0:1], 0x0
	s_wait_kmcnt 0x0
	v_cmp_gt_i64_e32 vcc_lo, s[2:3], v[11:12]
	s_and_saveexec_b32 s2, vcc_lo
; %bb.11:
	s_mov_b32 s5, 0
	s_or_b32 s6, s6, exec_lo
; %bb.12:
	s_wait_alu 0xfffe
	s_or_b32 exec_lo, exec_lo, s2
	v_dual_mov_b32 v10, s5 :: v_dual_mov_b32 v9, s4
	v_dual_mov_b32 v22, v12 :: v_dual_mov_b32 v21, v11
	s_and_b32 exec_lo, exec_lo, s6
	s_cbranch_execz .LBB146_8
.LBB146_13:
	s_load_b256 s[4:11], s[0:1], 0x30
	s_delay_alu instid0(VALU_DEP_1) | instskip(SKIP_3) | instid1(VALU_DEP_2)
	v_lshlrev_b64_e32 v[11:12], 3, v[21:22]
	v_and_b32_e32 v0, 7, v0
	s_load_b32 s3, s[0:1], 0x8
	s_wait_kmcnt 0x0
	v_add_co_u32 v13, vcc_lo, s4, v11
	s_wait_alu 0xfffd
	v_add_co_ci_u32_e64 v14, null, s5, v12, vcc_lo
	v_add_co_u32 v11, vcc_lo, s6, v11
	s_wait_alu 0xfffd
	v_add_co_ci_u32_e64 v12, null, s7, v12, vcc_lo
	v_add_co_u32 v15, vcc_lo, v13, 8
	global_load_b64 v[35:36], v[13:14], off
	s_wait_alu 0xfffd
	v_add_co_ci_u32_e64 v16, null, 0, v14, vcc_lo
	s_cmp_eq_u64 s[6:7], 0
	s_load_b64 s[4:5], s[0:1], 0x50
	s_cselect_b32 vcc_lo, -1, 0
	s_cmp_eq_u32 s3, 1
	s_wait_alu 0xfffe
	v_dual_cndmask_b32 v12, v12, v16 :: v_dual_cndmask_b32 v11, v11, v15
	global_load_b64 v[13:14], v[11:12], off
	s_wait_loadcnt 0x1
	v_sub_co_u32 v11, vcc_lo, v35, v9
	s_wait_alu 0xfffd
	v_sub_co_ci_u32_e64 v12, null, v36, v10, vcc_lo
	s_delay_alu instid0(VALU_DEP_2) | instskip(SKIP_1) | instid1(VALU_DEP_2)
	v_add_co_u32 v11, vcc_lo, v11, v0
	s_wait_alu 0xfffd
	v_add_co_ci_u32_e64 v12, null, 0, v12, vcc_lo
	s_delay_alu instid0(VALU_DEP_1) | instskip(SKIP_4) | instid1(VALU_DEP_3)
	v_lshlrev_b64_e32 v[15:16], 7, v[11:12]
	s_wait_loadcnt 0x0
	v_sub_co_u32 v13, vcc_lo, v13, v9
	s_wait_alu 0xfffd
	v_sub_co_ci_u32_e64 v14, null, v14, v10, vcc_lo
	v_add_co_u32 v15, vcc_lo, s10, v15
	s_delay_alu instid0(VALU_DEP_2)
	v_cmp_lt_i64_e64 s2, v[11:12], v[13:14]
	s_wait_alu 0xfffd
	v_add_co_ci_u32_e64 v16, null, s11, v16, vcc_lo
	s_cbranch_scc1 .LBB146_25
; %bb.14:
	v_mov_b32_e32 v23, 0
	v_mov_b32_e32 v31, 0
	;; [unrolled: 1-line block ×3, first 2 shown]
	v_dual_mov_b32 v19, 0 :: v_dual_mov_b32 v24, 0
	v_dual_mov_b32 v27, 0 :: v_dual_mov_b32 v32, 0
	;; [unrolled: 1-line block ×5, first 2 shown]
	v_mov_b32_e32 v34, 0
	v_mov_b32_e32 v26, 0
	v_mov_b32_e32 v18, 0
	s_and_saveexec_b32 s6, s2
	s_cbranch_execz .LBB146_24
; %bb.15:
	v_or_b32_e32 v17, 8, v0
	v_not_b32_e32 v24, v35
	v_mov_b32_e32 v38, 0
	v_not_b32_e32 v23, v36
	v_mov_b32_e32 v31, 0
	v_sub_co_u32 v17, vcc_lo, v17, v9
	s_wait_alu 0xfffd
	v_sub_co_ci_u32_e64 v18, null, 0, v10, vcc_lo
	v_mov_b32_e32 v29, 0
	s_delay_alu instid0(VALU_DEP_3) | instskip(SKIP_1) | instid1(VALU_DEP_3)
	v_add_co_u32 v19, vcc_lo, v17, v35
	s_wait_alu 0xfffd
	v_add_co_ci_u32_e64 v20, null, v18, v36, vcc_lo
	v_sub_co_u32 v25, vcc_lo, v9, v0
	s_wait_alu 0xfffd
	v_subrev_co_ci_u32_e64 v26, null, 0, v10, vcc_lo
	s_delay_alu instid0(VALU_DEP_3) | instskip(NEXT) | instid1(VALU_DEP_3)
	v_cmp_gt_i64_e32 vcc_lo, v[19:20], v[13:14]
	v_add_co_u32 v24, s3, v25, v24
	v_mov_b32_e32 v17, 0
	v_mov_b32_e32 v18, 0
	s_wait_alu 0xf1ff
	v_add_co_ci_u32_e64 v23, null, v26, v23, s3
	s_wait_alu 0xfffd
	v_cndmask_b32_e32 v25, v13, v19, vcc_lo
	v_cndmask_b32_e32 v27, v14, v20, vcc_lo
	v_mov_b32_e32 v19, 0
	v_dual_mov_b32 v20, 0 :: v_dual_mov_b32 v33, 0
	s_delay_alu instid0(VALU_DEP_4) | instskip(SKIP_3) | instid1(VALU_DEP_3)
	v_add_co_u32 v41, vcc_lo, v24, v25
	v_dual_mov_b32 v25, 0 :: v_dual_mov_b32 v30, 0
	s_wait_alu 0xfffd
	v_add_co_ci_u32_e64 v42, null, v23, v27, vcc_lo
	v_dual_mov_b32 v32, 0 :: v_dual_and_b32 v37, 24, v41
	v_dual_mov_b32 v27, 0 :: v_dual_mov_b32 v40, v16
	v_mov_b32_e32 v23, 0
	s_delay_alu instid0(VALU_DEP_3)
	v_cmp_ne_u64_e32 vcc_lo, 24, v[37:38]
	v_mov_b32_e32 v38, v12
	v_mov_b32_e32 v26, 0
	;; [unrolled: 1-line block ×4, first 2 shown]
	v_dual_mov_b32 v24, 0 :: v_dual_mov_b32 v39, v15
	v_mov_b32_e32 v37, v11
	s_and_saveexec_b32 s7, vcc_lo
	s_cbranch_execz .LBB146_19
; %bb.16:
	v_lshrrev_b32_e32 v19, 3, v41
	v_lshlrev_b64_e32 v[17:18], 3, v[11:12]
	v_dual_mov_b32 v23, 0 :: v_dual_mov_b32 v38, v12
	v_mov_b32_e32 v29, 0
	s_delay_alu instid0(VALU_DEP_4) | instskip(NEXT) | instid1(VALU_DEP_4)
	v_dual_mov_b32 v24, 0 :: v_dual_add_nc_u32 v19, 1, v19
	v_add_co_u32 v43, vcc_lo, s8, v17
	v_mov_b32_e32 v27, 0
	s_delay_alu instid0(VALU_DEP_3) | instskip(SKIP_3) | instid1(VALU_DEP_3)
	v_dual_mov_b32 v30, 0 :: v_dual_and_b32 v19, 3, v19
	v_mov_b32_e32 v31, 0
	s_wait_alu 0xfffd
	v_add_co_ci_u32_e64 v44, null, s9, v18, vcc_lo
	v_sub_co_u32 v45, s3, 0, v19
	v_mov_b32_e32 v33, 0
	v_mov_b32_e32 v25, 0
	v_dual_mov_b32 v19, 0 :: v_dual_mov_b32 v40, v16
	v_mov_b32_e32 v17, 0
	v_dual_mov_b32 v37, v11 :: v_dual_mov_b32 v28, 0
	v_mov_b32_e32 v32, 0
	s_wait_alu 0xf1ff
	v_sub_co_ci_u32_e64 v46, null, 0, 0, s3
	v_mov_b32_e32 v34, 0
	v_mov_b32_e32 v26, 0
	;; [unrolled: 1-line block ×3, first 2 shown]
	v_dual_mov_b32 v18, 0 :: v_dual_mov_b32 v39, v15
	s_mov_b32 s10, 0
.LBB146_17:                             ; =>This Inner Loop Header: Depth=1
	global_load_b64 v[79:80], v[43:44], off
	s_clause 0x7
	global_load_b128 v[47:50], v[39:40], off offset:48
	global_load_b128 v[51:54], v[39:40], off offset:32
	;; [unrolled: 1-line block ×3, first 2 shown]
	global_load_b128 v[59:62], v[39:40], off
	global_load_b128 v[63:66], v[39:40], off offset:112
	global_load_b128 v[67:70], v[39:40], off offset:96
	global_load_b128 v[71:74], v[39:40], off offset:80
	global_load_b128 v[75:78], v[39:40], off offset:64
	v_add_co_u32 v43, s3, v43, 64
	s_wait_alu 0xf1ff
	v_add_co_ci_u32_e64 v44, null, 0, v44, s3
	s_wait_loadcnt 0x8
	v_sub_co_u32 v79, vcc_lo, v79, v9
	s_wait_alu 0xfffd
	v_sub_co_ci_u32_e64 v80, null, v80, v10, vcc_lo
	s_delay_alu instid0(VALU_DEP_1) | instskip(SKIP_1) | instid1(VALU_DEP_1)
	v_lshlrev_b64_e32 v[79:80], 6, v[79:80]
	s_wait_kmcnt 0x0
	v_add_co_u32 v91, vcc_lo, s4, v79
	s_wait_alu 0xfffd
	s_delay_alu instid0(VALU_DEP_2)
	v_add_co_ci_u32_e64 v92, null, s5, v80, vcc_lo
	v_add_co_u32 v39, vcc_lo, 0x400, v39
	s_wait_alu 0xfffd
	v_add_co_ci_u32_e64 v40, null, 0, v40, vcc_lo
	s_clause 0x3
	global_load_b128 v[79:82], v[91:92], off
	global_load_b128 v[83:86], v[91:92], off offset:16
	global_load_b128 v[87:90], v[91:92], off offset:32
	;; [unrolled: 1-line block ×3, first 2 shown]
	v_add_co_u32 v45, vcc_lo, v45, 1
	s_wait_alu 0xfffd
	v_add_co_ci_u32_e64 v46, null, 0, v46, vcc_lo
	v_add_co_u32 v37, vcc_lo, v37, 8
	s_wait_alu 0xfffd
	v_add_co_ci_u32_e64 v38, null, 0, v38, vcc_lo
	s_delay_alu instid0(VALU_DEP_3)
	v_cmp_eq_u64_e32 vcc_lo, 0, v[45:46]
	s_wait_alu 0xfffe
	s_or_b32 s10, vcc_lo, s10
	s_wait_loadcnt 0x3
	v_fma_f64 v[27:28], v[59:60], v[79:80], v[27:28]
	v_fma_f64 v[23:24], v[79:80], 0, v[23:24]
	v_fma_f64 v[33:34], v[51:52], v[79:80], v[33:34]
	v_fma_f64 v[31:32], v[79:80], 0, v[31:32]
	v_fma_f64 v[25:26], v[75:76], v[79:80], v[25:26]
	v_fma_f64 v[29:30], v[79:80], 0, v[29:30]
	v_fma_f64 v[17:18], v[67:68], v[79:80], v[17:18]
	v_fma_f64 v[19:20], v[79:80], 0, v[19:20]
	v_fma_f64 v[27:28], 0x80000000, v[81:82], v[27:28]
	v_fma_f64 v[23:24], v[59:60], v[81:82], v[23:24]
	v_fma_f64 v[33:34], 0x80000000, v[81:82], v[33:34]
	v_fma_f64 v[31:32], v[51:52], v[81:82], v[31:32]
	v_fma_f64 v[25:26], 0x80000000, v[81:82], v[25:26]
	v_fma_f64 v[29:30], v[75:76], v[81:82], v[29:30]
	v_fma_f64 v[17:18], 0x80000000, v[81:82], v[17:18]
	v_fma_f64 v[19:20], v[67:68], v[81:82], v[19:20]
	s_wait_loadcnt 0x2
	v_fma_f64 v[27:28], v[61:62], v[83:84], v[27:28]
	v_fma_f64 v[23:24], v[83:84], 0, v[23:24]
	v_fma_f64 v[33:34], v[53:54], v[83:84], v[33:34]
	v_fma_f64 v[31:32], v[83:84], 0, v[31:32]
	v_fma_f64 v[25:26], v[77:78], v[83:84], v[25:26]
	v_fma_f64 v[29:30], v[83:84], 0, v[29:30]
	v_fma_f64 v[17:18], v[69:70], v[83:84], v[17:18]
	v_fma_f64 v[19:20], v[83:84], 0, v[19:20]
	v_fma_f64 v[27:28], 0x80000000, v[85:86], v[27:28]
	v_fma_f64 v[23:24], v[61:62], v[85:86], v[23:24]
	v_fma_f64 v[33:34], 0x80000000, v[85:86], v[33:34]
	v_fma_f64 v[31:32], v[53:54], v[85:86], v[31:32]
	v_fma_f64 v[25:26], 0x80000000, v[85:86], v[25:26]
	v_fma_f64 v[29:30], v[77:78], v[85:86], v[29:30]
	v_fma_f64 v[17:18], 0x80000000, v[85:86], v[17:18]
	v_fma_f64 v[19:20], v[69:70], v[85:86], v[19:20]
	;; [unrolled: 17-line block ×4, first 2 shown]
	s_wait_alu 0xfffe
	s_and_not1_b32 exec_lo, exec_lo, s10
	s_cbranch_execnz .LBB146_17
; %bb.18:
	s_or_b32 exec_lo, exec_lo, s10
.LBB146_19:
	s_wait_alu 0xfffe
	s_or_b32 exec_lo, exec_lo, s7
	s_delay_alu instid0(SALU_CYCLE_1)
	s_mov_b32 s7, exec_lo
	v_cmpx_lt_u64_e32 23, v[41:42]
	s_cbranch_execz .LBB146_23
; %bb.20:
	v_lshlrev_b64_e32 v[41:42], 3, v[37:38]
	s_mov_b32 s10, 0
	s_delay_alu instid0(VALU_DEP_1) | instskip(SKIP_1) | instid1(VALU_DEP_2)
	v_add_co_u32 v41, vcc_lo, s8, v41
	s_wait_alu 0xfffd
	v_add_co_ci_u32_e64 v42, null, s9, v42, vcc_lo
	s_delay_alu instid0(VALU_DEP_2) | instskip(SKIP_1) | instid1(VALU_DEP_2)
	v_add_co_u32 v41, vcc_lo, 0x80, v41
	s_wait_alu 0xfffd
	v_add_co_ci_u32_e64 v42, null, 0, v42, vcc_lo
.LBB146_21:                             ; =>This Inner Loop Header: Depth=1
	s_clause 0x1
	global_load_b64 v[59:60], v[41:42], off offset:-128
	global_load_b64 v[107:108], v[41:42], off offset:-64
	s_clause 0x3
	global_load_b128 v[43:46], v[39:40], off offset:32
	global_load_b128 v[47:50], v[39:40], off
	global_load_b128 v[51:54], v[39:40], off offset:96
	global_load_b128 v[55:58], v[39:40], off offset:64
	s_clause 0x1
	global_load_b64 v[111:112], v[41:42], off
	global_load_b64 v[113:114], v[41:42], off offset:64
	v_add_co_u32 v41, s3, 0x100, v41
	s_wait_alu 0xf1ff
	v_add_co_ci_u32_e64 v42, null, 0, v42, s3
	s_wait_loadcnt 0x7
	v_sub_co_u32 v59, vcc_lo, v59, v9
	s_wait_alu 0xfffd
	v_sub_co_ci_u32_e64 v60, null, v60, v10, vcc_lo
	s_delay_alu instid0(VALU_DEP_1) | instskip(SKIP_1) | instid1(VALU_DEP_1)
	v_lshlrev_b64_e32 v[59:60], 6, v[59:60]
	s_wait_kmcnt 0x0
	v_add_co_u32 v87, vcc_lo, s4, v59
	s_wait_alu 0xfffd
	s_delay_alu instid0(VALU_DEP_2)
	v_add_co_ci_u32_e64 v88, null, s5, v60, vcc_lo
	s_wait_loadcnt 0x6
	v_sub_co_u32 v107, vcc_lo, v107, v9
	s_wait_alu 0xfffd
	v_sub_co_ci_u32_e64 v108, null, v108, v10, vcc_lo
	s_clause 0x1
	global_load_b128 v[59:62], v[87:88], off
	global_load_b128 v[63:66], v[87:88], off offset:16
	s_clause 0x3
	global_load_b128 v[67:70], v[39:40], off offset:48
	global_load_b128 v[71:74], v[39:40], off offset:16
	;; [unrolled: 1-line block ×4, first 2 shown]
	s_clause 0x1
	global_load_b128 v[83:86], v[87:88], off offset:32
	global_load_b128 v[87:90], v[87:88], off offset:48
	s_clause 0x3
	global_load_b128 v[91:94], v[39:40], off offset:1056
	global_load_b128 v[95:98], v[39:40], off offset:1024
	;; [unrolled: 1-line block ×4, first 2 shown]
	v_lshlrev_b64_e32 v[107:108], 6, v[107:108]
	s_delay_alu instid0(VALU_DEP_1) | instskip(SKIP_1) | instid1(VALU_DEP_2)
	v_add_co_u32 v115, vcc_lo, s4, v107
	s_wait_alu 0xfffd
	v_add_co_ci_u32_e64 v116, null, s5, v108, vcc_lo
	s_wait_loadcnt 0xd
	v_sub_co_u32 v111, vcc_lo, v111, v9
	s_wait_alu 0xfffd
	v_sub_co_ci_u32_e64 v112, null, v112, v10, vcc_lo
	global_load_b128 v[107:110], v[115:116], off
	s_wait_loadcnt 0xc
	v_fma_f64 v[23:24], v[59:60], 0, v[23:24]
	v_fma_f64 v[31:32], v[59:60], 0, v[31:32]
	;; [unrolled: 1-line block ×16, first 2 shown]
	global_load_b128 v[17:20], v[115:116], off offset:16
	s_wait_loadcnt 0xc
	v_fma_f64 v[23:24], v[63:64], 0, v[23:24]
	v_fma_f64 v[31:32], v[63:64], 0, v[31:32]
	;; [unrolled: 1-line block ×16, first 2 shown]
	s_clause 0x3
	global_load_b128 v[23:26], v[39:40], off offset:1072
	global_load_b128 v[27:30], v[39:40], off offset:1040
	;; [unrolled: 1-line block ×5, first 2 shown]
	s_wait_loadcnt 0xc
	v_fma_f64 v[51:52], v[83:84], 0, v[51:52]
	v_fma_f64 v[55:56], v[83:84], 0, v[55:56]
	;; [unrolled: 1-line block ×16, first 2 shown]
	global_load_b128 v[51:54], v[115:116], off offset:48
	s_wait_loadcnt 0xc
	v_fma_f64 v[71:72], v[87:88], 0, v[71:72]
	v_fma_f64 v[75:76], v[87:88], 0, v[55:56]
	;; [unrolled: 1-line block ×8, first 2 shown]
	s_clause 0x3
	global_load_b128 v[55:58], v[39:40], off offset:2080
	global_load_b128 v[59:62], v[39:40], off offset:2048
	;; [unrolled: 1-line block ×4, first 2 shown]
	v_fma_f64 v[71:72], v[73:74], v[89:90], v[71:72]
	v_fma_f64 v[73:74], v[69:70], v[89:90], v[75:76]
	v_fma_f64 v[75:76], v[81:82], v[89:90], v[79:80]
	v_fma_f64 v[77:78], v[77:78], v[89:90], v[67:68]
	v_fma_f64 v[79:80], 0x80000000, v[89:90], v[115:116]
	v_fma_f64 v[81:82], 0x80000000, v[89:90], v[117:118]
	v_fma_f64 v[115:116], 0x80000000, v[89:90], v[119:120]
	v_fma_f64 v[87:88], 0x80000000, v[89:90], v[87:88]
	v_lshlrev_b64_e32 v[67:68], 6, v[111:112]
	s_delay_alu instid0(VALU_DEP_1) | instskip(SKIP_1) | instid1(VALU_DEP_2)
	v_add_co_u32 v111, vcc_lo, s4, v67
	s_wait_alu 0xfffd
	v_add_co_ci_u32_e64 v112, null, s5, v68, vcc_lo
	v_sub_co_u32 v113, vcc_lo, v113, v9
	s_wait_alu 0xfffd
	v_sub_co_ci_u32_e64 v114, null, v114, v10, vcc_lo
	global_load_b128 v[67:70], v[111:112], off
	s_wait_loadcnt 0xc
	v_fma_f64 v[71:72], v[107:108], 0, v[71:72]
	v_fma_f64 v[73:74], v[107:108], 0, v[73:74]
	;; [unrolled: 1-line block ×16, first 2 shown]
	global_load_b128 v[71:74], v[111:112], off offset:16
	s_wait_loadcnt 0xc
	v_fma_f64 v[95:96], v[17:18], 0, v[95:96]
	v_fma_f64 v[91:92], v[17:18], 0, v[91:92]
	;; [unrolled: 1-line block ×16, first 2 shown]
	s_clause 0x3
	global_load_b128 v[17:20], v[39:40], off offset:2096
	global_load_b128 v[75:78], v[39:40], off offset:2064
	;; [unrolled: 1-line block ×5, first 2 shown]
	s_wait_loadcnt 0xc
	v_fma_f64 v[95:96], v[47:48], 0, v[95:96]
	v_fma_f64 v[97:98], v[47:48], 0, v[97:98]
	v_fma_f64 v[99:100], v[47:48], 0, v[99:100]
	v_fma_f64 v[101:102], v[47:48], 0, v[101:102]
	v_fma_f64 v[103:104], v[27:28], v[47:48], v[103:104]
	v_fma_f64 v[105:106], v[23:24], v[47:48], v[105:106]
	v_fma_f64 v[107:108], v[43:44], v[47:48], v[107:108]
	v_fma_f64 v[47:48], v[31:32], v[47:48], v[109:110]
	v_fma_f64 v[27:28], v[27:28], v[49:50], v[95:96]
	v_fma_f64 v[23:24], v[23:24], v[49:50], v[97:98]
	v_fma_f64 v[43:44], v[43:44], v[49:50], v[99:100]
	v_fma_f64 v[31:32], v[31:32], v[49:50], v[101:102]
	v_fma_f64 v[95:96], 0x80000000, v[49:50], v[103:104]
	v_fma_f64 v[97:98], 0x80000000, v[49:50], v[105:106]
	v_fma_f64 v[99:100], 0x80000000, v[49:50], v[107:108]
	v_fma_f64 v[101:102], 0x80000000, v[49:50], v[47:48]
	global_load_b128 v[47:50], v[111:112], off offset:48
	s_wait_loadcnt 0xc
	v_fma_f64 v[27:28], v[51:52], 0, v[27:28]
	v_fma_f64 v[23:24], v[51:52], 0, v[23:24]
	;; [unrolled: 1-line block ×8, first 2 shown]
	s_clause 0x3
	global_load_b128 v[95:98], v[39:40], off offset:3104
	global_load_b128 v[99:102], v[39:40], off offset:3072
	;; [unrolled: 1-line block ×4, first 2 shown]
	v_fma_f64 v[27:28], v[29:30], v[53:54], v[27:28]
	v_fma_f64 v[29:30], v[25:26], v[53:54], v[23:24]
	;; [unrolled: 1-line block ×8, first 2 shown]
	v_lshlrev_b64_e32 v[23:24], 6, v[113:114]
	s_delay_alu instid0(VALU_DEP_1) | instskip(SKIP_1) | instid1(VALU_DEP_2)
	v_add_co_u32 v113, vcc_lo, s4, v23
	s_wait_alu 0xfffd
	v_add_co_ci_u32_e64 v114, null, s5, v24, vcc_lo
	v_add_co_u32 v37, vcc_lo, v37, 32
	s_wait_alu 0xfffd
	v_add_co_ci_u32_e64 v38, null, 0, v38, vcc_lo
	global_load_b128 v[23:26], v[113:114], off
	s_wait_loadcnt 0xc
	v_fma_f64 v[27:28], v[67:68], 0, v[27:28]
	v_fma_f64 v[29:30], v[67:68], 0, v[29:30]
	;; [unrolled: 1-line block ×16, first 2 shown]
	global_load_b128 v[27:30], v[113:114], off offset:16
	s_wait_loadcnt 0xc
	v_fma_f64 v[59:60], v[71:72], 0, v[59:60]
	v_fma_f64 v[55:56], v[71:72], 0, v[55:56]
	;; [unrolled: 1-line block ×16, first 2 shown]
	s_clause 0x3
	global_load_b128 v[43:46], v[39:40], off offset:3120
	global_load_b128 v[31:34], v[39:40], off offset:3088
	;; [unrolled: 1-line block ×5, first 2 shown]
	v_add_co_u32 v39, vcc_lo, 0x1000, v39
	s_wait_alu 0xfffd
	v_add_co_ci_u32_e64 v40, null, 0, v40, vcc_lo
	v_cmp_ge_i64_e32 vcc_lo, v[37:38], v[13:14]
	s_wait_alu 0xfffe
	s_or_b32 s10, vcc_lo, s10
	s_wait_loadcnt 0xc
	v_fma_f64 v[67:68], v[91:92], 0, v[67:68]
	v_fma_f64 v[71:72], v[91:92], 0, v[71:72]
	;; [unrolled: 1-line block ×16, first 2 shown]
	global_load_b128 v[63:66], v[113:114], off offset:48
	s_wait_loadcnt 0xc
	v_fma_f64 v[67:68], v[47:48], 0, v[67:68]
	v_fma_f64 v[17:18], v[47:48], 0, v[17:18]
	v_fma_f64 v[83:84], v[77:78], v[47:48], v[91:92]
	v_fma_f64 v[69:70], v[19:20], v[47:48], v[69:70]
	v_fma_f64 v[71:72], v[89:90], v[47:48], v[71:72]
	v_fma_f64 v[73:74], v[47:48], 0, v[73:74]
	v_fma_f64 v[75:76], v[81:82], v[47:48], v[75:76]
	v_fma_f64 v[47:48], v[47:48], 0, v[79:80]
	v_fma_f64 v[67:68], v[77:78], v[49:50], v[67:68]
	v_fma_f64 v[17:18], v[19:20], v[49:50], v[17:18]
	v_fma_f64 v[79:80], 0x80000000, v[49:50], v[83:84]
	v_fma_f64 v[69:70], 0x80000000, v[49:50], v[69:70]
	v_fma_f64 v[19:20], 0x80000000, v[49:50], v[71:72]
	v_fma_f64 v[71:72], v[89:90], v[49:50], v[73:74]
	v_fma_f64 v[73:74], 0x80000000, v[49:50], v[75:76]
	v_fma_f64 v[47:48], v[81:82], v[49:50], v[47:48]
	s_wait_loadcnt 0x7
	v_fma_f64 v[67:68], v[23:24], 0, v[67:68]
	v_fma_f64 v[17:18], v[23:24], 0, v[17:18]
	v_fma_f64 v[49:50], v[99:100], v[23:24], v[79:80]
	v_fma_f64 v[69:70], v[95:96], v[23:24], v[69:70]
	v_fma_f64 v[19:20], v[107:108], v[23:24], v[19:20]
	v_fma_f64 v[71:72], v[23:24], 0, v[71:72]
	v_fma_f64 v[73:74], v[103:104], v[23:24], v[73:74]
	v_fma_f64 v[23:24], v[23:24], 0, v[47:48]
	v_fma_f64 v[17:18], v[95:96], v[25:26], v[17:18]
	v_fma_f64 v[47:48], 0x80000000, v[25:26], v[49:50]
	v_fma_f64 v[49:50], v[99:100], v[25:26], v[67:68]
	v_fma_f64 v[67:68], 0x80000000, v[25:26], v[69:70]
	v_fma_f64 v[19:20], 0x80000000, v[25:26], v[19:20]
	v_fma_f64 v[69:70], v[107:108], v[25:26], v[71:72]
	v_fma_f64 v[71:72], 0x80000000, v[25:26], v[73:74]
	v_fma_f64 v[23:24], v[103:104], v[25:26], v[23:24]
	;; [unrolled: 17-line block ×5, first 2 shown]
	s_wait_alu 0xfffe
	s_and_not1_b32 exec_lo, exec_lo, s10
	s_cbranch_execnz .LBB146_21
; %bb.22:
	s_or_b32 exec_lo, exec_lo, s10
.LBB146_23:
	s_wait_alu 0xfffe
	s_or_b32 exec_lo, exec_lo, s7
.LBB146_24:
	s_wait_alu 0xfffe
	s_or_b32 exec_lo, exec_lo, s6
	s_cbranch_execz .LBB146_26
	s_branch .LBB146_37
.LBB146_25:
                                        ; implicit-def: $vgpr23_vgpr24
                                        ; implicit-def: $vgpr27_vgpr28
                                        ; implicit-def: $vgpr31_vgpr32
                                        ; implicit-def: $vgpr33_vgpr34
                                        ; implicit-def: $vgpr29_vgpr30
                                        ; implicit-def: $vgpr25_vgpr26
                                        ; implicit-def: $vgpr19_vgpr20
                                        ; implicit-def: $vgpr17_vgpr18
.LBB146_26:
	v_mov_b32_e32 v23, 0
	v_mov_b32_e32 v31, 0
	;; [unrolled: 1-line block ×3, first 2 shown]
	v_dual_mov_b32 v19, 0 :: v_dual_mov_b32 v24, 0
	v_dual_mov_b32 v27, 0 :: v_dual_mov_b32 v32, 0
	;; [unrolled: 1-line block ×5, first 2 shown]
	v_mov_b32_e32 v34, 0
	v_mov_b32_e32 v26, 0
	;; [unrolled: 1-line block ×3, first 2 shown]
	s_and_saveexec_b32 s3, s2
	s_cbranch_execz .LBB146_36
; %bb.27:
	v_or_b32_e32 v17, 8, v0
	v_not_b32_e32 v20, v35
	v_sub_co_u32 v23, s2, v9, v0
	v_not_b32_e32 v19, v36
	s_delay_alu instid0(VALU_DEP_4)
	v_sub_co_u32 v17, vcc_lo, v17, v9
	s_wait_alu 0xfffd
	v_sub_co_ci_u32_e64 v18, null, 0, v10, vcc_lo
	s_wait_alu 0xf1ff
	v_subrev_co_ci_u32_e64 v25, null, 0, v10, s2
	v_add_co_u32 v17, vcc_lo, v17, v35
	s_wait_alu 0xfffd
	v_add_co_ci_u32_e64 v18, null, v18, v36, vcc_lo
	v_add_co_u32 v20, s2, v23, v20
	s_wait_alu 0xf1ff
	v_add_co_ci_u32_e64 v27, null, v25, v19, s2
	s_delay_alu instid0(VALU_DEP_3)
	v_cmp_gt_i64_e32 vcc_lo, v[17:18], v[13:14]
	v_dual_mov_b32 v24, 0 :: v_dual_mov_b32 v29, 0
	v_dual_mov_b32 v31, 0 :: v_dual_mov_b32 v30, 0
	s_wait_alu 0xfffd
	v_dual_mov_b32 v33, 0 :: v_dual_cndmask_b32 v26, v13, v17
	v_cndmask_b32_e32 v23, v14, v18, vcc_lo
	v_mov_b32_e32 v17, 0
	v_mov_b32_e32 v18, 0
	;; [unrolled: 1-line block ×3, first 2 shown]
	v_add_co_u32 v35, vcc_lo, v20, v26
	v_mov_b32_e32 v19, 0
	v_dual_mov_b32 v20, 0 :: v_dual_mov_b32 v25, 0
	v_mov_b32_e32 v26, 0
	s_wait_alu 0xfffd
	v_add_co_ci_u32_e64 v36, null, v27, v23, vcc_lo
	v_and_b32_e32 v23, 24, v35
	v_dual_mov_b32 v27, 0 :: v_dual_mov_b32 v34, 0
	v_mov_b32_e32 v28, 0
	s_delay_alu instid0(VALU_DEP_3)
	v_cmp_ne_u64_e32 vcc_lo, 24, v[23:24]
	v_mov_b32_e32 v23, 0
	v_mov_b32_e32 v24, 0
	s_and_saveexec_b32 s6, vcc_lo
	s_cbranch_execz .LBB146_31
; %bb.28:
	v_lshrrev_b32_e32 v19, 3, v35
	v_mov_b32_e32 v31, 0
	v_mov_b32_e32 v32, 0
	v_lshlrev_b64_e32 v[17:18], 3, v[11:12]
	v_mov_b32_e32 v29, 0
	v_add_nc_u32_e32 v19, 1, v19
	v_mov_b32_e32 v23, 0
	v_dual_mov_b32 v24, 0 :: v_dual_mov_b32 v27, 0
	v_add_co_u32 v37, vcc_lo, s8, v17
	s_delay_alu instid0(VALU_DEP_4) | instskip(SKIP_3) | instid1(VALU_DEP_3)
	v_dual_mov_b32 v30, 0 :: v_dual_and_b32 v39, 3, v19
	s_wait_alu 0xfffd
	v_add_co_ci_u32_e64 v38, null, s9, v18, vcc_lo
	v_mov_b32_e32 v33, 0
	v_sub_co_u32 v39, s2, 0, v39
	v_mov_b32_e32 v25, 0
	v_mov_b32_e32 v19, 0
	v_dual_mov_b32 v17, 0 :: v_dual_mov_b32 v28, 0
	v_mov_b32_e32 v34, 0
	v_mov_b32_e32 v26, 0
	;; [unrolled: 1-line block ×4, first 2 shown]
	s_wait_alu 0xf1ff
	v_sub_co_ci_u32_e64 v40, null, 0, 0, s2
	s_mov_b32 s7, 0
.LBB146_29:                             ; =>This Inner Loop Header: Depth=1
	global_load_b64 v[49:50], v[37:38], off
	s_clause 0x1
	global_load_b128 v[41:44], v[15:16], off offset:16
	global_load_b128 v[45:48], v[15:16], off
	v_add_co_u32 v37, s2, v37, 64
	s_wait_alu 0xf1ff
	v_add_co_ci_u32_e64 v38, null, 0, v38, s2
	s_wait_loadcnt 0x2
	v_sub_co_u32 v49, vcc_lo, v49, v9
	s_wait_alu 0xfffd
	v_sub_co_ci_u32_e64 v50, null, v50, v10, vcc_lo
	s_delay_alu instid0(VALU_DEP_1) | instskip(SKIP_1) | instid1(VALU_DEP_1)
	v_lshlrev_b64_e32 v[49:50], 6, v[49:50]
	s_wait_kmcnt 0x0
	v_add_co_u32 v77, vcc_lo, s4, v49
	s_wait_alu 0xfffd
	s_delay_alu instid0(VALU_DEP_2)
	v_add_co_ci_u32_e64 v78, null, s5, v50, vcc_lo
	s_clause 0x1
	global_load_b128 v[49:52], v[77:78], off
	global_load_b128 v[53:56], v[77:78], off offset:16
	s_clause 0x3
	global_load_b128 v[57:60], v[15:16], off offset:32
	global_load_b128 v[61:64], v[15:16], off offset:48
	global_load_b128 v[65:68], v[15:16], off offset:80
	global_load_b128 v[69:72], v[15:16], off offset:64
	s_clause 0x1
	global_load_b128 v[73:76], v[77:78], off offset:32
	global_load_b128 v[77:80], v[77:78], off offset:48
	s_clause 0x1
	global_load_b128 v[81:84], v[15:16], off offset:96
	global_load_b128 v[85:88], v[15:16], off offset:112
	v_add_co_u32 v15, vcc_lo, 0x400, v15
	s_wait_alu 0xfffd
	v_add_co_ci_u32_e64 v16, null, 0, v16, vcc_lo
	v_add_co_u32 v39, vcc_lo, v39, 1
	s_wait_alu 0xfffd
	v_add_co_ci_u32_e64 v40, null, 0, v40, vcc_lo
	;; [unrolled: 3-line block ×3, first 2 shown]
	s_delay_alu instid0(VALU_DEP_3)
	v_cmp_eq_u64_e32 vcc_lo, 0, v[39:40]
	s_wait_alu 0xfffe
	s_or_b32 s7, vcc_lo, s7
	s_wait_loadcnt 0x9
	v_fma_f64 v[27:28], v[45:46], v[49:50], v[27:28]
	v_fma_f64 v[23:24], v[49:50], 0, v[23:24]
	;; [unrolled: 1-line block ×16, first 2 shown]
	s_wait_loadcnt 0x7
	v_fma_f64 v[27:28], v[57:58], v[53:54], v[27:28]
	v_fma_f64 v[23:24], v[53:54], 0, v[23:24]
	v_fma_f64 v[33:34], v[59:60], v[53:54], v[33:34]
	v_fma_f64 v[31:32], v[53:54], 0, v[31:32]
	s_wait_loadcnt 0x6
	v_fma_f64 v[25:26], v[61:62], v[53:54], v[25:26]
	v_fma_f64 v[29:30], v[53:54], 0, v[29:30]
	;; [unrolled: 1-line block ×12, first 2 shown]
	s_wait_loadcnt 0x3
	v_fma_f64 v[27:28], v[69:70], v[73:74], v[27:28]
	v_fma_f64 v[23:24], v[73:74], 0, v[23:24]
	;; [unrolled: 1-line block ×16, first 2 shown]
	s_wait_loadcnt 0x1
	v_fma_f64 v[27:28], v[81:82], v[77:78], v[27:28]
	v_fma_f64 v[23:24], v[77:78], 0, v[23:24]
	;; [unrolled: 1-line block ×4, first 2 shown]
	s_wait_loadcnt 0x0
	v_fma_f64 v[25:26], v[85:86], v[77:78], v[25:26]
	v_fma_f64 v[29:30], v[77:78], 0, v[29:30]
	;; [unrolled: 1-line block ×12, first 2 shown]
	s_wait_alu 0xfffe
	s_and_not1_b32 exec_lo, exec_lo, s7
	s_cbranch_execnz .LBB146_29
; %bb.30:
	s_or_b32 exec_lo, exec_lo, s7
.LBB146_31:
	s_wait_alu 0xfffe
	s_or_b32 exec_lo, exec_lo, s6
	s_delay_alu instid0(SALU_CYCLE_1)
	s_mov_b32 s6, exec_lo
	v_cmpx_lt_u64_e32 23, v[35:36]
	s_cbranch_execz .LBB146_35
; %bb.32:
	v_lshlrev_b64_e32 v[35:36], 3, v[11:12]
	s_mov_b32 s7, 0
	s_delay_alu instid0(VALU_DEP_1) | instskip(SKIP_1) | instid1(VALU_DEP_2)
	v_add_co_u32 v35, vcc_lo, s8, v35
	s_wait_alu 0xfffd
	v_add_co_ci_u32_e64 v36, null, s9, v36, vcc_lo
	s_delay_alu instid0(VALU_DEP_2) | instskip(SKIP_1) | instid1(VALU_DEP_2)
	v_add_co_u32 v35, vcc_lo, 0x80, v35
	s_wait_alu 0xfffd
	v_add_co_ci_u32_e64 v36, null, 0, v36, vcc_lo
.LBB146_33:                             ; =>This Inner Loop Header: Depth=1
	s_clause 0x1
	global_load_b64 v[45:46], v[35:36], off offset:-128
	global_load_b64 v[93:94], v[35:36], off offset:-64
	s_clause 0x1
	global_load_b128 v[37:40], v[15:16], off offset:16
	global_load_b128 v[41:44], v[15:16], off
	s_clause 0x1
	global_load_b64 v[101:102], v[35:36], off
	global_load_b64 v[103:104], v[35:36], off offset:64
	v_add_co_u32 v35, s2, 0x100, v35
	s_wait_alu 0xf1ff
	v_add_co_ci_u32_e64 v36, null, 0, v36, s2
	s_wait_loadcnt 0x5
	v_sub_co_u32 v45, vcc_lo, v45, v9
	s_wait_alu 0xfffd
	v_sub_co_ci_u32_e64 v46, null, v46, v10, vcc_lo
	s_delay_alu instid0(VALU_DEP_1) | instskip(SKIP_1) | instid1(VALU_DEP_1)
	v_lshlrev_b64_e32 v[45:46], 6, v[45:46]
	s_wait_kmcnt 0x0
	v_add_co_u32 v73, vcc_lo, s4, v45
	s_wait_alu 0xfffd
	s_delay_alu instid0(VALU_DEP_2)
	v_add_co_ci_u32_e64 v74, null, s5, v46, vcc_lo
	s_wait_loadcnt 0x4
	v_sub_co_u32 v93, vcc_lo, v93, v9
	s_wait_alu 0xfffd
	v_sub_co_ci_u32_e64 v94, null, v94, v10, vcc_lo
	s_clause 0x1
	global_load_b128 v[45:48], v[73:74], off
	global_load_b128 v[49:52], v[73:74], off offset:16
	s_clause 0x3
	global_load_b128 v[53:56], v[15:16], off offset:32
	global_load_b128 v[57:60], v[15:16], off offset:48
	;; [unrolled: 1-line block ×4, first 2 shown]
	s_clause 0x1
	global_load_b128 v[69:72], v[73:74], off offset:32
	global_load_b128 v[73:76], v[73:74], off offset:48
	s_clause 0x3
	global_load_b128 v[77:80], v[15:16], off offset:96
	global_load_b128 v[81:84], v[15:16], off offset:112
	;; [unrolled: 1-line block ×4, first 2 shown]
	v_lshlrev_b64_e32 v[93:94], 6, v[93:94]
	s_delay_alu instid0(VALU_DEP_1) | instskip(SKIP_1) | instid1(VALU_DEP_2)
	v_add_co_u32 v105, vcc_lo, s4, v93
	s_wait_alu 0xfffd
	v_add_co_ci_u32_e64 v106, null, s5, v94, vcc_lo
	s_clause 0x1
	global_load_b128 v[93:96], v[105:106], off
	global_load_b128 v[97:100], v[105:106], off offset:16
	s_wait_loadcnt 0xd
	v_fma_f64 v[27:28], v[41:42], v[45:46], v[27:28]
	v_fma_f64 v[23:24], v[45:46], 0, v[23:24]
	;; [unrolled: 1-line block ×16, first 2 shown]
	s_clause 0x1
	global_load_b128 v[17:20], v[15:16], off offset:1056
	global_load_b128 v[23:26], v[15:16], off offset:1072
	s_wait_loadcnt 0xd
	v_fma_f64 v[27:28], v[53:54], v[49:50], v[27:28]
	v_fma_f64 v[41:42], v[49:50], 0, v[41:42]
	;; [unrolled: 1-line block ×4, first 2 shown]
	s_wait_loadcnt 0xc
	v_fma_f64 v[43:44], v[57:58], v[49:50], v[43:44]
	v_fma_f64 v[29:30], v[49:50], 0, v[29:30]
	;; [unrolled: 1-line block ×12, first 2 shown]
	s_clause 0x1
	global_load_b128 v[27:30], v[15:16], off offset:1104
	global_load_b128 v[31:34], v[15:16], off offset:1088
	s_clause 0x1
	global_load_b128 v[37:40], v[105:106], off offset:32
	global_load_b128 v[41:44], v[105:106], off offset:48
	s_wait_loadcnt 0xd
	v_fma_f64 v[45:46], v[65:66], v[69:70], v[45:46]
	v_fma_f64 v[47:48], v[69:70], 0, v[47:48]
	;; [unrolled: 1-line block ×16, first 2 shown]
	s_clause 0x1
	global_load_b128 v[45:48], v[15:16], off offset:1120
	global_load_b128 v[49:52], v[15:16], off offset:1136
	s_wait_loadcnt 0xd
	v_fma_f64 v[63:64], v[77:78], v[73:74], v[69:70]
	v_fma_f64 v[65:66], v[73:74], 0, v[65:66]
	;; [unrolled: 1-line block ×4, first 2 shown]
	s_wait_loadcnt 0xc
	v_fma_f64 v[71:72], v[81:82], v[73:74], v[55:56]
	v_fma_f64 v[105:106], v[73:74], 0, v[57:58]
	;; [unrolled: 1-line block ×4, first 2 shown]
	v_sub_co_u32 v73, vcc_lo, v101, v9
	s_wait_alu 0xfffd
	v_sub_co_ci_u32_e64 v74, null, v102, v10, vcc_lo
	s_clause 0x1
	global_load_b128 v[53:56], v[15:16], off offset:2064
	global_load_b128 v[57:60], v[15:16], off offset:2048
	v_fma_f64 v[109:110], 0x80000000, v[75:76], v[63:64]
	v_fma_f64 v[77:78], v[77:78], v[75:76], v[65:66]
	v_fma_f64 v[111:112], 0x80000000, v[75:76], v[67:68]
	v_fma_f64 v[69:70], v[79:80], v[75:76], v[69:70]
	v_fma_f64 v[71:72], 0x80000000, v[75:76], v[71:72]
	v_fma_f64 v[79:80], v[81:82], v[75:76], v[105:106]
	v_fma_f64 v[81:82], 0x80000000, v[75:76], v[107:108]
	v_fma_f64 v[75:76], v[83:84], v[75:76], v[61:62]
	v_lshlrev_b64_e32 v[61:62], 6, v[73:74]
	s_delay_alu instid0(VALU_DEP_1) | instskip(SKIP_1) | instid1(VALU_DEP_2)
	v_add_co_u32 v83, vcc_lo, s4, v61
	s_wait_alu 0xfffd
	v_add_co_ci_u32_e64 v84, null, s5, v62, vcc_lo
	s_clause 0x1
	global_load_b128 v[61:64], v[83:84], off
	global_load_b128 v[65:68], v[83:84], off offset:16
	v_sub_co_u32 v103, vcc_lo, v103, v9
	s_wait_alu 0xfffd
	v_sub_co_ci_u32_e64 v104, null, v104, v10, vcc_lo
	s_wait_loadcnt 0xd
	v_fma_f64 v[73:74], v[89:90], v[93:94], v[109:110]
	v_fma_f64 v[77:78], v[93:94], 0, v[77:78]
	;; [unrolled: 1-line block ×16, first 2 shown]
	s_clause 0x1
	global_load_b128 v[69:72], v[15:16], off offset:2080
	global_load_b128 v[73:76], v[15:16], off offset:2096
	s_wait_loadcnt 0xd
	v_fma_f64 v[87:88], v[17:18], v[97:98], v[93:94]
	v_fma_f64 v[77:78], v[97:98], 0, v[77:78]
	;; [unrolled: 1-line block ×4, first 2 shown]
	s_wait_loadcnt 0xc
	v_fma_f64 v[93:94], v[23:24], v[97:98], v[101:102]
	v_fma_f64 v[79:80], v[97:98], 0, v[79:80]
	;; [unrolled: 1-line block ×12, first 2 shown]
	s_clause 0x1
	global_load_b128 v[17:20], v[15:16], off offset:2128
	global_load_b128 v[23:26], v[15:16], off offset:2112
	s_clause 0x1
	global_load_b128 v[77:80], v[83:84], off offset:32
	global_load_b128 v[81:84], v[83:84], off offset:48
	s_wait_loadcnt 0xd
	v_fma_f64 v[87:88], v[31:32], v[37:38], v[87:88]
	v_fma_f64 v[95:96], v[37:38], 0, v[95:96]
	v_fma_f64 v[89:90], v[33:34], v[37:38], v[89:90]
	v_fma_f64 v[91:92], v[37:38], 0, v[91:92]
	v_fma_f64 v[93:94], v[27:28], v[37:38], v[93:94]
	v_fma_f64 v[97:98], v[37:38], 0, v[97:98]
	v_fma_f64 v[99:100], v[29:30], v[37:38], v[101:102]
	v_fma_f64 v[37:38], v[37:38], 0, v[85:86]
	v_fma_f64 v[85:86], 0x80000000, v[39:40], v[87:88]
	v_fma_f64 v[87:88], v[31:32], v[39:40], v[95:96]
	v_fma_f64 v[89:90], 0x80000000, v[39:40], v[89:90]
	v_fma_f64 v[91:92], v[33:34], v[39:40], v[91:92]
	v_fma_f64 v[93:94], 0x80000000, v[39:40], v[93:94]
	v_fma_f64 v[95:96], v[27:28], v[39:40], v[97:98]
	v_fma_f64 v[97:98], 0x80000000, v[39:40], v[99:100]
	v_fma_f64 v[37:38], v[29:30], v[39:40], v[37:38]
	s_clause 0x1
	global_load_b128 v[27:30], v[15:16], off offset:2144
	global_load_b128 v[31:34], v[15:16], off offset:2160
	s_wait_loadcnt 0xd
	v_fma_f64 v[99:100], v[45:46], v[41:42], v[85:86]
	v_fma_f64 v[101:102], v[41:42], 0, v[87:88]
	;; [unrolled: 1-line block ×4, first 2 shown]
	s_wait_loadcnt 0xc
	v_fma_f64 v[93:94], v[49:50], v[41:42], v[93:94]
	v_fma_f64 v[95:96], v[41:42], 0, v[95:96]
	;; [unrolled: 1-line block ×4, first 2 shown]
	s_clause 0x1
	global_load_b128 v[37:40], v[15:16], off offset:3088
	global_load_b128 v[85:88], v[15:16], off offset:3072
	v_fma_f64 v[99:100], 0x80000000, v[43:44], v[99:100]
	v_fma_f64 v[101:102], v[45:46], v[43:44], v[101:102]
	;; [unrolled: 1-line block ×8, first 2 shown]
	v_lshlrev_b64_e32 v[41:42], 6, v[103:104]
	s_delay_alu instid0(VALU_DEP_1) | instskip(SKIP_1) | instid1(VALU_DEP_2)
	v_add_co_u32 v97, vcc_lo, s4, v41
	s_wait_alu 0xfffd
	v_add_co_ci_u32_e64 v98, null, s5, v42, vcc_lo
	s_clause 0x1
	global_load_b128 v[41:44], v[97:98], off
	global_load_b128 v[45:48], v[97:98], off offset:16
	v_add_co_u32 v11, vcc_lo, v11, 32
	s_wait_alu 0xfffd
	v_add_co_ci_u32_e64 v12, null, 0, v12, vcc_lo
	s_wait_loadcnt 0xd
	v_fma_f64 v[99:100], v[57:58], v[61:62], v[99:100]
	v_fma_f64 v[101:102], v[61:62], 0, v[101:102]
	;; [unrolled: 1-line block ×16, first 2 shown]
	s_clause 0x1
	global_load_b128 v[49:52], v[15:16], off offset:3104
	global_load_b128 v[53:56], v[15:16], off offset:3120
	s_wait_loadcnt 0xd
	v_fma_f64 v[61:62], v[69:70], v[65:66], v[61:62]
	v_fma_f64 v[57:58], v[65:66], 0, v[57:58]
	;; [unrolled: 1-line block ×4, first 2 shown]
	s_wait_loadcnt 0xc
	v_fma_f64 v[91:92], v[73:74], v[65:66], v[91:92]
	v_fma_f64 v[93:94], v[65:66], 0, v[93:94]
	;; [unrolled: 1-line block ×12, first 2 shown]
	s_clause 0x1
	global_load_b128 v[57:60], v[15:16], off offset:3152
	global_load_b128 v[61:64], v[15:16], off offset:3136
	s_clause 0x1
	global_load_b128 v[65:68], v[97:98], off offset:32
	global_load_b128 v[69:72], v[97:98], off offset:48
	s_wait_loadcnt 0xd
	v_fma_f64 v[95:96], v[23:24], v[77:78], v[99:100]
	v_fma_f64 v[97:98], v[77:78], 0, v[101:102]
	;; [unrolled: 1-line block ×16, first 2 shown]
	s_clause 0x1
	global_load_b128 v[17:20], v[15:16], off offset:3168
	global_load_b128 v[73:76], v[15:16], off offset:3184
	v_add_co_u32 v15, vcc_lo, 0x1000, v15
	s_wait_alu 0xfffd
	v_add_co_ci_u32_e64 v16, null, 0, v16, vcc_lo
	v_cmp_ge_i64_e32 vcc_lo, v[11:12], v[13:14]
	s_wait_alu 0xfffe
	s_or_b32 s7, vcc_lo, s7
	s_wait_loadcnt 0xd
	v_fma_f64 v[77:78], v[27:28], v[81:82], v[77:78]
	v_fma_f64 v[23:24], v[81:82], 0, v[23:24]
	;; [unrolled: 1-line block ×4, first 2 shown]
	s_wait_loadcnt 0xc
	v_fma_f64 v[91:92], v[31:32], v[81:82], v[91:92]
	v_fma_f64 v[95:96], v[81:82], 0, v[95:96]
	;; [unrolled: 1-line block ×12, first 2 shown]
	s_wait_loadcnt 0x9
	v_fma_f64 v[77:78], v[85:86], v[41:42], v[77:78]
	v_fma_f64 v[23:24], v[41:42], 0, v[23:24]
	;; [unrolled: 1-line block ×16, first 2 shown]
	s_wait_loadcnt 0x7
	v_fma_f64 v[39:40], v[49:50], v[45:46], v[41:42]
	v_fma_f64 v[23:24], v[45:46], 0, v[23:24]
	;; [unrolled: 1-line block ×4, first 2 shown]
	s_wait_loadcnt 0x6
	v_fma_f64 v[29:30], v[53:54], v[45:46], v[29:30]
	v_fma_f64 v[31:32], v[45:46], 0, v[31:32]
	;; [unrolled: 1-line block ×12, first 2 shown]
	s_wait_loadcnt 0x3
	v_fma_f64 v[39:40], v[61:62], v[65:66], v[39:40]
	v_fma_f64 v[23:24], v[65:66], 0, v[23:24]
	;; [unrolled: 1-line block ×16, first 2 shown]
	s_wait_loadcnt 0x1
	v_fma_f64 v[39:40], v[17:18], v[69:70], v[39:40]
	v_fma_f64 v[23:24], v[69:70], 0, v[23:24]
	;; [unrolled: 1-line block ×4, first 2 shown]
	s_wait_loadcnt 0x0
	v_fma_f64 v[29:30], v[73:74], v[69:70], v[29:30]
	v_fma_f64 v[43:44], v[69:70], 0, v[31:32]
	;; [unrolled: 1-line block ×12, first 2 shown]
	s_wait_alu 0xfffe
	s_and_not1_b32 exec_lo, exec_lo, s7
	s_cbranch_execnz .LBB146_33
; %bb.34:
	s_or_b32 exec_lo, exec_lo, s7
.LBB146_35:
	s_wait_alu 0xfffe
	s_or_b32 exec_lo, exec_lo, s6
.LBB146_36:
	s_wait_alu 0xfffe
	s_or_b32 exec_lo, exec_lo, s3
.LBB146_37:
	v_mbcnt_lo_u32_b32 v45, -1, 0
	s_delay_alu instid0(VALU_DEP_1) | instskip(NEXT) | instid1(VALU_DEP_1)
	v_xor_b32_e32 v9, 4, v45
	v_cmp_gt_i32_e32 vcc_lo, 32, v9
	s_wait_alu 0xfffd
	v_cndmask_b32_e32 v9, v45, v9, vcc_lo
	s_delay_alu instid0(VALU_DEP_1)
	v_lshlrev_b32_e32 v42, 2, v9
	ds_bpermute_b32 v9, v42, v27
	ds_bpermute_b32 v10, v42, v28
	ds_bpermute_b32 v11, v42, v23
	ds_bpermute_b32 v12, v42, v24
	ds_bpermute_b32 v13, v42, v33
	ds_bpermute_b32 v14, v42, v34
	ds_bpermute_b32 v15, v42, v31
	ds_bpermute_b32 v16, v42, v32
	ds_bpermute_b32 v35, v42, v25
	ds_bpermute_b32 v36, v42, v26
	ds_bpermute_b32 v37, v42, v29
	ds_bpermute_b32 v38, v42, v30
	ds_bpermute_b32 v39, v42, v17
	ds_bpermute_b32 v40, v42, v18
	ds_bpermute_b32 v41, v42, v19
	ds_bpermute_b32 v42, v42, v20
	s_wait_dscnt 0xe
	v_add_f64_e32 v[9:10], v[27:28], v[9:10]
	s_wait_dscnt 0xc
	v_add_f64_e32 v[11:12], v[23:24], v[11:12]
	s_wait_dscnt 0xa
	v_add_f64_e32 v[13:14], v[33:34], v[13:14]
	s_wait_dscnt 0x8
	v_add_f64_e32 v[15:16], v[31:32], v[15:16]
	s_wait_dscnt 0x6
	v_add_f64_e32 v[23:24], v[25:26], v[35:36]
	s_wait_dscnt 0x4
	v_add_f64_e32 v[27:28], v[29:30], v[37:38]
	s_wait_dscnt 0x2
	v_add_f64_e32 v[17:18], v[17:18], v[39:40]
	s_wait_dscnt 0x0
	v_add_f64_e32 v[31:32], v[19:20], v[41:42]
	v_xor_b32_e32 v19, 2, v45
	s_delay_alu instid0(VALU_DEP_1) | instskip(SKIP_2) | instid1(VALU_DEP_1)
	v_cmp_gt_i32_e32 vcc_lo, 32, v19
	s_wait_alu 0xfffd
	v_cndmask_b32_e32 v19, v45, v19, vcc_lo
	v_lshlrev_b32_e32 v29, 2, v19
	ds_bpermute_b32 v19, v29, v9
	ds_bpermute_b32 v20, v29, v10
	;; [unrolled: 1-line block ×16, first 2 shown]
	s_wait_dscnt 0xe
	v_add_f64_e32 v[9:10], v[9:10], v[19:20]
	s_wait_dscnt 0xc
	v_add_f64_e32 v[29:30], v[11:12], v[25:26]
	;; [unrolled: 2-line block ×5, first 2 shown]
	v_xor_b32_e32 v23, 1, v45
	s_wait_dscnt 0x4
	v_add_f64_e32 v[19:20], v[27:28], v[39:40]
	s_wait_dscnt 0x2
	v_add_f64_e32 v[15:16], v[17:18], v[41:42]
	s_wait_dscnt 0x0
	v_add_f64_e32 v[17:18], v[31:32], v[43:44]
	v_cmp_gt_i32_e32 vcc_lo, 32, v23
	s_wait_alu 0xfffd
	v_cndmask_b32_e32 v23, v45, v23, vcc_lo
	v_cmp_eq_u32_e32 vcc_lo, 7, v0
	s_delay_alu instid0(VALU_DEP_2)
	v_lshlrev_b32_e32 v36, 2, v23
	ds_bpermute_b32 v23, v36, v9
	ds_bpermute_b32 v24, v36, v10
	;; [unrolled: 1-line block ×16, first 2 shown]
	s_and_b32 exec_lo, exec_lo, vcc_lo
	s_cbranch_execz .LBB146_8
; %bb.38:
	s_wait_dscnt 0xc
	v_add_f64_e32 v[29:30], v[29:30], v[41:42]
	s_wait_dscnt 0x8
	v_add_f64_e32 v[25:26], v[25:26], v[39:40]
	;; [unrolled: 2-line block ×4, first 2 shown]
	v_add_f64_e32 v[9:10], v[9:10], v[23:24]
	v_add_f64_e32 v[11:12], v[11:12], v[27:28]
	;; [unrolled: 1-line block ×4, first 2 shown]
	v_cmp_eq_f64_e32 vcc_lo, 0, v[1:2]
	v_cmp_eq_f64_e64 s2, 0, v[3:4]
	s_load_b64 s[0:1], s[0:1], 0x68
	v_lshlrev_b64_e32 v[21:22], 6, v[21:22]
	v_mul_f64_e64 v[13:14], v[29:30], -v[7:8]
	v_mul_f64_e32 v[15:16], v[5:6], v[29:30]
	v_mul_f64_e64 v[29:30], v[25:26], -v[7:8]
	v_mul_f64_e32 v[25:26], v[5:6], v[25:26]
	;; [unrolled: 2-line block ×4, first 2 shown]
	s_and_b32 s2, vcc_lo, s2
	v_fma_f64 v[17:18], v[5:6], v[9:10], v[13:14]
	v_fma_f64 v[19:20], v[7:8], v[9:10], v[15:16]
	;; [unrolled: 1-line block ×8, first 2 shown]
	s_wait_alu 0xfffe
	s_and_saveexec_b32 s3, s2
	s_wait_alu 0xfffe
	s_xor_b32 s2, exec_lo, s3
	s_cbranch_execz .LBB146_40
; %bb.39:
	s_wait_kmcnt 0x0
	v_add_co_u32 v0, vcc_lo, s0, v21
	s_wait_alu 0xfffd
	v_add_co_ci_u32_e64 v1, null, s1, v22, vcc_lo
                                        ; implicit-def: $vgpr21_vgpr22
	s_clause 0x3
	global_store_b128 v[0:1], v[17:20], off
	global_store_b128 v[0:1], v[13:16], off offset:16
	global_store_b128 v[0:1], v[9:12], off offset:32
	;; [unrolled: 1-line block ×3, first 2 shown]
                                        ; implicit-def: $vgpr3_vgpr4
                                        ; implicit-def: $vgpr17_vgpr18
                                        ; implicit-def: $vgpr13_vgpr14
                                        ; implicit-def: $vgpr9_vgpr10
                                        ; implicit-def: $vgpr5_vgpr6
.LBB146_40:
	s_wait_alu 0xfffe
	s_and_not1_saveexec_b32 s2, s2
	s_cbranch_execz .LBB146_8
; %bb.41:
	s_wait_kmcnt 0x0
	v_add_co_u32 v37, vcc_lo, s0, v21
	s_wait_alu 0xfffd
	v_add_co_ci_u32_e64 v38, null, s1, v22, vcc_lo
	s_clause 0x3
	global_load_b128 v[21:24], v[37:38], off
	global_load_b128 v[25:28], v[37:38], off offset:16
	global_load_b128 v[29:32], v[37:38], off offset:32
	;; [unrolled: 1-line block ×3, first 2 shown]
	s_wait_loadcnt 0x3
	v_fma_f64 v[17:18], v[1:2], v[21:22], v[17:18]
	v_fma_f64 v[19:20], v[3:4], v[21:22], v[19:20]
	s_wait_loadcnt 0x2
	v_fma_f64 v[13:14], v[1:2], v[25:26], v[13:14]
	v_fma_f64 v[15:16], v[3:4], v[25:26], v[15:16]
	;; [unrolled: 3-line block ×4, first 2 shown]
	v_fma_f64 v[5:6], -v[3:4], v[23:24], v[17:18]
	v_fma_f64 v[7:8], v[1:2], v[23:24], v[19:20]
	v_fma_f64 v[9:10], -v[3:4], v[27:28], v[13:14]
	v_fma_f64 v[11:12], v[1:2], v[27:28], v[15:16]
	;; [unrolled: 2-line block ×4, first 2 shown]
	s_clause 0x3
	global_store_b128 v[37:38], v[5:8], off
	global_store_b128 v[37:38], v[9:12], off offset:16
	global_store_b128 v[37:38], v[13:16], off offset:32
	;; [unrolled: 1-line block ×3, first 2 shown]
	s_nop 0
	s_sendmsg sendmsg(MSG_DEALLOC_VGPRS)
	s_endpgm
	.section	.rodata,"a",@progbits
	.p2align	6, 0x0
	.amdhsa_kernel _ZN9rocsparseL18bsrxmvn_4x4_kernelILj128ELj8E21rocsparse_complex_numIdElldS2_S2_EEvT3_20rocsparse_direction_NS_24const_host_device_scalarIT1_EES3_PKS3_PKT2_SC_S9_PKT4_PKT5_S7_PT6_21rocsparse_index_base_b
		.amdhsa_group_segment_fixed_size 0
		.amdhsa_private_segment_fixed_size 0
		.amdhsa_kernarg_size 120
		.amdhsa_user_sgpr_count 2
		.amdhsa_user_sgpr_dispatch_ptr 0
		.amdhsa_user_sgpr_queue_ptr 0
		.amdhsa_user_sgpr_kernarg_segment_ptr 1
		.amdhsa_user_sgpr_dispatch_id 0
		.amdhsa_user_sgpr_private_segment_size 0
		.amdhsa_wavefront_size32 1
		.amdhsa_uses_dynamic_stack 0
		.amdhsa_enable_private_segment 0
		.amdhsa_system_sgpr_workgroup_id_x 1
		.amdhsa_system_sgpr_workgroup_id_y 0
		.amdhsa_system_sgpr_workgroup_id_z 0
		.amdhsa_system_sgpr_workgroup_info 0
		.amdhsa_system_vgpr_workitem_id 0
		.amdhsa_next_free_vgpr 121
		.amdhsa_next_free_sgpr 12
		.amdhsa_reserve_vcc 1
		.amdhsa_float_round_mode_32 0
		.amdhsa_float_round_mode_16_64 0
		.amdhsa_float_denorm_mode_32 3
		.amdhsa_float_denorm_mode_16_64 3
		.amdhsa_fp16_overflow 0
		.amdhsa_workgroup_processor_mode 1
		.amdhsa_memory_ordered 1
		.amdhsa_forward_progress 1
		.amdhsa_inst_pref_size 92
		.amdhsa_round_robin_scheduling 0
		.amdhsa_exception_fp_ieee_invalid_op 0
		.amdhsa_exception_fp_denorm_src 0
		.amdhsa_exception_fp_ieee_div_zero 0
		.amdhsa_exception_fp_ieee_overflow 0
		.amdhsa_exception_fp_ieee_underflow 0
		.amdhsa_exception_fp_ieee_inexact 0
		.amdhsa_exception_int_div_zero 0
	.end_amdhsa_kernel
	.section	.text._ZN9rocsparseL18bsrxmvn_4x4_kernelILj128ELj8E21rocsparse_complex_numIdElldS2_S2_EEvT3_20rocsparse_direction_NS_24const_host_device_scalarIT1_EES3_PKS3_PKT2_SC_S9_PKT4_PKT5_S7_PT6_21rocsparse_index_base_b,"axG",@progbits,_ZN9rocsparseL18bsrxmvn_4x4_kernelILj128ELj8E21rocsparse_complex_numIdElldS2_S2_EEvT3_20rocsparse_direction_NS_24const_host_device_scalarIT1_EES3_PKS3_PKT2_SC_S9_PKT4_PKT5_S7_PT6_21rocsparse_index_base_b,comdat
.Lfunc_end146:
	.size	_ZN9rocsparseL18bsrxmvn_4x4_kernelILj128ELj8E21rocsparse_complex_numIdElldS2_S2_EEvT3_20rocsparse_direction_NS_24const_host_device_scalarIT1_EES3_PKS3_PKT2_SC_S9_PKT4_PKT5_S7_PT6_21rocsparse_index_base_b, .Lfunc_end146-_ZN9rocsparseL18bsrxmvn_4x4_kernelILj128ELj8E21rocsparse_complex_numIdElldS2_S2_EEvT3_20rocsparse_direction_NS_24const_host_device_scalarIT1_EES3_PKS3_PKT2_SC_S9_PKT4_PKT5_S7_PT6_21rocsparse_index_base_b
                                        ; -- End function
	.set _ZN9rocsparseL18bsrxmvn_4x4_kernelILj128ELj8E21rocsparse_complex_numIdElldS2_S2_EEvT3_20rocsparse_direction_NS_24const_host_device_scalarIT1_EES3_PKS3_PKT2_SC_S9_PKT4_PKT5_S7_PT6_21rocsparse_index_base_b.num_vgpr, 121
	.set _ZN9rocsparseL18bsrxmvn_4x4_kernelILj128ELj8E21rocsparse_complex_numIdElldS2_S2_EEvT3_20rocsparse_direction_NS_24const_host_device_scalarIT1_EES3_PKS3_PKT2_SC_S9_PKT4_PKT5_S7_PT6_21rocsparse_index_base_b.num_agpr, 0
	.set _ZN9rocsparseL18bsrxmvn_4x4_kernelILj128ELj8E21rocsparse_complex_numIdElldS2_S2_EEvT3_20rocsparse_direction_NS_24const_host_device_scalarIT1_EES3_PKS3_PKT2_SC_S9_PKT4_PKT5_S7_PT6_21rocsparse_index_base_b.numbered_sgpr, 12
	.set _ZN9rocsparseL18bsrxmvn_4x4_kernelILj128ELj8E21rocsparse_complex_numIdElldS2_S2_EEvT3_20rocsparse_direction_NS_24const_host_device_scalarIT1_EES3_PKS3_PKT2_SC_S9_PKT4_PKT5_S7_PT6_21rocsparse_index_base_b.num_named_barrier, 0
	.set _ZN9rocsparseL18bsrxmvn_4x4_kernelILj128ELj8E21rocsparse_complex_numIdElldS2_S2_EEvT3_20rocsparse_direction_NS_24const_host_device_scalarIT1_EES3_PKS3_PKT2_SC_S9_PKT4_PKT5_S7_PT6_21rocsparse_index_base_b.private_seg_size, 0
	.set _ZN9rocsparseL18bsrxmvn_4x4_kernelILj128ELj8E21rocsparse_complex_numIdElldS2_S2_EEvT3_20rocsparse_direction_NS_24const_host_device_scalarIT1_EES3_PKS3_PKT2_SC_S9_PKT4_PKT5_S7_PT6_21rocsparse_index_base_b.uses_vcc, 1
	.set _ZN9rocsparseL18bsrxmvn_4x4_kernelILj128ELj8E21rocsparse_complex_numIdElldS2_S2_EEvT3_20rocsparse_direction_NS_24const_host_device_scalarIT1_EES3_PKS3_PKT2_SC_S9_PKT4_PKT5_S7_PT6_21rocsparse_index_base_b.uses_flat_scratch, 0
	.set _ZN9rocsparseL18bsrxmvn_4x4_kernelILj128ELj8E21rocsparse_complex_numIdElldS2_S2_EEvT3_20rocsparse_direction_NS_24const_host_device_scalarIT1_EES3_PKS3_PKT2_SC_S9_PKT4_PKT5_S7_PT6_21rocsparse_index_base_b.has_dyn_sized_stack, 0
	.set _ZN9rocsparseL18bsrxmvn_4x4_kernelILj128ELj8E21rocsparse_complex_numIdElldS2_S2_EEvT3_20rocsparse_direction_NS_24const_host_device_scalarIT1_EES3_PKS3_PKT2_SC_S9_PKT4_PKT5_S7_PT6_21rocsparse_index_base_b.has_recursion, 0
	.set _ZN9rocsparseL18bsrxmvn_4x4_kernelILj128ELj8E21rocsparse_complex_numIdElldS2_S2_EEvT3_20rocsparse_direction_NS_24const_host_device_scalarIT1_EES3_PKS3_PKT2_SC_S9_PKT4_PKT5_S7_PT6_21rocsparse_index_base_b.has_indirect_call, 0
	.section	.AMDGPU.csdata,"",@progbits
; Kernel info:
; codeLenInByte = 11664
; TotalNumSgprs: 14
; NumVgprs: 121
; ScratchSize: 0
; MemoryBound: 0
; FloatMode: 240
; IeeeMode: 1
; LDSByteSize: 0 bytes/workgroup (compile time only)
; SGPRBlocks: 0
; VGPRBlocks: 15
; NumSGPRsForWavesPerEU: 14
; NumVGPRsForWavesPerEU: 121
; Occupancy: 10
; WaveLimiterHint : 1
; COMPUTE_PGM_RSRC2:SCRATCH_EN: 0
; COMPUTE_PGM_RSRC2:USER_SGPR: 2
; COMPUTE_PGM_RSRC2:TRAP_HANDLER: 0
; COMPUTE_PGM_RSRC2:TGID_X_EN: 1
; COMPUTE_PGM_RSRC2:TGID_Y_EN: 0
; COMPUTE_PGM_RSRC2:TGID_Z_EN: 0
; COMPUTE_PGM_RSRC2:TIDIG_COMP_CNT: 0
	.section	.text._ZN9rocsparseL18bsrxmvn_4x4_kernelILj128ELj16E21rocsparse_complex_numIdElldS2_S2_EEvT3_20rocsparse_direction_NS_24const_host_device_scalarIT1_EES3_PKS3_PKT2_SC_S9_PKT4_PKT5_S7_PT6_21rocsparse_index_base_b,"axG",@progbits,_ZN9rocsparseL18bsrxmvn_4x4_kernelILj128ELj16E21rocsparse_complex_numIdElldS2_S2_EEvT3_20rocsparse_direction_NS_24const_host_device_scalarIT1_EES3_PKS3_PKT2_SC_S9_PKT4_PKT5_S7_PT6_21rocsparse_index_base_b,comdat
	.globl	_ZN9rocsparseL18bsrxmvn_4x4_kernelILj128ELj16E21rocsparse_complex_numIdElldS2_S2_EEvT3_20rocsparse_direction_NS_24const_host_device_scalarIT1_EES3_PKS3_PKT2_SC_S9_PKT4_PKT5_S7_PT6_21rocsparse_index_base_b ; -- Begin function _ZN9rocsparseL18bsrxmvn_4x4_kernelILj128ELj16E21rocsparse_complex_numIdElldS2_S2_EEvT3_20rocsparse_direction_NS_24const_host_device_scalarIT1_EES3_PKS3_PKT2_SC_S9_PKT4_PKT5_S7_PT6_21rocsparse_index_base_b
	.p2align	8
	.type	_ZN9rocsparseL18bsrxmvn_4x4_kernelILj128ELj16E21rocsparse_complex_numIdElldS2_S2_EEvT3_20rocsparse_direction_NS_24const_host_device_scalarIT1_EES3_PKS3_PKT2_SC_S9_PKT4_PKT5_S7_PT6_21rocsparse_index_base_b,@function
_ZN9rocsparseL18bsrxmvn_4x4_kernelILj128ELj16E21rocsparse_complex_numIdElldS2_S2_EEvT3_20rocsparse_direction_NS_24const_host_device_scalarIT1_EES3_PKS3_PKT2_SC_S9_PKT4_PKT5_S7_PT6_21rocsparse_index_base_b: ; @_ZN9rocsparseL18bsrxmvn_4x4_kernelILj128ELj16E21rocsparse_complex_numIdElldS2_S2_EEvT3_20rocsparse_direction_NS_24const_host_device_scalarIT1_EES3_PKS3_PKT2_SC_S9_PKT4_PKT5_S7_PT6_21rocsparse_index_base_b
; %bb.0:
	s_clause 0x1
	s_load_b64 s[4:5], s[0:1], 0x70
	s_load_b64 s[2:3], s[0:1], 0x10
	s_add_nc_u64 s[6:7], s[0:1], 16
	s_load_b64 s[8:9], s[0:1], 0x58
	s_wait_kmcnt 0x0
	s_bitcmp1_b32 s5, 0
	s_cselect_b32 s2, s6, s2
	s_cselect_b32 s3, s7, s3
	s_delay_alu instid0(SALU_CYCLE_1)
	v_dual_mov_b32 v1, s2 :: v_dual_mov_b32 v2, s3
	s_add_nc_u64 s[2:3], s[0:1], 0x58
	s_wait_alu 0xfffe
	s_cselect_b32 s2, s2, s8
	s_cselect_b32 s3, s3, s9
	flat_load_b128 v[5:8], v[1:2]
	s_wait_alu 0xfffe
	v_dual_mov_b32 v1, s2 :: v_dual_mov_b32 v2, s3
	flat_load_b128 v[1:4], v[1:2]
	s_wait_loadcnt_dscnt 0x101
	v_cmp_eq_f64_e32 vcc_lo, 0, v[5:6]
	v_cmp_eq_f64_e64 s2, 0, v[7:8]
	s_and_b32 s5, vcc_lo, s2
	s_mov_b32 s2, -1
	s_and_saveexec_b32 s3, s5
	s_cbranch_execz .LBB147_2
; %bb.1:
	s_wait_loadcnt_dscnt 0x0
	v_cmp_neq_f64_e32 vcc_lo, 1.0, v[1:2]
	v_cmp_neq_f64_e64 s2, 0, v[3:4]
	s_wait_alu 0xfffe
	s_or_b32 s2, vcc_lo, s2
	s_wait_alu 0xfffe
	s_or_not1_b32 s2, s2, exec_lo
.LBB147_2:
	s_wait_alu 0xfffe
	s_or_b32 exec_lo, exec_lo, s3
	s_and_saveexec_b32 s3, s2
	s_cbranch_execz .LBB147_8
; %bb.3:
	s_load_b64 s[2:3], s[0:1], 0x28
	v_lshrrev_b32_e32 v9, 4, v0
	v_mov_b32_e32 v12, 0
	s_delay_alu instid0(VALU_DEP_2)
	v_lshl_or_b32 v11, ttmp9, 3, v9
	s_wait_kmcnt 0x0
	s_cmp_lg_u64 s[2:3], 0
	s_cbranch_scc0 .LBB147_9
; %bb.4:
	s_load_b64 s[6:7], s[0:1], 0x20
                                        ; implicit-def: $vgpr21_vgpr22
                                        ; implicit-def: $vgpr9_vgpr10
	s_wait_kmcnt 0x0
	v_cmp_gt_i64_e32 vcc_lo, s[6:7], v[11:12]
	s_mov_b32 s7, 0
	s_mov_b32 s6, 0
	s_and_saveexec_b32 s5, vcc_lo
	s_delay_alu instid0(SALU_CYCLE_1)
	s_xor_b32 s8, exec_lo, s5
	s_cbranch_execz .LBB147_6
; %bb.5:
	v_lshlrev_b64_e32 v[9:10], 3, v[11:12]
	s_mov_b32 s5, 0
	s_mov_b32 s6, exec_lo
	s_delay_alu instid0(VALU_DEP_1) | instskip(NEXT) | instid1(VALU_DEP_1)
	v_add_co_u32 v9, vcc_lo, s2, v9
	v_add_co_ci_u32_e64 v10, null, s3, v10, vcc_lo
	global_load_b64 v[9:10], v[9:10], off
	s_wait_loadcnt 0x0
	v_sub_co_u32 v21, vcc_lo, v9, s4
	s_wait_alu 0xfffd
	v_subrev_co_ci_u32_e64 v22, null, 0, v10, vcc_lo
	v_dual_mov_b32 v10, s5 :: v_dual_mov_b32 v9, s4
.LBB147_6:
	s_or_b32 exec_lo, exec_lo, s8
	s_wait_alu 0xfffe
	s_and_b32 vcc_lo, exec_lo, s7
	s_wait_alu 0xfffe
	s_cbranch_vccnz .LBB147_10
.LBB147_7:
	s_and_b32 exec_lo, exec_lo, s6
	s_cbranch_execnz .LBB147_13
.LBB147_8:
	s_nop 0
	s_sendmsg sendmsg(MSG_DEALLOC_VGPRS)
	s_endpgm
.LBB147_9:
	s_mov_b32 s6, 0
                                        ; implicit-def: $vgpr21_vgpr22
                                        ; implicit-def: $vgpr9_vgpr10
	s_cbranch_execz .LBB147_7
.LBB147_10:
	s_load_b64 s[2:3], s[0:1], 0x0
	s_wait_kmcnt 0x0
	v_cmp_gt_i64_e32 vcc_lo, s[2:3], v[11:12]
	s_and_saveexec_b32 s2, vcc_lo
; %bb.11:
	s_mov_b32 s5, 0
	s_or_b32 s6, s6, exec_lo
; %bb.12:
	s_wait_alu 0xfffe
	s_or_b32 exec_lo, exec_lo, s2
	v_dual_mov_b32 v10, s5 :: v_dual_mov_b32 v9, s4
	v_dual_mov_b32 v22, v12 :: v_dual_mov_b32 v21, v11
	s_and_b32 exec_lo, exec_lo, s6
	s_cbranch_execz .LBB147_8
.LBB147_13:
	s_load_b256 s[4:11], s[0:1], 0x30
	s_delay_alu instid0(VALU_DEP_1) | instskip(SKIP_3) | instid1(VALU_DEP_2)
	v_lshlrev_b64_e32 v[11:12], 3, v[21:22]
	v_and_b32_e32 v0, 15, v0
	s_load_b32 s3, s[0:1], 0x8
	s_wait_kmcnt 0x0
	v_add_co_u32 v13, vcc_lo, s4, v11
	s_wait_alu 0xfffd
	v_add_co_ci_u32_e64 v14, null, s5, v12, vcc_lo
	v_add_co_u32 v11, vcc_lo, s6, v11
	s_wait_alu 0xfffd
	v_add_co_ci_u32_e64 v12, null, s7, v12, vcc_lo
	v_add_co_u32 v15, vcc_lo, v13, 8
	global_load_b64 v[35:36], v[13:14], off
	s_wait_alu 0xfffd
	v_add_co_ci_u32_e64 v16, null, 0, v14, vcc_lo
	s_cmp_eq_u64 s[6:7], 0
	s_load_b64 s[4:5], s[0:1], 0x50
	s_cselect_b32 vcc_lo, -1, 0
	s_cmp_eq_u32 s3, 1
	s_wait_alu 0xfffe
	v_dual_cndmask_b32 v12, v12, v16 :: v_dual_cndmask_b32 v11, v11, v15
	global_load_b64 v[13:14], v[11:12], off
	s_wait_loadcnt 0x1
	v_sub_co_u32 v11, vcc_lo, v35, v9
	s_wait_alu 0xfffd
	v_sub_co_ci_u32_e64 v12, null, v36, v10, vcc_lo
	s_delay_alu instid0(VALU_DEP_2) | instskip(SKIP_1) | instid1(VALU_DEP_2)
	v_add_co_u32 v11, vcc_lo, v11, v0
	s_wait_alu 0xfffd
	v_add_co_ci_u32_e64 v12, null, 0, v12, vcc_lo
	s_delay_alu instid0(VALU_DEP_1) | instskip(SKIP_4) | instid1(VALU_DEP_3)
	v_lshlrev_b64_e32 v[15:16], 7, v[11:12]
	s_wait_loadcnt 0x0
	v_sub_co_u32 v13, vcc_lo, v13, v9
	s_wait_alu 0xfffd
	v_sub_co_ci_u32_e64 v14, null, v14, v10, vcc_lo
	v_add_co_u32 v15, vcc_lo, s10, v15
	s_delay_alu instid0(VALU_DEP_2)
	v_cmp_lt_i64_e64 s2, v[11:12], v[13:14]
	s_wait_alu 0xfffd
	v_add_co_ci_u32_e64 v16, null, s11, v16, vcc_lo
	s_cbranch_scc1 .LBB147_25
; %bb.14:
	v_mov_b32_e32 v23, 0
	v_mov_b32_e32 v31, 0
	;; [unrolled: 1-line block ×3, first 2 shown]
	v_dual_mov_b32 v19, 0 :: v_dual_mov_b32 v24, 0
	v_dual_mov_b32 v27, 0 :: v_dual_mov_b32 v32, 0
	;; [unrolled: 1-line block ×5, first 2 shown]
	v_mov_b32_e32 v34, 0
	v_mov_b32_e32 v26, 0
	;; [unrolled: 1-line block ×3, first 2 shown]
	s_and_saveexec_b32 s6, s2
	s_cbranch_execz .LBB147_24
; %bb.15:
	v_or_b32_e32 v17, 16, v0
	v_not_b32_e32 v24, v35
	v_mov_b32_e32 v38, 0
	v_not_b32_e32 v23, v36
	v_mov_b32_e32 v31, 0
	v_sub_co_u32 v17, vcc_lo, v17, v9
	s_wait_alu 0xfffd
	v_sub_co_ci_u32_e64 v18, null, 0, v10, vcc_lo
	v_mov_b32_e32 v29, 0
	s_delay_alu instid0(VALU_DEP_3) | instskip(SKIP_1) | instid1(VALU_DEP_3)
	v_add_co_u32 v19, vcc_lo, v17, v35
	s_wait_alu 0xfffd
	v_add_co_ci_u32_e64 v20, null, v18, v36, vcc_lo
	v_sub_co_u32 v25, vcc_lo, v9, v0
	s_wait_alu 0xfffd
	v_subrev_co_ci_u32_e64 v26, null, 0, v10, vcc_lo
	s_delay_alu instid0(VALU_DEP_3) | instskip(NEXT) | instid1(VALU_DEP_3)
	v_cmp_gt_i64_e32 vcc_lo, v[19:20], v[13:14]
	v_add_co_u32 v24, s3, v25, v24
	v_mov_b32_e32 v17, 0
	v_mov_b32_e32 v18, 0
	s_wait_alu 0xf1ff
	v_add_co_ci_u32_e64 v23, null, v26, v23, s3
	s_wait_alu 0xfffd
	v_cndmask_b32_e32 v25, v13, v19, vcc_lo
	v_cndmask_b32_e32 v27, v14, v20, vcc_lo
	v_mov_b32_e32 v19, 0
	v_dual_mov_b32 v20, 0 :: v_dual_mov_b32 v33, 0
	s_delay_alu instid0(VALU_DEP_4) | instskip(SKIP_3) | instid1(VALU_DEP_3)
	v_add_co_u32 v41, vcc_lo, v24, v25
	v_dual_mov_b32 v25, 0 :: v_dual_mov_b32 v30, 0
	s_wait_alu 0xfffd
	v_add_co_ci_u32_e64 v42, null, v23, v27, vcc_lo
	v_dual_mov_b32 v32, 0 :: v_dual_and_b32 v37, 48, v41
	v_dual_mov_b32 v27, 0 :: v_dual_mov_b32 v40, v16
	v_mov_b32_e32 v23, 0
	s_delay_alu instid0(VALU_DEP_3)
	v_cmp_ne_u64_e32 vcc_lo, 48, v[37:38]
	v_mov_b32_e32 v38, v12
	v_mov_b32_e32 v26, 0
	;; [unrolled: 1-line block ×4, first 2 shown]
	v_dual_mov_b32 v24, 0 :: v_dual_mov_b32 v39, v15
	v_mov_b32_e32 v37, v11
	s_and_saveexec_b32 s7, vcc_lo
	s_cbranch_execz .LBB147_19
; %bb.16:
	v_lshrrev_b32_e32 v19, 4, v41
	v_lshlrev_b64_e32 v[17:18], 3, v[11:12]
	v_dual_mov_b32 v23, 0 :: v_dual_mov_b32 v38, v12
	v_mov_b32_e32 v29, 0
	s_delay_alu instid0(VALU_DEP_4) | instskip(NEXT) | instid1(VALU_DEP_4)
	v_dual_mov_b32 v24, 0 :: v_dual_add_nc_u32 v19, 1, v19
	v_add_co_u32 v43, vcc_lo, s8, v17
	v_mov_b32_e32 v27, 0
	s_delay_alu instid0(VALU_DEP_3) | instskip(SKIP_3) | instid1(VALU_DEP_3)
	v_dual_mov_b32 v30, 0 :: v_dual_and_b32 v19, 3, v19
	v_mov_b32_e32 v31, 0
	s_wait_alu 0xfffd
	v_add_co_ci_u32_e64 v44, null, s9, v18, vcc_lo
	v_sub_co_u32 v45, s3, 0, v19
	v_mov_b32_e32 v33, 0
	v_mov_b32_e32 v25, 0
	v_dual_mov_b32 v19, 0 :: v_dual_mov_b32 v40, v16
	v_mov_b32_e32 v17, 0
	v_dual_mov_b32 v37, v11 :: v_dual_mov_b32 v28, 0
	v_mov_b32_e32 v32, 0
	s_wait_alu 0xf1ff
	v_sub_co_ci_u32_e64 v46, null, 0, 0, s3
	v_mov_b32_e32 v34, 0
	v_mov_b32_e32 v26, 0
	v_mov_b32_e32 v20, 0
	v_dual_mov_b32 v18, 0 :: v_dual_mov_b32 v39, v15
	s_mov_b32 s10, 0
.LBB147_17:                             ; =>This Inner Loop Header: Depth=1
	global_load_b64 v[79:80], v[43:44], off
	s_clause 0x7
	global_load_b128 v[47:50], v[39:40], off offset:48
	global_load_b128 v[51:54], v[39:40], off offset:32
	;; [unrolled: 1-line block ×3, first 2 shown]
	global_load_b128 v[59:62], v[39:40], off
	global_load_b128 v[63:66], v[39:40], off offset:112
	global_load_b128 v[67:70], v[39:40], off offset:96
	;; [unrolled: 1-line block ×4, first 2 shown]
	v_add_co_u32 v43, s3, 0x80, v43
	s_wait_alu 0xf1ff
	v_add_co_ci_u32_e64 v44, null, 0, v44, s3
	s_wait_loadcnt 0x8
	v_sub_co_u32 v79, vcc_lo, v79, v9
	s_wait_alu 0xfffd
	v_sub_co_ci_u32_e64 v80, null, v80, v10, vcc_lo
	s_delay_alu instid0(VALU_DEP_1) | instskip(SKIP_1) | instid1(VALU_DEP_1)
	v_lshlrev_b64_e32 v[79:80], 6, v[79:80]
	s_wait_kmcnt 0x0
	v_add_co_u32 v91, vcc_lo, s4, v79
	s_wait_alu 0xfffd
	s_delay_alu instid0(VALU_DEP_2)
	v_add_co_ci_u32_e64 v92, null, s5, v80, vcc_lo
	v_add_co_u32 v39, vcc_lo, 0x800, v39
	s_wait_alu 0xfffd
	v_add_co_ci_u32_e64 v40, null, 0, v40, vcc_lo
	s_clause 0x3
	global_load_b128 v[79:82], v[91:92], off
	global_load_b128 v[83:86], v[91:92], off offset:16
	global_load_b128 v[87:90], v[91:92], off offset:32
	;; [unrolled: 1-line block ×3, first 2 shown]
	v_add_co_u32 v45, vcc_lo, v45, 1
	s_wait_alu 0xfffd
	v_add_co_ci_u32_e64 v46, null, 0, v46, vcc_lo
	v_add_co_u32 v37, vcc_lo, v37, 16
	s_wait_alu 0xfffd
	v_add_co_ci_u32_e64 v38, null, 0, v38, vcc_lo
	s_delay_alu instid0(VALU_DEP_3)
	v_cmp_eq_u64_e32 vcc_lo, 0, v[45:46]
	s_wait_alu 0xfffe
	s_or_b32 s10, vcc_lo, s10
	s_wait_loadcnt 0x3
	v_fma_f64 v[27:28], v[59:60], v[79:80], v[27:28]
	v_fma_f64 v[23:24], v[79:80], 0, v[23:24]
	v_fma_f64 v[33:34], v[51:52], v[79:80], v[33:34]
	v_fma_f64 v[31:32], v[79:80], 0, v[31:32]
	v_fma_f64 v[25:26], v[75:76], v[79:80], v[25:26]
	v_fma_f64 v[29:30], v[79:80], 0, v[29:30]
	v_fma_f64 v[17:18], v[67:68], v[79:80], v[17:18]
	v_fma_f64 v[19:20], v[79:80], 0, v[19:20]
	v_fma_f64 v[27:28], 0x80000000, v[81:82], v[27:28]
	v_fma_f64 v[23:24], v[59:60], v[81:82], v[23:24]
	v_fma_f64 v[33:34], 0x80000000, v[81:82], v[33:34]
	v_fma_f64 v[31:32], v[51:52], v[81:82], v[31:32]
	v_fma_f64 v[25:26], 0x80000000, v[81:82], v[25:26]
	v_fma_f64 v[29:30], v[75:76], v[81:82], v[29:30]
	v_fma_f64 v[17:18], 0x80000000, v[81:82], v[17:18]
	v_fma_f64 v[19:20], v[67:68], v[81:82], v[19:20]
	s_wait_loadcnt 0x2
	v_fma_f64 v[27:28], v[61:62], v[83:84], v[27:28]
	v_fma_f64 v[23:24], v[83:84], 0, v[23:24]
	v_fma_f64 v[33:34], v[53:54], v[83:84], v[33:34]
	v_fma_f64 v[31:32], v[83:84], 0, v[31:32]
	v_fma_f64 v[25:26], v[77:78], v[83:84], v[25:26]
	v_fma_f64 v[29:30], v[83:84], 0, v[29:30]
	v_fma_f64 v[17:18], v[69:70], v[83:84], v[17:18]
	v_fma_f64 v[19:20], v[83:84], 0, v[19:20]
	v_fma_f64 v[27:28], 0x80000000, v[85:86], v[27:28]
	v_fma_f64 v[23:24], v[61:62], v[85:86], v[23:24]
	v_fma_f64 v[33:34], 0x80000000, v[85:86], v[33:34]
	v_fma_f64 v[31:32], v[53:54], v[85:86], v[31:32]
	v_fma_f64 v[25:26], 0x80000000, v[85:86], v[25:26]
	v_fma_f64 v[29:30], v[77:78], v[85:86], v[29:30]
	v_fma_f64 v[17:18], 0x80000000, v[85:86], v[17:18]
	v_fma_f64 v[19:20], v[69:70], v[85:86], v[19:20]
	;; [unrolled: 17-line block ×4, first 2 shown]
	s_wait_alu 0xfffe
	s_and_not1_b32 exec_lo, exec_lo, s10
	s_cbranch_execnz .LBB147_17
; %bb.18:
	s_or_b32 exec_lo, exec_lo, s10
.LBB147_19:
	s_wait_alu 0xfffe
	s_or_b32 exec_lo, exec_lo, s7
	s_delay_alu instid0(SALU_CYCLE_1)
	s_mov_b32 s7, exec_lo
	v_cmpx_lt_u64_e32 47, v[41:42]
	s_cbranch_execz .LBB147_23
; %bb.20:
	v_lshlrev_b64_e32 v[41:42], 3, v[37:38]
	s_mov_b32 s10, 0
	s_delay_alu instid0(VALU_DEP_1) | instskip(SKIP_1) | instid1(VALU_DEP_2)
	v_add_co_u32 v41, vcc_lo, s8, v41
	s_wait_alu 0xfffd
	v_add_co_ci_u32_e64 v42, null, s9, v42, vcc_lo
	s_delay_alu instid0(VALU_DEP_2) | instskip(SKIP_1) | instid1(VALU_DEP_2)
	v_add_co_u32 v41, vcc_lo, 0x100, v41
	s_wait_alu 0xfffd
	v_add_co_ci_u32_e64 v42, null, 0, v42, vcc_lo
.LBB147_21:                             ; =>This Inner Loop Header: Depth=1
	s_clause 0x1
	global_load_b64 v[59:60], v[41:42], off offset:-256
	global_load_b64 v[107:108], v[41:42], off offset:-128
	s_clause 0x3
	global_load_b128 v[43:46], v[39:40], off offset:32
	global_load_b128 v[47:50], v[39:40], off
	global_load_b128 v[51:54], v[39:40], off offset:96
	global_load_b128 v[55:58], v[39:40], off offset:64
	s_clause 0x1
	global_load_b64 v[111:112], v[41:42], off
	global_load_b64 v[113:114], v[41:42], off offset:128
	v_add_co_u32 v41, s3, 0x200, v41
	s_wait_alu 0xf1ff
	v_add_co_ci_u32_e64 v42, null, 0, v42, s3
	s_wait_loadcnt 0x7
	v_sub_co_u32 v59, vcc_lo, v59, v9
	s_wait_alu 0xfffd
	v_sub_co_ci_u32_e64 v60, null, v60, v10, vcc_lo
	s_delay_alu instid0(VALU_DEP_1) | instskip(SKIP_1) | instid1(VALU_DEP_1)
	v_lshlrev_b64_e32 v[59:60], 6, v[59:60]
	s_wait_kmcnt 0x0
	v_add_co_u32 v87, vcc_lo, s4, v59
	s_wait_alu 0xfffd
	s_delay_alu instid0(VALU_DEP_2)
	v_add_co_ci_u32_e64 v88, null, s5, v60, vcc_lo
	s_wait_loadcnt 0x6
	v_sub_co_u32 v107, vcc_lo, v107, v9
	s_wait_alu 0xfffd
	v_sub_co_ci_u32_e64 v108, null, v108, v10, vcc_lo
	s_clause 0x1
	global_load_b128 v[59:62], v[87:88], off
	global_load_b128 v[63:66], v[87:88], off offset:16
	s_clause 0x3
	global_load_b128 v[67:70], v[39:40], off offset:48
	global_load_b128 v[71:74], v[39:40], off offset:16
	;; [unrolled: 1-line block ×4, first 2 shown]
	s_clause 0x1
	global_load_b128 v[83:86], v[87:88], off offset:32
	global_load_b128 v[87:90], v[87:88], off offset:48
	s_clause 0x3
	global_load_b128 v[91:94], v[39:40], off offset:2080
	global_load_b128 v[95:98], v[39:40], off offset:2048
	global_load_b128 v[99:102], v[39:40], off offset:2144
	global_load_b128 v[103:106], v[39:40], off offset:2112
	v_lshlrev_b64_e32 v[107:108], 6, v[107:108]
	s_delay_alu instid0(VALU_DEP_1) | instskip(SKIP_1) | instid1(VALU_DEP_2)
	v_add_co_u32 v115, vcc_lo, s4, v107
	s_wait_alu 0xfffd
	v_add_co_ci_u32_e64 v116, null, s5, v108, vcc_lo
	s_wait_loadcnt 0xd
	v_sub_co_u32 v111, vcc_lo, v111, v9
	s_wait_alu 0xfffd
	v_sub_co_ci_u32_e64 v112, null, v112, v10, vcc_lo
	global_load_b128 v[107:110], v[115:116], off
	s_wait_loadcnt 0xc
	v_fma_f64 v[23:24], v[59:60], 0, v[23:24]
	v_fma_f64 v[31:32], v[59:60], 0, v[31:32]
	;; [unrolled: 1-line block ×16, first 2 shown]
	global_load_b128 v[17:20], v[115:116], off offset:16
	s_wait_loadcnt 0xc
	v_fma_f64 v[23:24], v[63:64], 0, v[23:24]
	v_fma_f64 v[31:32], v[63:64], 0, v[31:32]
	;; [unrolled: 1-line block ×16, first 2 shown]
	s_clause 0x3
	global_load_b128 v[23:26], v[39:40], off offset:2096
	global_load_b128 v[27:30], v[39:40], off offset:2064
	;; [unrolled: 1-line block ×5, first 2 shown]
	s_wait_loadcnt 0xc
	v_fma_f64 v[51:52], v[83:84], 0, v[51:52]
	v_fma_f64 v[55:56], v[83:84], 0, v[55:56]
	;; [unrolled: 1-line block ×16, first 2 shown]
	global_load_b128 v[51:54], v[115:116], off offset:48
	s_wait_loadcnt 0xc
	v_fma_f64 v[71:72], v[87:88], 0, v[71:72]
	v_fma_f64 v[75:76], v[87:88], 0, v[55:56]
	;; [unrolled: 1-line block ×8, first 2 shown]
	s_clause 0x3
	global_load_b128 v[55:58], v[39:40], off offset:4128
	global_load_b128 v[59:62], v[39:40], off offset:4096
	;; [unrolled: 1-line block ×4, first 2 shown]
	v_fma_f64 v[71:72], v[73:74], v[89:90], v[71:72]
	v_fma_f64 v[73:74], v[69:70], v[89:90], v[75:76]
	;; [unrolled: 1-line block ×8, first 2 shown]
	v_lshlrev_b64_e32 v[67:68], 6, v[111:112]
	s_delay_alu instid0(VALU_DEP_1) | instskip(SKIP_1) | instid1(VALU_DEP_2)
	v_add_co_u32 v111, vcc_lo, s4, v67
	s_wait_alu 0xfffd
	v_add_co_ci_u32_e64 v112, null, s5, v68, vcc_lo
	v_sub_co_u32 v113, vcc_lo, v113, v9
	s_wait_alu 0xfffd
	v_sub_co_ci_u32_e64 v114, null, v114, v10, vcc_lo
	global_load_b128 v[67:70], v[111:112], off
	s_wait_loadcnt 0xc
	v_fma_f64 v[71:72], v[107:108], 0, v[71:72]
	v_fma_f64 v[73:74], v[107:108], 0, v[73:74]
	;; [unrolled: 1-line block ×16, first 2 shown]
	global_load_b128 v[71:74], v[111:112], off offset:16
	s_wait_loadcnt 0xc
	v_fma_f64 v[95:96], v[17:18], 0, v[95:96]
	v_fma_f64 v[91:92], v[17:18], 0, v[91:92]
	;; [unrolled: 1-line block ×16, first 2 shown]
	s_clause 0x3
	global_load_b128 v[17:20], v[39:40], off offset:4144
	global_load_b128 v[75:78], v[39:40], off offset:4112
	;; [unrolled: 1-line block ×5, first 2 shown]
	s_wait_loadcnt 0xc
	v_fma_f64 v[95:96], v[47:48], 0, v[95:96]
	v_fma_f64 v[97:98], v[47:48], 0, v[97:98]
	;; [unrolled: 1-line block ×16, first 2 shown]
	global_load_b128 v[47:50], v[111:112], off offset:48
	s_wait_loadcnt 0xc
	v_fma_f64 v[27:28], v[51:52], 0, v[27:28]
	v_fma_f64 v[23:24], v[51:52], 0, v[23:24]
	;; [unrolled: 1-line block ×8, first 2 shown]
	s_clause 0x3
	global_load_b128 v[95:98], v[39:40], off offset:6176
	global_load_b128 v[99:102], v[39:40], off offset:6144
	;; [unrolled: 1-line block ×4, first 2 shown]
	v_fma_f64 v[27:28], v[29:30], v[53:54], v[27:28]
	v_fma_f64 v[29:30], v[25:26], v[53:54], v[23:24]
	;; [unrolled: 1-line block ×8, first 2 shown]
	v_lshlrev_b64_e32 v[23:24], 6, v[113:114]
	s_delay_alu instid0(VALU_DEP_1) | instskip(SKIP_1) | instid1(VALU_DEP_2)
	v_add_co_u32 v113, vcc_lo, s4, v23
	s_wait_alu 0xfffd
	v_add_co_ci_u32_e64 v114, null, s5, v24, vcc_lo
	v_add_co_u32 v37, vcc_lo, v37, 64
	s_wait_alu 0xfffd
	v_add_co_ci_u32_e64 v38, null, 0, v38, vcc_lo
	global_load_b128 v[23:26], v[113:114], off
	s_wait_loadcnt 0xc
	v_fma_f64 v[27:28], v[67:68], 0, v[27:28]
	v_fma_f64 v[29:30], v[67:68], 0, v[29:30]
	;; [unrolled: 1-line block ×16, first 2 shown]
	global_load_b128 v[27:30], v[113:114], off offset:16
	s_wait_loadcnt 0xc
	v_fma_f64 v[59:60], v[71:72], 0, v[59:60]
	v_fma_f64 v[55:56], v[71:72], 0, v[55:56]
	;; [unrolled: 1-line block ×16, first 2 shown]
	s_clause 0x3
	global_load_b128 v[43:46], v[39:40], off offset:6192
	global_load_b128 v[31:34], v[39:40], off offset:6160
	;; [unrolled: 1-line block ×5, first 2 shown]
	v_add_co_u32 v39, vcc_lo, 0x2000, v39
	s_wait_alu 0xfffd
	v_add_co_ci_u32_e64 v40, null, 0, v40, vcc_lo
	v_cmp_ge_i64_e32 vcc_lo, v[37:38], v[13:14]
	s_wait_alu 0xfffe
	s_or_b32 s10, vcc_lo, s10
	s_wait_loadcnt 0xc
	v_fma_f64 v[67:68], v[91:92], 0, v[67:68]
	v_fma_f64 v[71:72], v[91:92], 0, v[71:72]
	;; [unrolled: 1-line block ×16, first 2 shown]
	global_load_b128 v[63:66], v[113:114], off offset:48
	s_wait_loadcnt 0xc
	v_fma_f64 v[67:68], v[47:48], 0, v[67:68]
	v_fma_f64 v[17:18], v[47:48], 0, v[17:18]
	v_fma_f64 v[83:84], v[77:78], v[47:48], v[91:92]
	v_fma_f64 v[69:70], v[19:20], v[47:48], v[69:70]
	v_fma_f64 v[71:72], v[89:90], v[47:48], v[71:72]
	v_fma_f64 v[73:74], v[47:48], 0, v[73:74]
	v_fma_f64 v[75:76], v[81:82], v[47:48], v[75:76]
	v_fma_f64 v[47:48], v[47:48], 0, v[79:80]
	v_fma_f64 v[67:68], v[77:78], v[49:50], v[67:68]
	v_fma_f64 v[17:18], v[19:20], v[49:50], v[17:18]
	v_fma_f64 v[79:80], 0x80000000, v[49:50], v[83:84]
	v_fma_f64 v[69:70], 0x80000000, v[49:50], v[69:70]
	v_fma_f64 v[19:20], 0x80000000, v[49:50], v[71:72]
	v_fma_f64 v[71:72], v[89:90], v[49:50], v[73:74]
	v_fma_f64 v[73:74], 0x80000000, v[49:50], v[75:76]
	v_fma_f64 v[47:48], v[81:82], v[49:50], v[47:48]
	s_wait_loadcnt 0x7
	v_fma_f64 v[67:68], v[23:24], 0, v[67:68]
	v_fma_f64 v[17:18], v[23:24], 0, v[17:18]
	v_fma_f64 v[49:50], v[99:100], v[23:24], v[79:80]
	v_fma_f64 v[69:70], v[95:96], v[23:24], v[69:70]
	v_fma_f64 v[19:20], v[107:108], v[23:24], v[19:20]
	v_fma_f64 v[71:72], v[23:24], 0, v[71:72]
	v_fma_f64 v[73:74], v[103:104], v[23:24], v[73:74]
	v_fma_f64 v[23:24], v[23:24], 0, v[47:48]
	v_fma_f64 v[17:18], v[95:96], v[25:26], v[17:18]
	v_fma_f64 v[47:48], 0x80000000, v[25:26], v[49:50]
	v_fma_f64 v[49:50], v[99:100], v[25:26], v[67:68]
	v_fma_f64 v[67:68], 0x80000000, v[25:26], v[69:70]
	v_fma_f64 v[19:20], 0x80000000, v[25:26], v[19:20]
	v_fma_f64 v[69:70], v[107:108], v[25:26], v[71:72]
	v_fma_f64 v[71:72], 0x80000000, v[25:26], v[73:74]
	v_fma_f64 v[23:24], v[103:104], v[25:26], v[23:24]
	;; [unrolled: 17-line block ×5, first 2 shown]
	s_wait_alu 0xfffe
	s_and_not1_b32 exec_lo, exec_lo, s10
	s_cbranch_execnz .LBB147_21
; %bb.22:
	s_or_b32 exec_lo, exec_lo, s10
.LBB147_23:
	s_wait_alu 0xfffe
	s_or_b32 exec_lo, exec_lo, s7
.LBB147_24:
	s_wait_alu 0xfffe
	s_or_b32 exec_lo, exec_lo, s6
	s_cbranch_execz .LBB147_26
	s_branch .LBB147_37
.LBB147_25:
                                        ; implicit-def: $vgpr23_vgpr24
                                        ; implicit-def: $vgpr27_vgpr28
                                        ; implicit-def: $vgpr31_vgpr32
                                        ; implicit-def: $vgpr33_vgpr34
                                        ; implicit-def: $vgpr29_vgpr30
                                        ; implicit-def: $vgpr25_vgpr26
                                        ; implicit-def: $vgpr19_vgpr20
                                        ; implicit-def: $vgpr17_vgpr18
.LBB147_26:
	v_mov_b32_e32 v23, 0
	v_mov_b32_e32 v31, 0
	v_mov_b32_e32 v29, 0
	v_dual_mov_b32 v19, 0 :: v_dual_mov_b32 v24, 0
	v_dual_mov_b32 v27, 0 :: v_dual_mov_b32 v32, 0
	;; [unrolled: 1-line block ×5, first 2 shown]
	v_mov_b32_e32 v34, 0
	v_mov_b32_e32 v26, 0
	;; [unrolled: 1-line block ×3, first 2 shown]
	s_and_saveexec_b32 s3, s2
	s_cbranch_execz .LBB147_36
; %bb.27:
	v_or_b32_e32 v17, 16, v0
	v_not_b32_e32 v20, v35
	v_sub_co_u32 v23, s2, v9, v0
	v_not_b32_e32 v19, v36
	s_delay_alu instid0(VALU_DEP_4)
	v_sub_co_u32 v17, vcc_lo, v17, v9
	s_wait_alu 0xfffd
	v_sub_co_ci_u32_e64 v18, null, 0, v10, vcc_lo
	s_wait_alu 0xf1ff
	v_subrev_co_ci_u32_e64 v25, null, 0, v10, s2
	v_add_co_u32 v17, vcc_lo, v17, v35
	s_wait_alu 0xfffd
	v_add_co_ci_u32_e64 v18, null, v18, v36, vcc_lo
	v_add_co_u32 v20, s2, v23, v20
	s_wait_alu 0xf1ff
	v_add_co_ci_u32_e64 v27, null, v25, v19, s2
	s_delay_alu instid0(VALU_DEP_3)
	v_cmp_gt_i64_e32 vcc_lo, v[17:18], v[13:14]
	v_dual_mov_b32 v24, 0 :: v_dual_mov_b32 v29, 0
	v_dual_mov_b32 v31, 0 :: v_dual_mov_b32 v30, 0
	s_wait_alu 0xfffd
	v_dual_mov_b32 v33, 0 :: v_dual_cndmask_b32 v26, v13, v17
	v_cndmask_b32_e32 v23, v14, v18, vcc_lo
	v_mov_b32_e32 v17, 0
	v_mov_b32_e32 v18, 0
	;; [unrolled: 1-line block ×3, first 2 shown]
	v_add_co_u32 v35, vcc_lo, v20, v26
	v_mov_b32_e32 v19, 0
	v_dual_mov_b32 v20, 0 :: v_dual_mov_b32 v25, 0
	v_mov_b32_e32 v26, 0
	s_wait_alu 0xfffd
	v_add_co_ci_u32_e64 v36, null, v27, v23, vcc_lo
	v_and_b32_e32 v23, 48, v35
	v_dual_mov_b32 v27, 0 :: v_dual_mov_b32 v34, 0
	v_mov_b32_e32 v28, 0
	s_delay_alu instid0(VALU_DEP_3)
	v_cmp_ne_u64_e32 vcc_lo, 48, v[23:24]
	v_mov_b32_e32 v23, 0
	v_mov_b32_e32 v24, 0
	s_and_saveexec_b32 s6, vcc_lo
	s_cbranch_execz .LBB147_31
; %bb.28:
	v_lshrrev_b32_e32 v19, 4, v35
	v_mov_b32_e32 v31, 0
	v_mov_b32_e32 v32, 0
	v_lshlrev_b64_e32 v[17:18], 3, v[11:12]
	v_mov_b32_e32 v29, 0
	v_add_nc_u32_e32 v19, 1, v19
	v_mov_b32_e32 v23, 0
	v_dual_mov_b32 v24, 0 :: v_dual_mov_b32 v27, 0
	v_add_co_u32 v37, vcc_lo, s8, v17
	s_delay_alu instid0(VALU_DEP_4) | instskip(SKIP_3) | instid1(VALU_DEP_3)
	v_dual_mov_b32 v30, 0 :: v_dual_and_b32 v39, 3, v19
	s_wait_alu 0xfffd
	v_add_co_ci_u32_e64 v38, null, s9, v18, vcc_lo
	v_mov_b32_e32 v33, 0
	v_sub_co_u32 v39, s2, 0, v39
	v_mov_b32_e32 v25, 0
	v_mov_b32_e32 v19, 0
	v_dual_mov_b32 v17, 0 :: v_dual_mov_b32 v28, 0
	v_mov_b32_e32 v34, 0
	v_mov_b32_e32 v26, 0
	v_mov_b32_e32 v20, 0
	v_mov_b32_e32 v18, 0
	s_wait_alu 0xf1ff
	v_sub_co_ci_u32_e64 v40, null, 0, 0, s2
	s_mov_b32 s7, 0
.LBB147_29:                             ; =>This Inner Loop Header: Depth=1
	global_load_b64 v[49:50], v[37:38], off
	s_clause 0x1
	global_load_b128 v[41:44], v[15:16], off offset:16
	global_load_b128 v[45:48], v[15:16], off
	v_add_co_u32 v37, s2, 0x80, v37
	s_wait_alu 0xf1ff
	v_add_co_ci_u32_e64 v38, null, 0, v38, s2
	s_wait_loadcnt 0x2
	v_sub_co_u32 v49, vcc_lo, v49, v9
	s_wait_alu 0xfffd
	v_sub_co_ci_u32_e64 v50, null, v50, v10, vcc_lo
	s_delay_alu instid0(VALU_DEP_1) | instskip(SKIP_1) | instid1(VALU_DEP_1)
	v_lshlrev_b64_e32 v[49:50], 6, v[49:50]
	s_wait_kmcnt 0x0
	v_add_co_u32 v77, vcc_lo, s4, v49
	s_wait_alu 0xfffd
	s_delay_alu instid0(VALU_DEP_2)
	v_add_co_ci_u32_e64 v78, null, s5, v50, vcc_lo
	s_clause 0x1
	global_load_b128 v[49:52], v[77:78], off
	global_load_b128 v[53:56], v[77:78], off offset:16
	s_clause 0x3
	global_load_b128 v[57:60], v[15:16], off offset:32
	global_load_b128 v[61:64], v[15:16], off offset:48
	global_load_b128 v[65:68], v[15:16], off offset:80
	global_load_b128 v[69:72], v[15:16], off offset:64
	s_clause 0x1
	global_load_b128 v[73:76], v[77:78], off offset:32
	global_load_b128 v[77:80], v[77:78], off offset:48
	s_clause 0x1
	global_load_b128 v[81:84], v[15:16], off offset:96
	global_load_b128 v[85:88], v[15:16], off offset:112
	v_add_co_u32 v15, vcc_lo, 0x800, v15
	s_wait_alu 0xfffd
	v_add_co_ci_u32_e64 v16, null, 0, v16, vcc_lo
	v_add_co_u32 v39, vcc_lo, v39, 1
	s_wait_alu 0xfffd
	v_add_co_ci_u32_e64 v40, null, 0, v40, vcc_lo
	v_add_co_u32 v11, vcc_lo, v11, 16
	s_wait_alu 0xfffd
	v_add_co_ci_u32_e64 v12, null, 0, v12, vcc_lo
	s_delay_alu instid0(VALU_DEP_3)
	v_cmp_eq_u64_e32 vcc_lo, 0, v[39:40]
	s_wait_alu 0xfffe
	s_or_b32 s7, vcc_lo, s7
	s_wait_loadcnt 0x9
	v_fma_f64 v[27:28], v[45:46], v[49:50], v[27:28]
	v_fma_f64 v[23:24], v[49:50], 0, v[23:24]
	;; [unrolled: 1-line block ×16, first 2 shown]
	s_wait_loadcnt 0x7
	v_fma_f64 v[27:28], v[57:58], v[53:54], v[27:28]
	v_fma_f64 v[23:24], v[53:54], 0, v[23:24]
	;; [unrolled: 1-line block ×4, first 2 shown]
	s_wait_loadcnt 0x6
	v_fma_f64 v[25:26], v[61:62], v[53:54], v[25:26]
	v_fma_f64 v[29:30], v[53:54], 0, v[29:30]
	;; [unrolled: 1-line block ×12, first 2 shown]
	s_wait_loadcnt 0x3
	v_fma_f64 v[27:28], v[69:70], v[73:74], v[27:28]
	v_fma_f64 v[23:24], v[73:74], 0, v[23:24]
	;; [unrolled: 1-line block ×16, first 2 shown]
	s_wait_loadcnt 0x1
	v_fma_f64 v[27:28], v[81:82], v[77:78], v[27:28]
	v_fma_f64 v[23:24], v[77:78], 0, v[23:24]
	;; [unrolled: 1-line block ×4, first 2 shown]
	s_wait_loadcnt 0x0
	v_fma_f64 v[25:26], v[85:86], v[77:78], v[25:26]
	v_fma_f64 v[29:30], v[77:78], 0, v[29:30]
	;; [unrolled: 1-line block ×12, first 2 shown]
	s_wait_alu 0xfffe
	s_and_not1_b32 exec_lo, exec_lo, s7
	s_cbranch_execnz .LBB147_29
; %bb.30:
	s_or_b32 exec_lo, exec_lo, s7
.LBB147_31:
	s_wait_alu 0xfffe
	s_or_b32 exec_lo, exec_lo, s6
	s_delay_alu instid0(SALU_CYCLE_1)
	s_mov_b32 s6, exec_lo
	v_cmpx_lt_u64_e32 47, v[35:36]
	s_cbranch_execz .LBB147_35
; %bb.32:
	v_lshlrev_b64_e32 v[35:36], 3, v[11:12]
	s_mov_b32 s7, 0
	s_delay_alu instid0(VALU_DEP_1) | instskip(SKIP_1) | instid1(VALU_DEP_2)
	v_add_co_u32 v35, vcc_lo, s8, v35
	s_wait_alu 0xfffd
	v_add_co_ci_u32_e64 v36, null, s9, v36, vcc_lo
	s_delay_alu instid0(VALU_DEP_2) | instskip(SKIP_1) | instid1(VALU_DEP_2)
	v_add_co_u32 v35, vcc_lo, 0x100, v35
	s_wait_alu 0xfffd
	v_add_co_ci_u32_e64 v36, null, 0, v36, vcc_lo
.LBB147_33:                             ; =>This Inner Loop Header: Depth=1
	s_clause 0x1
	global_load_b64 v[45:46], v[35:36], off offset:-256
	global_load_b64 v[93:94], v[35:36], off offset:-128
	s_clause 0x1
	global_load_b128 v[37:40], v[15:16], off offset:16
	global_load_b128 v[41:44], v[15:16], off
	s_clause 0x1
	global_load_b64 v[101:102], v[35:36], off
	global_load_b64 v[103:104], v[35:36], off offset:128
	v_add_co_u32 v35, s2, 0x200, v35
	s_wait_alu 0xf1ff
	v_add_co_ci_u32_e64 v36, null, 0, v36, s2
	s_wait_loadcnt 0x5
	v_sub_co_u32 v45, vcc_lo, v45, v9
	s_wait_alu 0xfffd
	v_sub_co_ci_u32_e64 v46, null, v46, v10, vcc_lo
	s_delay_alu instid0(VALU_DEP_1) | instskip(SKIP_1) | instid1(VALU_DEP_1)
	v_lshlrev_b64_e32 v[45:46], 6, v[45:46]
	s_wait_kmcnt 0x0
	v_add_co_u32 v73, vcc_lo, s4, v45
	s_wait_alu 0xfffd
	s_delay_alu instid0(VALU_DEP_2)
	v_add_co_ci_u32_e64 v74, null, s5, v46, vcc_lo
	s_wait_loadcnt 0x4
	v_sub_co_u32 v93, vcc_lo, v93, v9
	s_wait_alu 0xfffd
	v_sub_co_ci_u32_e64 v94, null, v94, v10, vcc_lo
	s_clause 0x1
	global_load_b128 v[45:48], v[73:74], off
	global_load_b128 v[49:52], v[73:74], off offset:16
	s_clause 0x3
	global_load_b128 v[53:56], v[15:16], off offset:32
	global_load_b128 v[57:60], v[15:16], off offset:48
	;; [unrolled: 1-line block ×4, first 2 shown]
	s_clause 0x1
	global_load_b128 v[69:72], v[73:74], off offset:32
	global_load_b128 v[73:76], v[73:74], off offset:48
	s_clause 0x3
	global_load_b128 v[77:80], v[15:16], off offset:96
	global_load_b128 v[81:84], v[15:16], off offset:112
	;; [unrolled: 1-line block ×4, first 2 shown]
	v_lshlrev_b64_e32 v[93:94], 6, v[93:94]
	s_delay_alu instid0(VALU_DEP_1) | instskip(SKIP_1) | instid1(VALU_DEP_2)
	v_add_co_u32 v105, vcc_lo, s4, v93
	s_wait_alu 0xfffd
	v_add_co_ci_u32_e64 v106, null, s5, v94, vcc_lo
	s_clause 0x1
	global_load_b128 v[93:96], v[105:106], off
	global_load_b128 v[97:100], v[105:106], off offset:16
	s_wait_loadcnt 0xd
	v_fma_f64 v[27:28], v[41:42], v[45:46], v[27:28]
	v_fma_f64 v[23:24], v[45:46], 0, v[23:24]
	v_fma_f64 v[33:34], v[43:44], v[45:46], v[33:34]
	v_fma_f64 v[31:32], v[45:46], 0, v[31:32]
	v_fma_f64 v[25:26], v[37:38], v[45:46], v[25:26]
	v_fma_f64 v[29:30], v[45:46], 0, v[29:30]
	v_fma_f64 v[17:18], v[39:40], v[45:46], v[17:18]
	v_fma_f64 v[19:20], v[45:46], 0, v[19:20]
	v_fma_f64 v[27:28], 0x80000000, v[47:48], v[27:28]
	v_fma_f64 v[41:42], v[41:42], v[47:48], v[23:24]
	v_fma_f64 v[33:34], 0x80000000, v[47:48], v[33:34]
	v_fma_f64 v[31:32], v[43:44], v[47:48], v[31:32]
	v_fma_f64 v[43:44], 0x80000000, v[47:48], v[25:26]
	v_fma_f64 v[29:30], v[37:38], v[47:48], v[29:30]
	v_fma_f64 v[37:38], 0x80000000, v[47:48], v[17:18]
	v_fma_f64 v[39:40], v[39:40], v[47:48], v[19:20]
	s_clause 0x1
	global_load_b128 v[17:20], v[15:16], off offset:2080
	global_load_b128 v[23:26], v[15:16], off offset:2096
	s_wait_loadcnt 0xd
	v_fma_f64 v[27:28], v[53:54], v[49:50], v[27:28]
	v_fma_f64 v[41:42], v[49:50], 0, v[41:42]
	;; [unrolled: 1-line block ×4, first 2 shown]
	s_wait_loadcnt 0xc
	v_fma_f64 v[43:44], v[57:58], v[49:50], v[43:44]
	v_fma_f64 v[29:30], v[49:50], 0, v[29:30]
	;; [unrolled: 1-line block ×12, first 2 shown]
	s_clause 0x1
	global_load_b128 v[27:30], v[15:16], off offset:2128
	global_load_b128 v[31:34], v[15:16], off offset:2112
	s_clause 0x1
	global_load_b128 v[37:40], v[105:106], off offset:32
	global_load_b128 v[41:44], v[105:106], off offset:48
	s_wait_loadcnt 0xd
	v_fma_f64 v[45:46], v[65:66], v[69:70], v[45:46]
	v_fma_f64 v[47:48], v[69:70], 0, v[47:48]
	;; [unrolled: 1-line block ×16, first 2 shown]
	s_clause 0x1
	global_load_b128 v[45:48], v[15:16], off offset:2144
	global_load_b128 v[49:52], v[15:16], off offset:2160
	s_wait_loadcnt 0xd
	v_fma_f64 v[63:64], v[77:78], v[73:74], v[69:70]
	v_fma_f64 v[65:66], v[73:74], 0, v[65:66]
	;; [unrolled: 1-line block ×4, first 2 shown]
	s_wait_loadcnt 0xc
	v_fma_f64 v[71:72], v[81:82], v[73:74], v[55:56]
	v_fma_f64 v[105:106], v[73:74], 0, v[57:58]
	v_fma_f64 v[107:108], v[83:84], v[73:74], v[59:60]
	v_fma_f64 v[61:62], v[73:74], 0, v[61:62]
	v_sub_co_u32 v73, vcc_lo, v101, v9
	s_wait_alu 0xfffd
	v_sub_co_ci_u32_e64 v74, null, v102, v10, vcc_lo
	s_clause 0x1
	global_load_b128 v[53:56], v[15:16], off offset:4112
	global_load_b128 v[57:60], v[15:16], off offset:4096
	v_fma_f64 v[109:110], 0x80000000, v[75:76], v[63:64]
	v_fma_f64 v[77:78], v[77:78], v[75:76], v[65:66]
	;; [unrolled: 1-line block ×8, first 2 shown]
	v_lshlrev_b64_e32 v[61:62], 6, v[73:74]
	s_delay_alu instid0(VALU_DEP_1) | instskip(SKIP_1) | instid1(VALU_DEP_2)
	v_add_co_u32 v83, vcc_lo, s4, v61
	s_wait_alu 0xfffd
	v_add_co_ci_u32_e64 v84, null, s5, v62, vcc_lo
	s_clause 0x1
	global_load_b128 v[61:64], v[83:84], off
	global_load_b128 v[65:68], v[83:84], off offset:16
	v_sub_co_u32 v103, vcc_lo, v103, v9
	s_wait_alu 0xfffd
	v_sub_co_ci_u32_e64 v104, null, v104, v10, vcc_lo
	s_wait_loadcnt 0xd
	v_fma_f64 v[73:74], v[89:90], v[93:94], v[109:110]
	v_fma_f64 v[77:78], v[93:94], 0, v[77:78]
	;; [unrolled: 1-line block ×16, first 2 shown]
	s_clause 0x1
	global_load_b128 v[69:72], v[15:16], off offset:4128
	global_load_b128 v[73:76], v[15:16], off offset:4144
	s_wait_loadcnt 0xd
	v_fma_f64 v[87:88], v[17:18], v[97:98], v[93:94]
	v_fma_f64 v[77:78], v[97:98], 0, v[77:78]
	;; [unrolled: 1-line block ×4, first 2 shown]
	s_wait_loadcnt 0xc
	v_fma_f64 v[93:94], v[23:24], v[97:98], v[101:102]
	v_fma_f64 v[79:80], v[97:98], 0, v[79:80]
	;; [unrolled: 1-line block ×12, first 2 shown]
	s_clause 0x1
	global_load_b128 v[17:20], v[15:16], off offset:4176
	global_load_b128 v[23:26], v[15:16], off offset:4160
	s_clause 0x1
	global_load_b128 v[77:80], v[83:84], off offset:32
	global_load_b128 v[81:84], v[83:84], off offset:48
	s_wait_loadcnt 0xd
	v_fma_f64 v[87:88], v[31:32], v[37:38], v[87:88]
	v_fma_f64 v[95:96], v[37:38], 0, v[95:96]
	v_fma_f64 v[89:90], v[33:34], v[37:38], v[89:90]
	v_fma_f64 v[91:92], v[37:38], 0, v[91:92]
	v_fma_f64 v[93:94], v[27:28], v[37:38], v[93:94]
	v_fma_f64 v[97:98], v[37:38], 0, v[97:98]
	v_fma_f64 v[99:100], v[29:30], v[37:38], v[101:102]
	v_fma_f64 v[37:38], v[37:38], 0, v[85:86]
	v_fma_f64 v[85:86], 0x80000000, v[39:40], v[87:88]
	v_fma_f64 v[87:88], v[31:32], v[39:40], v[95:96]
	v_fma_f64 v[89:90], 0x80000000, v[39:40], v[89:90]
	v_fma_f64 v[91:92], v[33:34], v[39:40], v[91:92]
	v_fma_f64 v[93:94], 0x80000000, v[39:40], v[93:94]
	v_fma_f64 v[95:96], v[27:28], v[39:40], v[97:98]
	v_fma_f64 v[97:98], 0x80000000, v[39:40], v[99:100]
	v_fma_f64 v[37:38], v[29:30], v[39:40], v[37:38]
	s_clause 0x1
	global_load_b128 v[27:30], v[15:16], off offset:4192
	global_load_b128 v[31:34], v[15:16], off offset:4208
	s_wait_loadcnt 0xd
	v_fma_f64 v[99:100], v[45:46], v[41:42], v[85:86]
	v_fma_f64 v[101:102], v[41:42], 0, v[87:88]
	v_fma_f64 v[89:90], v[47:48], v[41:42], v[89:90]
	v_fma_f64 v[91:92], v[41:42], 0, v[91:92]
	s_wait_loadcnt 0xc
	v_fma_f64 v[93:94], v[49:50], v[41:42], v[93:94]
	v_fma_f64 v[95:96], v[41:42], 0, v[95:96]
	;; [unrolled: 1-line block ×4, first 2 shown]
	s_clause 0x1
	global_load_b128 v[37:40], v[15:16], off offset:6160
	global_load_b128 v[85:88], v[15:16], off offset:6144
	v_fma_f64 v[99:100], 0x80000000, v[43:44], v[99:100]
	v_fma_f64 v[101:102], v[45:46], v[43:44], v[101:102]
	;; [unrolled: 1-line block ×8, first 2 shown]
	v_lshlrev_b64_e32 v[41:42], 6, v[103:104]
	s_delay_alu instid0(VALU_DEP_1) | instskip(SKIP_1) | instid1(VALU_DEP_2)
	v_add_co_u32 v97, vcc_lo, s4, v41
	s_wait_alu 0xfffd
	v_add_co_ci_u32_e64 v98, null, s5, v42, vcc_lo
	s_clause 0x1
	global_load_b128 v[41:44], v[97:98], off
	global_load_b128 v[45:48], v[97:98], off offset:16
	v_add_co_u32 v11, vcc_lo, v11, 64
	s_wait_alu 0xfffd
	v_add_co_ci_u32_e64 v12, null, 0, v12, vcc_lo
	s_wait_loadcnt 0xd
	v_fma_f64 v[99:100], v[57:58], v[61:62], v[99:100]
	v_fma_f64 v[101:102], v[61:62], 0, v[101:102]
	;; [unrolled: 1-line block ×16, first 2 shown]
	s_clause 0x1
	global_load_b128 v[49:52], v[15:16], off offset:6176
	global_load_b128 v[53:56], v[15:16], off offset:6192
	s_wait_loadcnt 0xd
	v_fma_f64 v[61:62], v[69:70], v[65:66], v[61:62]
	v_fma_f64 v[57:58], v[65:66], 0, v[57:58]
	;; [unrolled: 1-line block ×4, first 2 shown]
	s_wait_loadcnt 0xc
	v_fma_f64 v[91:92], v[73:74], v[65:66], v[91:92]
	v_fma_f64 v[93:94], v[65:66], 0, v[93:94]
	;; [unrolled: 1-line block ×12, first 2 shown]
	s_clause 0x1
	global_load_b128 v[57:60], v[15:16], off offset:6224
	global_load_b128 v[61:64], v[15:16], off offset:6208
	s_clause 0x1
	global_load_b128 v[65:68], v[97:98], off offset:32
	global_load_b128 v[69:72], v[97:98], off offset:48
	s_wait_loadcnt 0xd
	v_fma_f64 v[95:96], v[23:24], v[77:78], v[99:100]
	v_fma_f64 v[97:98], v[77:78], 0, v[101:102]
	;; [unrolled: 1-line block ×16, first 2 shown]
	s_clause 0x1
	global_load_b128 v[17:20], v[15:16], off offset:6240
	global_load_b128 v[73:76], v[15:16], off offset:6256
	v_add_co_u32 v15, vcc_lo, 0x2000, v15
	s_wait_alu 0xfffd
	v_add_co_ci_u32_e64 v16, null, 0, v16, vcc_lo
	v_cmp_ge_i64_e32 vcc_lo, v[11:12], v[13:14]
	s_wait_alu 0xfffe
	s_or_b32 s7, vcc_lo, s7
	s_wait_loadcnt 0xd
	v_fma_f64 v[77:78], v[27:28], v[81:82], v[77:78]
	v_fma_f64 v[23:24], v[81:82], 0, v[23:24]
	;; [unrolled: 1-line block ×4, first 2 shown]
	s_wait_loadcnt 0xc
	v_fma_f64 v[91:92], v[31:32], v[81:82], v[91:92]
	v_fma_f64 v[95:96], v[81:82], 0, v[95:96]
	;; [unrolled: 1-line block ×12, first 2 shown]
	s_wait_loadcnt 0x9
	v_fma_f64 v[77:78], v[85:86], v[41:42], v[77:78]
	v_fma_f64 v[23:24], v[41:42], 0, v[23:24]
	;; [unrolled: 1-line block ×16, first 2 shown]
	s_wait_loadcnt 0x7
	v_fma_f64 v[39:40], v[49:50], v[45:46], v[41:42]
	v_fma_f64 v[23:24], v[45:46], 0, v[23:24]
	;; [unrolled: 1-line block ×4, first 2 shown]
	s_wait_loadcnt 0x6
	v_fma_f64 v[29:30], v[53:54], v[45:46], v[29:30]
	v_fma_f64 v[31:32], v[45:46], 0, v[31:32]
	;; [unrolled: 1-line block ×12, first 2 shown]
	s_wait_loadcnt 0x3
	v_fma_f64 v[39:40], v[61:62], v[65:66], v[39:40]
	v_fma_f64 v[23:24], v[65:66], 0, v[23:24]
	v_fma_f64 v[27:28], v[63:64], v[65:66], v[27:28]
	v_fma_f64 v[25:26], v[65:66], 0, v[25:26]
	v_fma_f64 v[29:30], v[57:58], v[65:66], v[29:30]
	v_fma_f64 v[31:32], v[65:66], 0, v[31:32]
	v_fma_f64 v[37:38], v[59:60], v[65:66], v[37:38]
	v_fma_f64 v[33:34], v[65:66], 0, v[33:34]
	v_fma_f64 v[39:40], 0x80000000, v[67:68], v[39:40]
	v_fma_f64 v[23:24], v[61:62], v[67:68], v[23:24]
	v_fma_f64 v[27:28], 0x80000000, v[67:68], v[27:28]
	v_fma_f64 v[25:26], v[63:64], v[67:68], v[25:26]
	v_fma_f64 v[29:30], 0x80000000, v[67:68], v[29:30]
	v_fma_f64 v[31:32], v[57:58], v[67:68], v[31:32]
	v_fma_f64 v[37:38], 0x80000000, v[67:68], v[37:38]
	v_fma_f64 v[33:34], v[59:60], v[67:68], v[33:34]
	s_wait_loadcnt 0x1
	v_fma_f64 v[39:40], v[17:18], v[69:70], v[39:40]
	v_fma_f64 v[23:24], v[69:70], 0, v[23:24]
	;; [unrolled: 1-line block ×4, first 2 shown]
	s_wait_loadcnt 0x0
	v_fma_f64 v[29:30], v[73:74], v[69:70], v[29:30]
	v_fma_f64 v[43:44], v[69:70], 0, v[31:32]
	;; [unrolled: 1-line block ×12, first 2 shown]
	s_wait_alu 0xfffe
	s_and_not1_b32 exec_lo, exec_lo, s7
	s_cbranch_execnz .LBB147_33
; %bb.34:
	s_or_b32 exec_lo, exec_lo, s7
.LBB147_35:
	s_wait_alu 0xfffe
	s_or_b32 exec_lo, exec_lo, s6
.LBB147_36:
	s_wait_alu 0xfffe
	s_or_b32 exec_lo, exec_lo, s3
.LBB147_37:
	v_mbcnt_lo_u32_b32 v45, -1, 0
	s_delay_alu instid0(VALU_DEP_1) | instskip(NEXT) | instid1(VALU_DEP_1)
	v_xor_b32_e32 v9, 8, v45
	v_cmp_gt_i32_e32 vcc_lo, 32, v9
	s_wait_alu 0xfffd
	v_cndmask_b32_e32 v9, v45, v9, vcc_lo
	s_delay_alu instid0(VALU_DEP_1)
	v_lshlrev_b32_e32 v42, 2, v9
	ds_bpermute_b32 v9, v42, v27
	ds_bpermute_b32 v10, v42, v28
	s_wait_dscnt 0x0
	v_add_f64_e32 v[9:10], v[27:28], v[9:10]
	v_xor_b32_e32 v27, 4, v45
	s_delay_alu instid0(VALU_DEP_1)
	v_cmp_gt_i32_e32 vcc_lo, 32, v27
	s_wait_alu 0xfffd
	v_cndmask_b32_e32 v27, v45, v27, vcc_lo
	ds_bpermute_b32 v11, v42, v23
	ds_bpermute_b32 v12, v42, v24
	;; [unrolled: 1-line block ×14, first 2 shown]
	s_wait_dscnt 0xc
	v_add_f64_e32 v[11:12], v[23:24], v[11:12]
	s_wait_dscnt 0xa
	v_add_f64_e32 v[13:14], v[33:34], v[13:14]
	;; [unrolled: 2-line block ×7, first 2 shown]
	v_lshlrev_b32_e32 v42, 2, v27
	ds_bpermute_b32 v27, v42, v9
	ds_bpermute_b32 v28, v42, v10
	;; [unrolled: 1-line block ×16, first 2 shown]
	s_wait_dscnt 0xe
	v_add_f64_e32 v[9:10], v[9:10], v[27:28]
	s_wait_dscnt 0xc
	v_add_f64_e32 v[11:12], v[11:12], v[29:30]
	;; [unrolled: 2-line block ×8, first 2 shown]
	v_xor_b32_e32 v19, 2, v45
	s_delay_alu instid0(VALU_DEP_1) | instskip(SKIP_2) | instid1(VALU_DEP_1)
	v_cmp_gt_i32_e32 vcc_lo, 32, v19
	s_wait_alu 0xfffd
	v_cndmask_b32_e32 v19, v45, v19, vcc_lo
	v_lshlrev_b32_e32 v29, 2, v19
	ds_bpermute_b32 v19, v29, v9
	ds_bpermute_b32 v20, v29, v10
	;; [unrolled: 1-line block ×16, first 2 shown]
	s_wait_dscnt 0xe
	v_add_f64_e32 v[9:10], v[9:10], v[19:20]
	s_wait_dscnt 0xc
	v_add_f64_e32 v[29:30], v[11:12], v[25:26]
	;; [unrolled: 2-line block ×5, first 2 shown]
	v_xor_b32_e32 v23, 1, v45
	s_wait_dscnt 0x4
	v_add_f64_e32 v[19:20], v[27:28], v[39:40]
	s_wait_dscnt 0x2
	v_add_f64_e32 v[15:16], v[17:18], v[41:42]
	;; [unrolled: 2-line block ×3, first 2 shown]
	v_cmp_gt_i32_e32 vcc_lo, 32, v23
	s_wait_alu 0xfffd
	v_cndmask_b32_e32 v23, v45, v23, vcc_lo
	v_cmp_eq_u32_e32 vcc_lo, 15, v0
	s_delay_alu instid0(VALU_DEP_2)
	v_lshlrev_b32_e32 v36, 2, v23
	ds_bpermute_b32 v23, v36, v9
	ds_bpermute_b32 v24, v36, v10
	;; [unrolled: 1-line block ×16, first 2 shown]
	s_and_b32 exec_lo, exec_lo, vcc_lo
	s_cbranch_execz .LBB147_8
; %bb.38:
	s_wait_dscnt 0xc
	v_add_f64_e32 v[29:30], v[29:30], v[41:42]
	s_wait_dscnt 0x8
	v_add_f64_e32 v[25:26], v[25:26], v[39:40]
	;; [unrolled: 2-line block ×4, first 2 shown]
	v_add_f64_e32 v[9:10], v[9:10], v[23:24]
	v_add_f64_e32 v[11:12], v[11:12], v[27:28]
	;; [unrolled: 1-line block ×4, first 2 shown]
	v_cmp_eq_f64_e32 vcc_lo, 0, v[1:2]
	v_cmp_eq_f64_e64 s2, 0, v[3:4]
	s_load_b64 s[0:1], s[0:1], 0x68
	v_lshlrev_b64_e32 v[21:22], 6, v[21:22]
	v_mul_f64_e64 v[13:14], v[29:30], -v[7:8]
	v_mul_f64_e32 v[15:16], v[5:6], v[29:30]
	v_mul_f64_e64 v[29:30], v[25:26], -v[7:8]
	v_mul_f64_e32 v[25:26], v[5:6], v[25:26]
	;; [unrolled: 2-line block ×4, first 2 shown]
	s_and_b32 s2, vcc_lo, s2
	v_fma_f64 v[17:18], v[5:6], v[9:10], v[13:14]
	v_fma_f64 v[19:20], v[7:8], v[9:10], v[15:16]
	;; [unrolled: 1-line block ×8, first 2 shown]
	s_wait_alu 0xfffe
	s_and_saveexec_b32 s3, s2
	s_wait_alu 0xfffe
	s_xor_b32 s2, exec_lo, s3
	s_cbranch_execz .LBB147_40
; %bb.39:
	s_wait_kmcnt 0x0
	v_add_co_u32 v0, vcc_lo, s0, v21
	s_wait_alu 0xfffd
	v_add_co_ci_u32_e64 v1, null, s1, v22, vcc_lo
                                        ; implicit-def: $vgpr21_vgpr22
	s_clause 0x3
	global_store_b128 v[0:1], v[17:20], off
	global_store_b128 v[0:1], v[13:16], off offset:16
	global_store_b128 v[0:1], v[9:12], off offset:32
	global_store_b128 v[0:1], v[5:8], off offset:48
                                        ; implicit-def: $vgpr3_vgpr4
                                        ; implicit-def: $vgpr17_vgpr18
                                        ; implicit-def: $vgpr13_vgpr14
                                        ; implicit-def: $vgpr9_vgpr10
                                        ; implicit-def: $vgpr5_vgpr6
.LBB147_40:
	s_wait_alu 0xfffe
	s_and_not1_saveexec_b32 s2, s2
	s_cbranch_execz .LBB147_8
; %bb.41:
	s_wait_kmcnt 0x0
	v_add_co_u32 v37, vcc_lo, s0, v21
	s_wait_alu 0xfffd
	v_add_co_ci_u32_e64 v38, null, s1, v22, vcc_lo
	s_clause 0x3
	global_load_b128 v[21:24], v[37:38], off
	global_load_b128 v[25:28], v[37:38], off offset:16
	global_load_b128 v[29:32], v[37:38], off offset:32
	;; [unrolled: 1-line block ×3, first 2 shown]
	s_wait_loadcnt 0x3
	v_fma_f64 v[17:18], v[1:2], v[21:22], v[17:18]
	v_fma_f64 v[19:20], v[3:4], v[21:22], v[19:20]
	s_wait_loadcnt 0x2
	v_fma_f64 v[13:14], v[1:2], v[25:26], v[13:14]
	v_fma_f64 v[15:16], v[3:4], v[25:26], v[15:16]
	;; [unrolled: 3-line block ×4, first 2 shown]
	v_fma_f64 v[5:6], -v[3:4], v[23:24], v[17:18]
	v_fma_f64 v[7:8], v[1:2], v[23:24], v[19:20]
	v_fma_f64 v[9:10], -v[3:4], v[27:28], v[13:14]
	v_fma_f64 v[11:12], v[1:2], v[27:28], v[15:16]
	;; [unrolled: 2-line block ×4, first 2 shown]
	s_clause 0x3
	global_store_b128 v[37:38], v[5:8], off
	global_store_b128 v[37:38], v[9:12], off offset:16
	global_store_b128 v[37:38], v[13:16], off offset:32
	;; [unrolled: 1-line block ×3, first 2 shown]
	s_nop 0
	s_sendmsg sendmsg(MSG_DEALLOC_VGPRS)
	s_endpgm
	.section	.rodata,"a",@progbits
	.p2align	6, 0x0
	.amdhsa_kernel _ZN9rocsparseL18bsrxmvn_4x4_kernelILj128ELj16E21rocsparse_complex_numIdElldS2_S2_EEvT3_20rocsparse_direction_NS_24const_host_device_scalarIT1_EES3_PKS3_PKT2_SC_S9_PKT4_PKT5_S7_PT6_21rocsparse_index_base_b
		.amdhsa_group_segment_fixed_size 0
		.amdhsa_private_segment_fixed_size 0
		.amdhsa_kernarg_size 120
		.amdhsa_user_sgpr_count 2
		.amdhsa_user_sgpr_dispatch_ptr 0
		.amdhsa_user_sgpr_queue_ptr 0
		.amdhsa_user_sgpr_kernarg_segment_ptr 1
		.amdhsa_user_sgpr_dispatch_id 0
		.amdhsa_user_sgpr_private_segment_size 0
		.amdhsa_wavefront_size32 1
		.amdhsa_uses_dynamic_stack 0
		.amdhsa_enable_private_segment 0
		.amdhsa_system_sgpr_workgroup_id_x 1
		.amdhsa_system_sgpr_workgroup_id_y 0
		.amdhsa_system_sgpr_workgroup_id_z 0
		.amdhsa_system_sgpr_workgroup_info 0
		.amdhsa_system_vgpr_workitem_id 0
		.amdhsa_next_free_vgpr 121
		.amdhsa_next_free_sgpr 12
		.amdhsa_reserve_vcc 1
		.amdhsa_float_round_mode_32 0
		.amdhsa_float_round_mode_16_64 0
		.amdhsa_float_denorm_mode_32 3
		.amdhsa_float_denorm_mode_16_64 3
		.amdhsa_fp16_overflow 0
		.amdhsa_workgroup_processor_mode 1
		.amdhsa_memory_ordered 1
		.amdhsa_forward_progress 1
		.amdhsa_inst_pref_size 93
		.amdhsa_round_robin_scheduling 0
		.amdhsa_exception_fp_ieee_invalid_op 0
		.amdhsa_exception_fp_denorm_src 0
		.amdhsa_exception_fp_ieee_div_zero 0
		.amdhsa_exception_fp_ieee_overflow 0
		.amdhsa_exception_fp_ieee_underflow 0
		.amdhsa_exception_fp_ieee_inexact 0
		.amdhsa_exception_int_div_zero 0
	.end_amdhsa_kernel
	.section	.text._ZN9rocsparseL18bsrxmvn_4x4_kernelILj128ELj16E21rocsparse_complex_numIdElldS2_S2_EEvT3_20rocsparse_direction_NS_24const_host_device_scalarIT1_EES3_PKS3_PKT2_SC_S9_PKT4_PKT5_S7_PT6_21rocsparse_index_base_b,"axG",@progbits,_ZN9rocsparseL18bsrxmvn_4x4_kernelILj128ELj16E21rocsparse_complex_numIdElldS2_S2_EEvT3_20rocsparse_direction_NS_24const_host_device_scalarIT1_EES3_PKS3_PKT2_SC_S9_PKT4_PKT5_S7_PT6_21rocsparse_index_base_b,comdat
.Lfunc_end147:
	.size	_ZN9rocsparseL18bsrxmvn_4x4_kernelILj128ELj16E21rocsparse_complex_numIdElldS2_S2_EEvT3_20rocsparse_direction_NS_24const_host_device_scalarIT1_EES3_PKS3_PKT2_SC_S9_PKT4_PKT5_S7_PT6_21rocsparse_index_base_b, .Lfunc_end147-_ZN9rocsparseL18bsrxmvn_4x4_kernelILj128ELj16E21rocsparse_complex_numIdElldS2_S2_EEvT3_20rocsparse_direction_NS_24const_host_device_scalarIT1_EES3_PKS3_PKT2_SC_S9_PKT4_PKT5_S7_PT6_21rocsparse_index_base_b
                                        ; -- End function
	.set _ZN9rocsparseL18bsrxmvn_4x4_kernelILj128ELj16E21rocsparse_complex_numIdElldS2_S2_EEvT3_20rocsparse_direction_NS_24const_host_device_scalarIT1_EES3_PKS3_PKT2_SC_S9_PKT4_PKT5_S7_PT6_21rocsparse_index_base_b.num_vgpr, 121
	.set _ZN9rocsparseL18bsrxmvn_4x4_kernelILj128ELj16E21rocsparse_complex_numIdElldS2_S2_EEvT3_20rocsparse_direction_NS_24const_host_device_scalarIT1_EES3_PKS3_PKT2_SC_S9_PKT4_PKT5_S7_PT6_21rocsparse_index_base_b.num_agpr, 0
	.set _ZN9rocsparseL18bsrxmvn_4x4_kernelILj128ELj16E21rocsparse_complex_numIdElldS2_S2_EEvT3_20rocsparse_direction_NS_24const_host_device_scalarIT1_EES3_PKS3_PKT2_SC_S9_PKT4_PKT5_S7_PT6_21rocsparse_index_base_b.numbered_sgpr, 12
	.set _ZN9rocsparseL18bsrxmvn_4x4_kernelILj128ELj16E21rocsparse_complex_numIdElldS2_S2_EEvT3_20rocsparse_direction_NS_24const_host_device_scalarIT1_EES3_PKS3_PKT2_SC_S9_PKT4_PKT5_S7_PT6_21rocsparse_index_base_b.num_named_barrier, 0
	.set _ZN9rocsparseL18bsrxmvn_4x4_kernelILj128ELj16E21rocsparse_complex_numIdElldS2_S2_EEvT3_20rocsparse_direction_NS_24const_host_device_scalarIT1_EES3_PKS3_PKT2_SC_S9_PKT4_PKT5_S7_PT6_21rocsparse_index_base_b.private_seg_size, 0
	.set _ZN9rocsparseL18bsrxmvn_4x4_kernelILj128ELj16E21rocsparse_complex_numIdElldS2_S2_EEvT3_20rocsparse_direction_NS_24const_host_device_scalarIT1_EES3_PKS3_PKT2_SC_S9_PKT4_PKT5_S7_PT6_21rocsparse_index_base_b.uses_vcc, 1
	.set _ZN9rocsparseL18bsrxmvn_4x4_kernelILj128ELj16E21rocsparse_complex_numIdElldS2_S2_EEvT3_20rocsparse_direction_NS_24const_host_device_scalarIT1_EES3_PKS3_PKT2_SC_S9_PKT4_PKT5_S7_PT6_21rocsparse_index_base_b.uses_flat_scratch, 0
	.set _ZN9rocsparseL18bsrxmvn_4x4_kernelILj128ELj16E21rocsparse_complex_numIdElldS2_S2_EEvT3_20rocsparse_direction_NS_24const_host_device_scalarIT1_EES3_PKS3_PKT2_SC_S9_PKT4_PKT5_S7_PT6_21rocsparse_index_base_b.has_dyn_sized_stack, 0
	.set _ZN9rocsparseL18bsrxmvn_4x4_kernelILj128ELj16E21rocsparse_complex_numIdElldS2_S2_EEvT3_20rocsparse_direction_NS_24const_host_device_scalarIT1_EES3_PKS3_PKT2_SC_S9_PKT4_PKT5_S7_PT6_21rocsparse_index_base_b.has_recursion, 0
	.set _ZN9rocsparseL18bsrxmvn_4x4_kernelILj128ELj16E21rocsparse_complex_numIdElldS2_S2_EEvT3_20rocsparse_direction_NS_24const_host_device_scalarIT1_EES3_PKS3_PKT2_SC_S9_PKT4_PKT5_S7_PT6_21rocsparse_index_base_b.has_indirect_call, 0
	.section	.AMDGPU.csdata,"",@progbits
; Kernel info:
; codeLenInByte = 11888
; TotalNumSgprs: 14
; NumVgprs: 121
; ScratchSize: 0
; MemoryBound: 0
; FloatMode: 240
; IeeeMode: 1
; LDSByteSize: 0 bytes/workgroup (compile time only)
; SGPRBlocks: 0
; VGPRBlocks: 15
; NumSGPRsForWavesPerEU: 14
; NumVGPRsForWavesPerEU: 121
; Occupancy: 10
; WaveLimiterHint : 1
; COMPUTE_PGM_RSRC2:SCRATCH_EN: 0
; COMPUTE_PGM_RSRC2:USER_SGPR: 2
; COMPUTE_PGM_RSRC2:TRAP_HANDLER: 0
; COMPUTE_PGM_RSRC2:TGID_X_EN: 1
; COMPUTE_PGM_RSRC2:TGID_Y_EN: 0
; COMPUTE_PGM_RSRC2:TGID_Z_EN: 0
; COMPUTE_PGM_RSRC2:TIDIG_COMP_CNT: 0
	.section	.text._ZN9rocsparseL18bsrxmvn_4x4_kernelILj128ELj32E21rocsparse_complex_numIdElldS2_S2_EEvT3_20rocsparse_direction_NS_24const_host_device_scalarIT1_EES3_PKS3_PKT2_SC_S9_PKT4_PKT5_S7_PT6_21rocsparse_index_base_b,"axG",@progbits,_ZN9rocsparseL18bsrxmvn_4x4_kernelILj128ELj32E21rocsparse_complex_numIdElldS2_S2_EEvT3_20rocsparse_direction_NS_24const_host_device_scalarIT1_EES3_PKS3_PKT2_SC_S9_PKT4_PKT5_S7_PT6_21rocsparse_index_base_b,comdat
	.globl	_ZN9rocsparseL18bsrxmvn_4x4_kernelILj128ELj32E21rocsparse_complex_numIdElldS2_S2_EEvT3_20rocsparse_direction_NS_24const_host_device_scalarIT1_EES3_PKS3_PKT2_SC_S9_PKT4_PKT5_S7_PT6_21rocsparse_index_base_b ; -- Begin function _ZN9rocsparseL18bsrxmvn_4x4_kernelILj128ELj32E21rocsparse_complex_numIdElldS2_S2_EEvT3_20rocsparse_direction_NS_24const_host_device_scalarIT1_EES3_PKS3_PKT2_SC_S9_PKT4_PKT5_S7_PT6_21rocsparse_index_base_b
	.p2align	8
	.type	_ZN9rocsparseL18bsrxmvn_4x4_kernelILj128ELj32E21rocsparse_complex_numIdElldS2_S2_EEvT3_20rocsparse_direction_NS_24const_host_device_scalarIT1_EES3_PKS3_PKT2_SC_S9_PKT4_PKT5_S7_PT6_21rocsparse_index_base_b,@function
_ZN9rocsparseL18bsrxmvn_4x4_kernelILj128ELj32E21rocsparse_complex_numIdElldS2_S2_EEvT3_20rocsparse_direction_NS_24const_host_device_scalarIT1_EES3_PKS3_PKT2_SC_S9_PKT4_PKT5_S7_PT6_21rocsparse_index_base_b: ; @_ZN9rocsparseL18bsrxmvn_4x4_kernelILj128ELj32E21rocsparse_complex_numIdElldS2_S2_EEvT3_20rocsparse_direction_NS_24const_host_device_scalarIT1_EES3_PKS3_PKT2_SC_S9_PKT4_PKT5_S7_PT6_21rocsparse_index_base_b
; %bb.0:
	s_clause 0x1
	s_load_b64 s[4:5], s[0:1], 0x70
	s_load_b64 s[2:3], s[0:1], 0x10
	s_add_nc_u64 s[6:7], s[0:1], 16
	s_load_b64 s[8:9], s[0:1], 0x58
	s_wait_kmcnt 0x0
	s_bitcmp1_b32 s5, 0
	s_cselect_b32 s2, s6, s2
	s_cselect_b32 s3, s7, s3
	s_delay_alu instid0(SALU_CYCLE_1)
	v_dual_mov_b32 v1, s2 :: v_dual_mov_b32 v2, s3
	s_add_nc_u64 s[2:3], s[0:1], 0x58
	s_wait_alu 0xfffe
	s_cselect_b32 s2, s2, s8
	s_cselect_b32 s3, s3, s9
	flat_load_b128 v[5:8], v[1:2]
	s_wait_alu 0xfffe
	v_dual_mov_b32 v1, s2 :: v_dual_mov_b32 v2, s3
	flat_load_b128 v[1:4], v[1:2]
	s_wait_loadcnt_dscnt 0x101
	v_cmp_eq_f64_e32 vcc_lo, 0, v[5:6]
	v_cmp_eq_f64_e64 s2, 0, v[7:8]
	s_and_b32 s5, vcc_lo, s2
	s_mov_b32 s2, -1
	s_and_saveexec_b32 s3, s5
	s_cbranch_execz .LBB148_2
; %bb.1:
	s_wait_loadcnt_dscnt 0x0
	v_cmp_neq_f64_e32 vcc_lo, 1.0, v[1:2]
	v_cmp_neq_f64_e64 s2, 0, v[3:4]
	s_wait_alu 0xfffe
	s_or_b32 s2, vcc_lo, s2
	s_wait_alu 0xfffe
	s_or_not1_b32 s2, s2, exec_lo
.LBB148_2:
	s_wait_alu 0xfffe
	s_or_b32 exec_lo, exec_lo, s3
	s_and_saveexec_b32 s3, s2
	s_cbranch_execz .LBB148_8
; %bb.3:
	s_load_b64 s[2:3], s[0:1], 0x28
	v_lshrrev_b32_e32 v9, 5, v0
	v_mov_b32_e32 v12, 0
	s_delay_alu instid0(VALU_DEP_2)
	v_lshl_or_b32 v11, ttmp9, 2, v9
	s_wait_kmcnt 0x0
	s_cmp_lg_u64 s[2:3], 0
	s_cbranch_scc0 .LBB148_9
; %bb.4:
	s_load_b64 s[6:7], s[0:1], 0x20
                                        ; implicit-def: $vgpr21_vgpr22
                                        ; implicit-def: $vgpr9_vgpr10
	s_wait_kmcnt 0x0
	v_cmp_gt_i64_e32 vcc_lo, s[6:7], v[11:12]
	s_mov_b32 s7, 0
	s_mov_b32 s6, 0
	s_and_saveexec_b32 s5, vcc_lo
	s_delay_alu instid0(SALU_CYCLE_1)
	s_xor_b32 s8, exec_lo, s5
	s_cbranch_execz .LBB148_6
; %bb.5:
	v_lshlrev_b64_e32 v[9:10], 3, v[11:12]
	s_mov_b32 s5, 0
	s_mov_b32 s6, exec_lo
	s_delay_alu instid0(VALU_DEP_1) | instskip(NEXT) | instid1(VALU_DEP_1)
	v_add_co_u32 v9, vcc_lo, s2, v9
	v_add_co_ci_u32_e64 v10, null, s3, v10, vcc_lo
	global_load_b64 v[9:10], v[9:10], off
	s_wait_loadcnt 0x0
	v_sub_co_u32 v21, vcc_lo, v9, s4
	s_wait_alu 0xfffd
	v_subrev_co_ci_u32_e64 v22, null, 0, v10, vcc_lo
	v_dual_mov_b32 v10, s5 :: v_dual_mov_b32 v9, s4
.LBB148_6:
	s_or_b32 exec_lo, exec_lo, s8
	s_wait_alu 0xfffe
	s_and_b32 vcc_lo, exec_lo, s7
	s_wait_alu 0xfffe
	s_cbranch_vccnz .LBB148_10
.LBB148_7:
	s_and_b32 exec_lo, exec_lo, s6
	s_cbranch_execnz .LBB148_13
.LBB148_8:
	s_nop 0
	s_sendmsg sendmsg(MSG_DEALLOC_VGPRS)
	s_endpgm
.LBB148_9:
	s_mov_b32 s6, 0
                                        ; implicit-def: $vgpr21_vgpr22
                                        ; implicit-def: $vgpr9_vgpr10
	s_cbranch_execz .LBB148_7
.LBB148_10:
	s_load_b64 s[2:3], s[0:1], 0x0
	s_wait_kmcnt 0x0
	v_cmp_gt_i64_e32 vcc_lo, s[2:3], v[11:12]
	s_and_saveexec_b32 s2, vcc_lo
; %bb.11:
	s_mov_b32 s5, 0
	s_or_b32 s6, s6, exec_lo
; %bb.12:
	s_wait_alu 0xfffe
	s_or_b32 exec_lo, exec_lo, s2
	v_dual_mov_b32 v10, s5 :: v_dual_mov_b32 v9, s4
	v_dual_mov_b32 v22, v12 :: v_dual_mov_b32 v21, v11
	s_and_b32 exec_lo, exec_lo, s6
	s_cbranch_execz .LBB148_8
.LBB148_13:
	s_load_b256 s[4:11], s[0:1], 0x30
	s_delay_alu instid0(VALU_DEP_1) | instskip(SKIP_3) | instid1(VALU_DEP_2)
	v_lshlrev_b64_e32 v[11:12], 3, v[21:22]
	v_and_b32_e32 v0, 31, v0
	s_load_b32 s3, s[0:1], 0x8
	s_wait_kmcnt 0x0
	v_add_co_u32 v13, vcc_lo, s4, v11
	s_wait_alu 0xfffd
	v_add_co_ci_u32_e64 v14, null, s5, v12, vcc_lo
	v_add_co_u32 v11, vcc_lo, s6, v11
	s_wait_alu 0xfffd
	v_add_co_ci_u32_e64 v12, null, s7, v12, vcc_lo
	v_add_co_u32 v15, vcc_lo, v13, 8
	global_load_b64 v[35:36], v[13:14], off
	s_wait_alu 0xfffd
	v_add_co_ci_u32_e64 v16, null, 0, v14, vcc_lo
	s_cmp_eq_u64 s[6:7], 0
	s_load_b64 s[4:5], s[0:1], 0x50
	s_cselect_b32 vcc_lo, -1, 0
	s_cmp_eq_u32 s3, 1
	s_wait_alu 0xfffe
	v_dual_cndmask_b32 v12, v12, v16 :: v_dual_cndmask_b32 v11, v11, v15
	global_load_b64 v[13:14], v[11:12], off
	s_wait_loadcnt 0x1
	v_sub_co_u32 v11, vcc_lo, v35, v9
	s_wait_alu 0xfffd
	v_sub_co_ci_u32_e64 v12, null, v36, v10, vcc_lo
	s_delay_alu instid0(VALU_DEP_2) | instskip(SKIP_1) | instid1(VALU_DEP_2)
	v_add_co_u32 v11, vcc_lo, v11, v0
	s_wait_alu 0xfffd
	v_add_co_ci_u32_e64 v12, null, 0, v12, vcc_lo
	s_delay_alu instid0(VALU_DEP_1) | instskip(SKIP_4) | instid1(VALU_DEP_3)
	v_lshlrev_b64_e32 v[15:16], 7, v[11:12]
	s_wait_loadcnt 0x0
	v_sub_co_u32 v13, vcc_lo, v13, v9
	s_wait_alu 0xfffd
	v_sub_co_ci_u32_e64 v14, null, v14, v10, vcc_lo
	v_add_co_u32 v15, vcc_lo, s10, v15
	s_delay_alu instid0(VALU_DEP_2)
	v_cmp_lt_i64_e64 s2, v[11:12], v[13:14]
	s_wait_alu 0xfffd
	v_add_co_ci_u32_e64 v16, null, s11, v16, vcc_lo
	s_cbranch_scc1 .LBB148_25
; %bb.14:
	v_mov_b32_e32 v23, 0
	v_mov_b32_e32 v31, 0
	;; [unrolled: 1-line block ×3, first 2 shown]
	v_dual_mov_b32 v19, 0 :: v_dual_mov_b32 v24, 0
	v_dual_mov_b32 v27, 0 :: v_dual_mov_b32 v32, 0
	;; [unrolled: 1-line block ×5, first 2 shown]
	v_mov_b32_e32 v34, 0
	v_mov_b32_e32 v26, 0
	;; [unrolled: 1-line block ×3, first 2 shown]
	s_and_saveexec_b32 s6, s2
	s_cbranch_execz .LBB148_24
; %bb.15:
	v_or_b32_e32 v17, 32, v0
	v_not_b32_e32 v24, v35
	v_mov_b32_e32 v38, 0
	v_not_b32_e32 v23, v36
	v_mov_b32_e32 v31, 0
	v_sub_co_u32 v17, vcc_lo, v17, v9
	s_wait_alu 0xfffd
	v_sub_co_ci_u32_e64 v18, null, 0, v10, vcc_lo
	v_mov_b32_e32 v29, 0
	s_delay_alu instid0(VALU_DEP_3) | instskip(SKIP_1) | instid1(VALU_DEP_3)
	v_add_co_u32 v19, vcc_lo, v17, v35
	s_wait_alu 0xfffd
	v_add_co_ci_u32_e64 v20, null, v18, v36, vcc_lo
	v_sub_co_u32 v25, vcc_lo, v9, v0
	s_wait_alu 0xfffd
	v_subrev_co_ci_u32_e64 v26, null, 0, v10, vcc_lo
	s_delay_alu instid0(VALU_DEP_3) | instskip(NEXT) | instid1(VALU_DEP_3)
	v_cmp_gt_i64_e32 vcc_lo, v[19:20], v[13:14]
	v_add_co_u32 v24, s3, v25, v24
	v_mov_b32_e32 v17, 0
	v_mov_b32_e32 v18, 0
	s_wait_alu 0xf1ff
	v_add_co_ci_u32_e64 v23, null, v26, v23, s3
	s_wait_alu 0xfffd
	v_cndmask_b32_e32 v25, v13, v19, vcc_lo
	v_cndmask_b32_e32 v27, v14, v20, vcc_lo
	v_mov_b32_e32 v19, 0
	v_dual_mov_b32 v20, 0 :: v_dual_mov_b32 v33, 0
	s_delay_alu instid0(VALU_DEP_4) | instskip(SKIP_3) | instid1(VALU_DEP_3)
	v_add_co_u32 v41, vcc_lo, v24, v25
	v_dual_mov_b32 v25, 0 :: v_dual_mov_b32 v30, 0
	s_wait_alu 0xfffd
	v_add_co_ci_u32_e64 v42, null, v23, v27, vcc_lo
	v_dual_mov_b32 v32, 0 :: v_dual_and_b32 v37, 0x60, v41
	v_dual_mov_b32 v27, 0 :: v_dual_mov_b32 v40, v16
	v_mov_b32_e32 v23, 0
	s_delay_alu instid0(VALU_DEP_3)
	v_cmp_ne_u64_e32 vcc_lo, 0x60, v[37:38]
	v_mov_b32_e32 v38, v12
	v_mov_b32_e32 v26, 0
	v_mov_b32_e32 v34, 0
	v_mov_b32_e32 v28, 0
	v_dual_mov_b32 v24, 0 :: v_dual_mov_b32 v39, v15
	v_mov_b32_e32 v37, v11
	s_and_saveexec_b32 s7, vcc_lo
	s_cbranch_execz .LBB148_19
; %bb.16:
	v_lshrrev_b32_e32 v19, 5, v41
	v_lshlrev_b64_e32 v[17:18], 3, v[11:12]
	v_dual_mov_b32 v23, 0 :: v_dual_mov_b32 v38, v12
	v_mov_b32_e32 v29, 0
	s_delay_alu instid0(VALU_DEP_4) | instskip(NEXT) | instid1(VALU_DEP_4)
	v_dual_mov_b32 v24, 0 :: v_dual_add_nc_u32 v19, 1, v19
	v_add_co_u32 v43, vcc_lo, s8, v17
	v_mov_b32_e32 v27, 0
	s_delay_alu instid0(VALU_DEP_3) | instskip(SKIP_3) | instid1(VALU_DEP_3)
	v_dual_mov_b32 v30, 0 :: v_dual_and_b32 v19, 3, v19
	v_mov_b32_e32 v31, 0
	s_wait_alu 0xfffd
	v_add_co_ci_u32_e64 v44, null, s9, v18, vcc_lo
	v_sub_co_u32 v45, s3, 0, v19
	v_mov_b32_e32 v33, 0
	v_mov_b32_e32 v25, 0
	v_dual_mov_b32 v19, 0 :: v_dual_mov_b32 v40, v16
	v_mov_b32_e32 v17, 0
	v_dual_mov_b32 v37, v11 :: v_dual_mov_b32 v28, 0
	v_mov_b32_e32 v32, 0
	s_wait_alu 0xf1ff
	v_sub_co_ci_u32_e64 v46, null, 0, 0, s3
	v_mov_b32_e32 v34, 0
	v_mov_b32_e32 v26, 0
	;; [unrolled: 1-line block ×3, first 2 shown]
	v_dual_mov_b32 v18, 0 :: v_dual_mov_b32 v39, v15
	s_mov_b32 s10, 0
.LBB148_17:                             ; =>This Inner Loop Header: Depth=1
	global_load_b64 v[79:80], v[43:44], off
	s_clause 0x7
	global_load_b128 v[47:50], v[39:40], off offset:48
	global_load_b128 v[51:54], v[39:40], off offset:32
	global_load_b128 v[55:58], v[39:40], off offset:16
	global_load_b128 v[59:62], v[39:40], off
	global_load_b128 v[63:66], v[39:40], off offset:112
	global_load_b128 v[67:70], v[39:40], off offset:96
	;; [unrolled: 1-line block ×4, first 2 shown]
	v_add_co_u32 v43, s3, 0x100, v43
	s_wait_alu 0xf1ff
	v_add_co_ci_u32_e64 v44, null, 0, v44, s3
	s_wait_loadcnt 0x8
	v_sub_co_u32 v79, vcc_lo, v79, v9
	s_wait_alu 0xfffd
	v_sub_co_ci_u32_e64 v80, null, v80, v10, vcc_lo
	s_delay_alu instid0(VALU_DEP_1) | instskip(SKIP_1) | instid1(VALU_DEP_1)
	v_lshlrev_b64_e32 v[79:80], 6, v[79:80]
	s_wait_kmcnt 0x0
	v_add_co_u32 v91, vcc_lo, s4, v79
	s_wait_alu 0xfffd
	s_delay_alu instid0(VALU_DEP_2)
	v_add_co_ci_u32_e64 v92, null, s5, v80, vcc_lo
	v_add_co_u32 v39, vcc_lo, 0x1000, v39
	s_wait_alu 0xfffd
	v_add_co_ci_u32_e64 v40, null, 0, v40, vcc_lo
	s_clause 0x3
	global_load_b128 v[79:82], v[91:92], off
	global_load_b128 v[83:86], v[91:92], off offset:16
	global_load_b128 v[87:90], v[91:92], off offset:32
	;; [unrolled: 1-line block ×3, first 2 shown]
	v_add_co_u32 v45, vcc_lo, v45, 1
	s_wait_alu 0xfffd
	v_add_co_ci_u32_e64 v46, null, 0, v46, vcc_lo
	v_add_co_u32 v37, vcc_lo, v37, 32
	s_wait_alu 0xfffd
	v_add_co_ci_u32_e64 v38, null, 0, v38, vcc_lo
	s_delay_alu instid0(VALU_DEP_3)
	v_cmp_eq_u64_e32 vcc_lo, 0, v[45:46]
	s_wait_alu 0xfffe
	s_or_b32 s10, vcc_lo, s10
	s_wait_loadcnt 0x3
	v_fma_f64 v[27:28], v[59:60], v[79:80], v[27:28]
	v_fma_f64 v[23:24], v[79:80], 0, v[23:24]
	v_fma_f64 v[33:34], v[51:52], v[79:80], v[33:34]
	v_fma_f64 v[31:32], v[79:80], 0, v[31:32]
	v_fma_f64 v[25:26], v[75:76], v[79:80], v[25:26]
	v_fma_f64 v[29:30], v[79:80], 0, v[29:30]
	v_fma_f64 v[17:18], v[67:68], v[79:80], v[17:18]
	v_fma_f64 v[19:20], v[79:80], 0, v[19:20]
	v_fma_f64 v[27:28], 0x80000000, v[81:82], v[27:28]
	v_fma_f64 v[23:24], v[59:60], v[81:82], v[23:24]
	v_fma_f64 v[33:34], 0x80000000, v[81:82], v[33:34]
	v_fma_f64 v[31:32], v[51:52], v[81:82], v[31:32]
	v_fma_f64 v[25:26], 0x80000000, v[81:82], v[25:26]
	v_fma_f64 v[29:30], v[75:76], v[81:82], v[29:30]
	v_fma_f64 v[17:18], 0x80000000, v[81:82], v[17:18]
	v_fma_f64 v[19:20], v[67:68], v[81:82], v[19:20]
	s_wait_loadcnt 0x2
	v_fma_f64 v[27:28], v[61:62], v[83:84], v[27:28]
	v_fma_f64 v[23:24], v[83:84], 0, v[23:24]
	v_fma_f64 v[33:34], v[53:54], v[83:84], v[33:34]
	v_fma_f64 v[31:32], v[83:84], 0, v[31:32]
	v_fma_f64 v[25:26], v[77:78], v[83:84], v[25:26]
	v_fma_f64 v[29:30], v[83:84], 0, v[29:30]
	v_fma_f64 v[17:18], v[69:70], v[83:84], v[17:18]
	v_fma_f64 v[19:20], v[83:84], 0, v[19:20]
	v_fma_f64 v[27:28], 0x80000000, v[85:86], v[27:28]
	v_fma_f64 v[23:24], v[61:62], v[85:86], v[23:24]
	v_fma_f64 v[33:34], 0x80000000, v[85:86], v[33:34]
	v_fma_f64 v[31:32], v[53:54], v[85:86], v[31:32]
	v_fma_f64 v[25:26], 0x80000000, v[85:86], v[25:26]
	v_fma_f64 v[29:30], v[77:78], v[85:86], v[29:30]
	v_fma_f64 v[17:18], 0x80000000, v[85:86], v[17:18]
	v_fma_f64 v[19:20], v[69:70], v[85:86], v[19:20]
	;; [unrolled: 17-line block ×4, first 2 shown]
	s_wait_alu 0xfffe
	s_and_not1_b32 exec_lo, exec_lo, s10
	s_cbranch_execnz .LBB148_17
; %bb.18:
	s_or_b32 exec_lo, exec_lo, s10
.LBB148_19:
	s_wait_alu 0xfffe
	s_or_b32 exec_lo, exec_lo, s7
	s_delay_alu instid0(SALU_CYCLE_1)
	s_mov_b32 s7, exec_lo
	v_cmpx_lt_u64_e32 0x5f, v[41:42]
	s_cbranch_execz .LBB148_23
; %bb.20:
	v_lshlrev_b64_e32 v[41:42], 3, v[37:38]
	s_mov_b32 s10, 0
	s_delay_alu instid0(VALU_DEP_1) | instskip(SKIP_1) | instid1(VALU_DEP_2)
	v_add_co_u32 v41, vcc_lo, s8, v41
	s_wait_alu 0xfffd
	v_add_co_ci_u32_e64 v42, null, s9, v42, vcc_lo
	s_delay_alu instid0(VALU_DEP_2) | instskip(SKIP_1) | instid1(VALU_DEP_2)
	v_add_co_u32 v41, vcc_lo, 0x200, v41
	s_wait_alu 0xfffd
	v_add_co_ci_u32_e64 v42, null, 0, v42, vcc_lo
.LBB148_21:                             ; =>This Inner Loop Header: Depth=1
	s_clause 0x1
	global_load_b64 v[59:60], v[41:42], off offset:-512
	global_load_b64 v[107:108], v[41:42], off offset:-256
	s_clause 0x3
	global_load_b128 v[43:46], v[39:40], off offset:32
	global_load_b128 v[47:50], v[39:40], off
	global_load_b128 v[51:54], v[39:40], off offset:96
	global_load_b128 v[55:58], v[39:40], off offset:64
	s_clause 0x1
	global_load_b64 v[111:112], v[41:42], off
	global_load_b64 v[113:114], v[41:42], off offset:256
	v_add_co_u32 v41, s3, 0x400, v41
	s_wait_alu 0xf1ff
	v_add_co_ci_u32_e64 v42, null, 0, v42, s3
	s_wait_loadcnt 0x7
	v_sub_co_u32 v59, vcc_lo, v59, v9
	s_wait_alu 0xfffd
	v_sub_co_ci_u32_e64 v60, null, v60, v10, vcc_lo
	s_delay_alu instid0(VALU_DEP_1) | instskip(SKIP_1) | instid1(VALU_DEP_1)
	v_lshlrev_b64_e32 v[59:60], 6, v[59:60]
	s_wait_kmcnt 0x0
	v_add_co_u32 v87, vcc_lo, s4, v59
	s_wait_alu 0xfffd
	s_delay_alu instid0(VALU_DEP_2)
	v_add_co_ci_u32_e64 v88, null, s5, v60, vcc_lo
	s_wait_loadcnt 0x6
	v_sub_co_u32 v107, vcc_lo, v107, v9
	s_wait_alu 0xfffd
	v_sub_co_ci_u32_e64 v108, null, v108, v10, vcc_lo
	s_clause 0x1
	global_load_b128 v[59:62], v[87:88], off
	global_load_b128 v[63:66], v[87:88], off offset:16
	s_clause 0x3
	global_load_b128 v[67:70], v[39:40], off offset:48
	global_load_b128 v[71:74], v[39:40], off offset:16
	;; [unrolled: 1-line block ×4, first 2 shown]
	s_clause 0x1
	global_load_b128 v[83:86], v[87:88], off offset:32
	global_load_b128 v[87:90], v[87:88], off offset:48
	s_clause 0x3
	global_load_b128 v[91:94], v[39:40], off offset:4128
	global_load_b128 v[95:98], v[39:40], off offset:4096
	;; [unrolled: 1-line block ×4, first 2 shown]
	v_lshlrev_b64_e32 v[107:108], 6, v[107:108]
	s_delay_alu instid0(VALU_DEP_1) | instskip(SKIP_1) | instid1(VALU_DEP_2)
	v_add_co_u32 v115, vcc_lo, s4, v107
	s_wait_alu 0xfffd
	v_add_co_ci_u32_e64 v116, null, s5, v108, vcc_lo
	s_wait_loadcnt 0xd
	v_sub_co_u32 v111, vcc_lo, v111, v9
	s_wait_alu 0xfffd
	v_sub_co_ci_u32_e64 v112, null, v112, v10, vcc_lo
	global_load_b128 v[107:110], v[115:116], off
	s_wait_loadcnt 0xc
	v_fma_f64 v[23:24], v[59:60], 0, v[23:24]
	v_fma_f64 v[31:32], v[59:60], 0, v[31:32]
	;; [unrolled: 1-line block ×16, first 2 shown]
	global_load_b128 v[17:20], v[115:116], off offset:16
	s_wait_loadcnt 0xc
	v_fma_f64 v[23:24], v[63:64], 0, v[23:24]
	v_fma_f64 v[31:32], v[63:64], 0, v[31:32]
	;; [unrolled: 1-line block ×16, first 2 shown]
	s_clause 0x3
	global_load_b128 v[23:26], v[39:40], off offset:4144
	global_load_b128 v[27:30], v[39:40], off offset:4112
	;; [unrolled: 1-line block ×5, first 2 shown]
	s_wait_loadcnt 0xc
	v_fma_f64 v[51:52], v[83:84], 0, v[51:52]
	v_fma_f64 v[55:56], v[83:84], 0, v[55:56]
	;; [unrolled: 1-line block ×16, first 2 shown]
	global_load_b128 v[51:54], v[115:116], off offset:48
	s_wait_loadcnt 0xc
	v_fma_f64 v[71:72], v[87:88], 0, v[71:72]
	v_fma_f64 v[75:76], v[87:88], 0, v[55:56]
	;; [unrolled: 1-line block ×8, first 2 shown]
	s_clause 0x3
	global_load_b128 v[55:58], v[39:40], off offset:8224
	global_load_b128 v[59:62], v[39:40], off offset:8192
	;; [unrolled: 1-line block ×4, first 2 shown]
	v_fma_f64 v[71:72], v[73:74], v[89:90], v[71:72]
	v_fma_f64 v[73:74], v[69:70], v[89:90], v[75:76]
	;; [unrolled: 1-line block ×8, first 2 shown]
	v_lshlrev_b64_e32 v[67:68], 6, v[111:112]
	s_delay_alu instid0(VALU_DEP_1) | instskip(SKIP_1) | instid1(VALU_DEP_2)
	v_add_co_u32 v111, vcc_lo, s4, v67
	s_wait_alu 0xfffd
	v_add_co_ci_u32_e64 v112, null, s5, v68, vcc_lo
	v_sub_co_u32 v113, vcc_lo, v113, v9
	s_wait_alu 0xfffd
	v_sub_co_ci_u32_e64 v114, null, v114, v10, vcc_lo
	global_load_b128 v[67:70], v[111:112], off
	s_wait_loadcnt 0xc
	v_fma_f64 v[71:72], v[107:108], 0, v[71:72]
	v_fma_f64 v[73:74], v[107:108], 0, v[73:74]
	;; [unrolled: 1-line block ×16, first 2 shown]
	global_load_b128 v[71:74], v[111:112], off offset:16
	s_wait_loadcnt 0xc
	v_fma_f64 v[95:96], v[17:18], 0, v[95:96]
	v_fma_f64 v[91:92], v[17:18], 0, v[91:92]
	;; [unrolled: 1-line block ×16, first 2 shown]
	s_clause 0x3
	global_load_b128 v[17:20], v[39:40], off offset:8240
	global_load_b128 v[75:78], v[39:40], off offset:8208
	;; [unrolled: 1-line block ×5, first 2 shown]
	s_wait_loadcnt 0xc
	v_fma_f64 v[95:96], v[47:48], 0, v[95:96]
	v_fma_f64 v[97:98], v[47:48], 0, v[97:98]
	v_fma_f64 v[99:100], v[47:48], 0, v[99:100]
	v_fma_f64 v[101:102], v[47:48], 0, v[101:102]
	v_fma_f64 v[103:104], v[27:28], v[47:48], v[103:104]
	v_fma_f64 v[105:106], v[23:24], v[47:48], v[105:106]
	v_fma_f64 v[107:108], v[43:44], v[47:48], v[107:108]
	v_fma_f64 v[47:48], v[31:32], v[47:48], v[109:110]
	v_fma_f64 v[27:28], v[27:28], v[49:50], v[95:96]
	v_fma_f64 v[23:24], v[23:24], v[49:50], v[97:98]
	v_fma_f64 v[43:44], v[43:44], v[49:50], v[99:100]
	v_fma_f64 v[31:32], v[31:32], v[49:50], v[101:102]
	v_fma_f64 v[95:96], 0x80000000, v[49:50], v[103:104]
	v_fma_f64 v[97:98], 0x80000000, v[49:50], v[105:106]
	v_fma_f64 v[99:100], 0x80000000, v[49:50], v[107:108]
	v_fma_f64 v[101:102], 0x80000000, v[49:50], v[47:48]
	global_load_b128 v[47:50], v[111:112], off offset:48
	s_wait_loadcnt 0xc
	v_fma_f64 v[27:28], v[51:52], 0, v[27:28]
	v_fma_f64 v[23:24], v[51:52], 0, v[23:24]
	;; [unrolled: 1-line block ×8, first 2 shown]
	s_clause 0x3
	global_load_b128 v[95:98], v[39:40], off offset:12320
	global_load_b128 v[99:102], v[39:40], off offset:12288
	;; [unrolled: 1-line block ×4, first 2 shown]
	v_fma_f64 v[27:28], v[29:30], v[53:54], v[27:28]
	v_fma_f64 v[29:30], v[25:26], v[53:54], v[23:24]
	;; [unrolled: 1-line block ×8, first 2 shown]
	v_lshlrev_b64_e32 v[23:24], 6, v[113:114]
	s_delay_alu instid0(VALU_DEP_1) | instskip(SKIP_1) | instid1(VALU_DEP_2)
	v_add_co_u32 v113, vcc_lo, s4, v23
	s_wait_alu 0xfffd
	v_add_co_ci_u32_e64 v114, null, s5, v24, vcc_lo
	v_add_co_u32 v37, vcc_lo, 0x80, v37
	s_wait_alu 0xfffd
	v_add_co_ci_u32_e64 v38, null, 0, v38, vcc_lo
	global_load_b128 v[23:26], v[113:114], off
	s_wait_loadcnt 0xc
	v_fma_f64 v[27:28], v[67:68], 0, v[27:28]
	v_fma_f64 v[29:30], v[67:68], 0, v[29:30]
	v_fma_f64 v[43:44], v[67:68], 0, v[43:44]
	v_fma_f64 v[31:32], v[67:68], 0, v[31:32]
	v_fma_f64 v[33:34], v[59:60], v[67:68], v[33:34]
	v_fma_f64 v[45:46], v[55:56], v[67:68], v[45:46]
	v_fma_f64 v[53:54], v[83:84], v[67:68], v[111:112]
	v_fma_f64 v[51:52], v[63:64], v[67:68], v[51:52]
	v_fma_f64 v[59:60], v[59:60], v[69:70], v[27:28]
	v_fma_f64 v[55:56], v[55:56], v[69:70], v[29:30]
	v_fma_f64 v[43:44], v[83:84], v[69:70], v[43:44]
	v_fma_f64 v[31:32], v[63:64], v[69:70], v[31:32]
	v_fma_f64 v[33:34], 0x80000000, v[69:70], v[33:34]
	v_fma_f64 v[45:46], 0x80000000, v[69:70], v[45:46]
	v_fma_f64 v[53:54], 0x80000000, v[69:70], v[53:54]
	v_fma_f64 v[51:52], 0x80000000, v[69:70], v[51:52]
	global_load_b128 v[27:30], v[113:114], off offset:16
	s_wait_loadcnt 0xc
	v_fma_f64 v[59:60], v[71:72], 0, v[59:60]
	v_fma_f64 v[55:56], v[71:72], 0, v[55:56]
	v_fma_f64 v[43:44], v[71:72], 0, v[43:44]
	v_fma_f64 v[31:32], v[71:72], 0, v[31:32]
	v_fma_f64 v[33:34], v[61:62], v[71:72], v[33:34]
	v_fma_f64 v[45:46], v[57:58], v[71:72], v[45:46]
	v_fma_f64 v[53:54], v[85:86], v[71:72], v[53:54]
	v_fma_f64 v[51:52], v[65:66], v[71:72], v[51:52]
	v_fma_f64 v[67:68], v[61:62], v[73:74], v[59:60]
	v_fma_f64 v[71:72], v[57:58], v[73:74], v[55:56]
	v_fma_f64 v[85:86], v[85:86], v[73:74], v[43:44]
	v_fma_f64 v[65:66], v[65:66], v[73:74], v[31:32]
	v_fma_f64 v[63:64], 0x80000000, v[73:74], v[33:34]
	v_fma_f64 v[69:70], 0x80000000, v[73:74], v[45:46]
	v_fma_f64 v[83:84], 0x80000000, v[73:74], v[53:54]
	v_fma_f64 v[111:112], 0x80000000, v[73:74], v[51:52]
	s_clause 0x3
	global_load_b128 v[43:46], v[39:40], off offset:12336
	global_load_b128 v[31:34], v[39:40], off offset:12304
	;; [unrolled: 1-line block ×5, first 2 shown]
	v_add_co_u32 v39, vcc_lo, 0x4000, v39
	s_wait_alu 0xfffd
	v_add_co_ci_u32_e64 v40, null, 0, v40, vcc_lo
	v_cmp_ge_i64_e32 vcc_lo, v[37:38], v[13:14]
	s_wait_alu 0xfffe
	s_or_b32 s10, vcc_lo, s10
	s_wait_loadcnt 0xc
	v_fma_f64 v[67:68], v[91:92], 0, v[67:68]
	v_fma_f64 v[71:72], v[91:92], 0, v[71:72]
	;; [unrolled: 1-line block ×16, first 2 shown]
	global_load_b128 v[63:66], v[113:114], off offset:48
	s_wait_loadcnt 0xc
	v_fma_f64 v[67:68], v[47:48], 0, v[67:68]
	v_fma_f64 v[17:18], v[47:48], 0, v[17:18]
	v_fma_f64 v[83:84], v[77:78], v[47:48], v[91:92]
	v_fma_f64 v[69:70], v[19:20], v[47:48], v[69:70]
	v_fma_f64 v[71:72], v[89:90], v[47:48], v[71:72]
	v_fma_f64 v[73:74], v[47:48], 0, v[73:74]
	v_fma_f64 v[75:76], v[81:82], v[47:48], v[75:76]
	v_fma_f64 v[47:48], v[47:48], 0, v[79:80]
	v_fma_f64 v[67:68], v[77:78], v[49:50], v[67:68]
	v_fma_f64 v[17:18], v[19:20], v[49:50], v[17:18]
	v_fma_f64 v[79:80], 0x80000000, v[49:50], v[83:84]
	v_fma_f64 v[69:70], 0x80000000, v[49:50], v[69:70]
	v_fma_f64 v[19:20], 0x80000000, v[49:50], v[71:72]
	v_fma_f64 v[71:72], v[89:90], v[49:50], v[73:74]
	v_fma_f64 v[73:74], 0x80000000, v[49:50], v[75:76]
	v_fma_f64 v[47:48], v[81:82], v[49:50], v[47:48]
	s_wait_loadcnt 0x7
	v_fma_f64 v[67:68], v[23:24], 0, v[67:68]
	v_fma_f64 v[17:18], v[23:24], 0, v[17:18]
	v_fma_f64 v[49:50], v[99:100], v[23:24], v[79:80]
	v_fma_f64 v[69:70], v[95:96], v[23:24], v[69:70]
	v_fma_f64 v[19:20], v[107:108], v[23:24], v[19:20]
	v_fma_f64 v[71:72], v[23:24], 0, v[71:72]
	v_fma_f64 v[73:74], v[103:104], v[23:24], v[73:74]
	v_fma_f64 v[23:24], v[23:24], 0, v[47:48]
	v_fma_f64 v[17:18], v[95:96], v[25:26], v[17:18]
	v_fma_f64 v[47:48], 0x80000000, v[25:26], v[49:50]
	v_fma_f64 v[49:50], v[99:100], v[25:26], v[67:68]
	v_fma_f64 v[67:68], 0x80000000, v[25:26], v[69:70]
	v_fma_f64 v[19:20], 0x80000000, v[25:26], v[19:20]
	v_fma_f64 v[69:70], v[107:108], v[25:26], v[71:72]
	v_fma_f64 v[71:72], 0x80000000, v[25:26], v[73:74]
	v_fma_f64 v[23:24], v[103:104], v[25:26], v[23:24]
	;; [unrolled: 17-line block ×5, first 2 shown]
	s_wait_alu 0xfffe
	s_and_not1_b32 exec_lo, exec_lo, s10
	s_cbranch_execnz .LBB148_21
; %bb.22:
	s_or_b32 exec_lo, exec_lo, s10
.LBB148_23:
	s_wait_alu 0xfffe
	s_or_b32 exec_lo, exec_lo, s7
.LBB148_24:
	s_wait_alu 0xfffe
	s_or_b32 exec_lo, exec_lo, s6
	s_cbranch_execz .LBB148_26
	s_branch .LBB148_37
.LBB148_25:
                                        ; implicit-def: $vgpr23_vgpr24
                                        ; implicit-def: $vgpr27_vgpr28
                                        ; implicit-def: $vgpr31_vgpr32
                                        ; implicit-def: $vgpr33_vgpr34
                                        ; implicit-def: $vgpr29_vgpr30
                                        ; implicit-def: $vgpr25_vgpr26
                                        ; implicit-def: $vgpr19_vgpr20
                                        ; implicit-def: $vgpr17_vgpr18
.LBB148_26:
	v_mov_b32_e32 v23, 0
	v_mov_b32_e32 v31, 0
	;; [unrolled: 1-line block ×3, first 2 shown]
	v_dual_mov_b32 v19, 0 :: v_dual_mov_b32 v24, 0
	v_dual_mov_b32 v27, 0 :: v_dual_mov_b32 v32, 0
	;; [unrolled: 1-line block ×5, first 2 shown]
	v_mov_b32_e32 v34, 0
	v_mov_b32_e32 v26, 0
	;; [unrolled: 1-line block ×3, first 2 shown]
	s_and_saveexec_b32 s3, s2
	s_cbranch_execz .LBB148_36
; %bb.27:
	v_or_b32_e32 v17, 32, v0
	v_not_b32_e32 v20, v35
	v_sub_co_u32 v23, s2, v9, v0
	v_not_b32_e32 v19, v36
	s_delay_alu instid0(VALU_DEP_4)
	v_sub_co_u32 v17, vcc_lo, v17, v9
	s_wait_alu 0xfffd
	v_sub_co_ci_u32_e64 v18, null, 0, v10, vcc_lo
	s_wait_alu 0xf1ff
	v_subrev_co_ci_u32_e64 v25, null, 0, v10, s2
	v_add_co_u32 v17, vcc_lo, v17, v35
	s_wait_alu 0xfffd
	v_add_co_ci_u32_e64 v18, null, v18, v36, vcc_lo
	v_add_co_u32 v20, s2, v23, v20
	s_wait_alu 0xf1ff
	v_add_co_ci_u32_e64 v27, null, v25, v19, s2
	s_delay_alu instid0(VALU_DEP_3)
	v_cmp_gt_i64_e32 vcc_lo, v[17:18], v[13:14]
	v_dual_mov_b32 v24, 0 :: v_dual_mov_b32 v29, 0
	v_dual_mov_b32 v31, 0 :: v_dual_mov_b32 v30, 0
	s_wait_alu 0xfffd
	v_dual_mov_b32 v33, 0 :: v_dual_cndmask_b32 v26, v13, v17
	v_cndmask_b32_e32 v23, v14, v18, vcc_lo
	v_mov_b32_e32 v17, 0
	v_mov_b32_e32 v18, 0
	;; [unrolled: 1-line block ×3, first 2 shown]
	v_add_co_u32 v35, vcc_lo, v20, v26
	v_mov_b32_e32 v19, 0
	v_dual_mov_b32 v20, 0 :: v_dual_mov_b32 v25, 0
	v_mov_b32_e32 v26, 0
	s_wait_alu 0xfffd
	v_add_co_ci_u32_e64 v36, null, v27, v23, vcc_lo
	v_and_b32_e32 v23, 0x60, v35
	v_dual_mov_b32 v27, 0 :: v_dual_mov_b32 v34, 0
	v_mov_b32_e32 v28, 0
	s_delay_alu instid0(VALU_DEP_3)
	v_cmp_ne_u64_e32 vcc_lo, 0x60, v[23:24]
	v_mov_b32_e32 v23, 0
	v_mov_b32_e32 v24, 0
	s_and_saveexec_b32 s6, vcc_lo
	s_cbranch_execz .LBB148_31
; %bb.28:
	v_lshrrev_b32_e32 v19, 5, v35
	v_mov_b32_e32 v31, 0
	v_mov_b32_e32 v32, 0
	v_lshlrev_b64_e32 v[17:18], 3, v[11:12]
	v_mov_b32_e32 v29, 0
	v_add_nc_u32_e32 v19, 1, v19
	v_mov_b32_e32 v23, 0
	v_dual_mov_b32 v24, 0 :: v_dual_mov_b32 v27, 0
	v_add_co_u32 v37, vcc_lo, s8, v17
	s_delay_alu instid0(VALU_DEP_4) | instskip(SKIP_3) | instid1(VALU_DEP_3)
	v_dual_mov_b32 v30, 0 :: v_dual_and_b32 v39, 3, v19
	s_wait_alu 0xfffd
	v_add_co_ci_u32_e64 v38, null, s9, v18, vcc_lo
	v_mov_b32_e32 v33, 0
	v_sub_co_u32 v39, s2, 0, v39
	v_mov_b32_e32 v25, 0
	v_mov_b32_e32 v19, 0
	v_dual_mov_b32 v17, 0 :: v_dual_mov_b32 v28, 0
	v_mov_b32_e32 v34, 0
	v_mov_b32_e32 v26, 0
	;; [unrolled: 1-line block ×4, first 2 shown]
	s_wait_alu 0xf1ff
	v_sub_co_ci_u32_e64 v40, null, 0, 0, s2
	s_mov_b32 s7, 0
.LBB148_29:                             ; =>This Inner Loop Header: Depth=1
	global_load_b64 v[49:50], v[37:38], off
	s_clause 0x1
	global_load_b128 v[41:44], v[15:16], off offset:16
	global_load_b128 v[45:48], v[15:16], off
	v_add_co_u32 v37, s2, 0x100, v37
	s_wait_alu 0xf1ff
	v_add_co_ci_u32_e64 v38, null, 0, v38, s2
	s_wait_loadcnt 0x2
	v_sub_co_u32 v49, vcc_lo, v49, v9
	s_wait_alu 0xfffd
	v_sub_co_ci_u32_e64 v50, null, v50, v10, vcc_lo
	s_delay_alu instid0(VALU_DEP_1) | instskip(SKIP_1) | instid1(VALU_DEP_1)
	v_lshlrev_b64_e32 v[49:50], 6, v[49:50]
	s_wait_kmcnt 0x0
	v_add_co_u32 v77, vcc_lo, s4, v49
	s_wait_alu 0xfffd
	s_delay_alu instid0(VALU_DEP_2)
	v_add_co_ci_u32_e64 v78, null, s5, v50, vcc_lo
	s_clause 0x1
	global_load_b128 v[49:52], v[77:78], off
	global_load_b128 v[53:56], v[77:78], off offset:16
	s_clause 0x3
	global_load_b128 v[57:60], v[15:16], off offset:32
	global_load_b128 v[61:64], v[15:16], off offset:48
	;; [unrolled: 1-line block ×4, first 2 shown]
	s_clause 0x1
	global_load_b128 v[73:76], v[77:78], off offset:32
	global_load_b128 v[77:80], v[77:78], off offset:48
	s_clause 0x1
	global_load_b128 v[81:84], v[15:16], off offset:96
	global_load_b128 v[85:88], v[15:16], off offset:112
	v_add_co_u32 v15, vcc_lo, 0x1000, v15
	s_wait_alu 0xfffd
	v_add_co_ci_u32_e64 v16, null, 0, v16, vcc_lo
	v_add_co_u32 v39, vcc_lo, v39, 1
	s_wait_alu 0xfffd
	v_add_co_ci_u32_e64 v40, null, 0, v40, vcc_lo
	v_add_co_u32 v11, vcc_lo, v11, 32
	s_wait_alu 0xfffd
	v_add_co_ci_u32_e64 v12, null, 0, v12, vcc_lo
	s_delay_alu instid0(VALU_DEP_3)
	v_cmp_eq_u64_e32 vcc_lo, 0, v[39:40]
	s_wait_alu 0xfffe
	s_or_b32 s7, vcc_lo, s7
	s_wait_loadcnt 0x9
	v_fma_f64 v[27:28], v[45:46], v[49:50], v[27:28]
	v_fma_f64 v[23:24], v[49:50], 0, v[23:24]
	;; [unrolled: 1-line block ×16, first 2 shown]
	s_wait_loadcnt 0x7
	v_fma_f64 v[27:28], v[57:58], v[53:54], v[27:28]
	v_fma_f64 v[23:24], v[53:54], 0, v[23:24]
	;; [unrolled: 1-line block ×4, first 2 shown]
	s_wait_loadcnt 0x6
	v_fma_f64 v[25:26], v[61:62], v[53:54], v[25:26]
	v_fma_f64 v[29:30], v[53:54], 0, v[29:30]
	;; [unrolled: 1-line block ×12, first 2 shown]
	s_wait_loadcnt 0x3
	v_fma_f64 v[27:28], v[69:70], v[73:74], v[27:28]
	v_fma_f64 v[23:24], v[73:74], 0, v[23:24]
	;; [unrolled: 1-line block ×16, first 2 shown]
	s_wait_loadcnt 0x1
	v_fma_f64 v[27:28], v[81:82], v[77:78], v[27:28]
	v_fma_f64 v[23:24], v[77:78], 0, v[23:24]
	;; [unrolled: 1-line block ×4, first 2 shown]
	s_wait_loadcnt 0x0
	v_fma_f64 v[25:26], v[85:86], v[77:78], v[25:26]
	v_fma_f64 v[29:30], v[77:78], 0, v[29:30]
	;; [unrolled: 1-line block ×12, first 2 shown]
	s_wait_alu 0xfffe
	s_and_not1_b32 exec_lo, exec_lo, s7
	s_cbranch_execnz .LBB148_29
; %bb.30:
	s_or_b32 exec_lo, exec_lo, s7
.LBB148_31:
	s_wait_alu 0xfffe
	s_or_b32 exec_lo, exec_lo, s6
	s_delay_alu instid0(SALU_CYCLE_1)
	s_mov_b32 s6, exec_lo
	v_cmpx_lt_u64_e32 0x5f, v[35:36]
	s_cbranch_execz .LBB148_35
; %bb.32:
	v_lshlrev_b64_e32 v[35:36], 3, v[11:12]
	s_mov_b32 s7, 0
	s_delay_alu instid0(VALU_DEP_1) | instskip(SKIP_1) | instid1(VALU_DEP_2)
	v_add_co_u32 v35, vcc_lo, s8, v35
	s_wait_alu 0xfffd
	v_add_co_ci_u32_e64 v36, null, s9, v36, vcc_lo
	s_delay_alu instid0(VALU_DEP_2) | instskip(SKIP_1) | instid1(VALU_DEP_2)
	v_add_co_u32 v35, vcc_lo, 0x200, v35
	s_wait_alu 0xfffd
	v_add_co_ci_u32_e64 v36, null, 0, v36, vcc_lo
.LBB148_33:                             ; =>This Inner Loop Header: Depth=1
	s_clause 0x1
	global_load_b64 v[45:46], v[35:36], off offset:-512
	global_load_b64 v[93:94], v[35:36], off offset:-256
	s_clause 0x1
	global_load_b128 v[37:40], v[15:16], off offset:16
	global_load_b128 v[41:44], v[15:16], off
	s_clause 0x1
	global_load_b64 v[101:102], v[35:36], off
	global_load_b64 v[103:104], v[35:36], off offset:256
	v_add_co_u32 v35, s2, 0x400, v35
	s_wait_alu 0xf1ff
	v_add_co_ci_u32_e64 v36, null, 0, v36, s2
	s_wait_loadcnt 0x5
	v_sub_co_u32 v45, vcc_lo, v45, v9
	s_wait_alu 0xfffd
	v_sub_co_ci_u32_e64 v46, null, v46, v10, vcc_lo
	s_delay_alu instid0(VALU_DEP_1) | instskip(SKIP_1) | instid1(VALU_DEP_1)
	v_lshlrev_b64_e32 v[45:46], 6, v[45:46]
	s_wait_kmcnt 0x0
	v_add_co_u32 v73, vcc_lo, s4, v45
	s_wait_alu 0xfffd
	s_delay_alu instid0(VALU_DEP_2)
	v_add_co_ci_u32_e64 v74, null, s5, v46, vcc_lo
	s_wait_loadcnt 0x4
	v_sub_co_u32 v93, vcc_lo, v93, v9
	s_wait_alu 0xfffd
	v_sub_co_ci_u32_e64 v94, null, v94, v10, vcc_lo
	s_clause 0x1
	global_load_b128 v[45:48], v[73:74], off
	global_load_b128 v[49:52], v[73:74], off offset:16
	s_clause 0x3
	global_load_b128 v[53:56], v[15:16], off offset:32
	global_load_b128 v[57:60], v[15:16], off offset:48
	;; [unrolled: 1-line block ×4, first 2 shown]
	s_clause 0x1
	global_load_b128 v[69:72], v[73:74], off offset:32
	global_load_b128 v[73:76], v[73:74], off offset:48
	s_clause 0x3
	global_load_b128 v[77:80], v[15:16], off offset:96
	global_load_b128 v[81:84], v[15:16], off offset:112
	;; [unrolled: 1-line block ×4, first 2 shown]
	v_lshlrev_b64_e32 v[93:94], 6, v[93:94]
	s_delay_alu instid0(VALU_DEP_1) | instskip(SKIP_1) | instid1(VALU_DEP_2)
	v_add_co_u32 v105, vcc_lo, s4, v93
	s_wait_alu 0xfffd
	v_add_co_ci_u32_e64 v106, null, s5, v94, vcc_lo
	s_clause 0x1
	global_load_b128 v[93:96], v[105:106], off
	global_load_b128 v[97:100], v[105:106], off offset:16
	s_wait_loadcnt 0xd
	v_fma_f64 v[27:28], v[41:42], v[45:46], v[27:28]
	v_fma_f64 v[23:24], v[45:46], 0, v[23:24]
	;; [unrolled: 1-line block ×16, first 2 shown]
	s_clause 0x1
	global_load_b128 v[17:20], v[15:16], off offset:4128
	global_load_b128 v[23:26], v[15:16], off offset:4144
	s_wait_loadcnt 0xd
	v_fma_f64 v[27:28], v[53:54], v[49:50], v[27:28]
	v_fma_f64 v[41:42], v[49:50], 0, v[41:42]
	;; [unrolled: 1-line block ×4, first 2 shown]
	s_wait_loadcnt 0xc
	v_fma_f64 v[43:44], v[57:58], v[49:50], v[43:44]
	v_fma_f64 v[29:30], v[49:50], 0, v[29:30]
	;; [unrolled: 1-line block ×12, first 2 shown]
	s_clause 0x1
	global_load_b128 v[27:30], v[15:16], off offset:4176
	global_load_b128 v[31:34], v[15:16], off offset:4160
	s_clause 0x1
	global_load_b128 v[37:40], v[105:106], off offset:32
	global_load_b128 v[41:44], v[105:106], off offset:48
	s_wait_loadcnt 0xd
	v_fma_f64 v[45:46], v[65:66], v[69:70], v[45:46]
	v_fma_f64 v[47:48], v[69:70], 0, v[47:48]
	;; [unrolled: 1-line block ×16, first 2 shown]
	s_clause 0x1
	global_load_b128 v[45:48], v[15:16], off offset:4192
	global_load_b128 v[49:52], v[15:16], off offset:4208
	s_wait_loadcnt 0xd
	v_fma_f64 v[63:64], v[77:78], v[73:74], v[69:70]
	v_fma_f64 v[65:66], v[73:74], 0, v[65:66]
	;; [unrolled: 1-line block ×4, first 2 shown]
	s_wait_loadcnt 0xc
	v_fma_f64 v[71:72], v[81:82], v[73:74], v[55:56]
	v_fma_f64 v[105:106], v[73:74], 0, v[57:58]
	;; [unrolled: 1-line block ×4, first 2 shown]
	v_sub_co_u32 v73, vcc_lo, v101, v9
	s_wait_alu 0xfffd
	v_sub_co_ci_u32_e64 v74, null, v102, v10, vcc_lo
	s_clause 0x1
	global_load_b128 v[53:56], v[15:16], off offset:8208
	global_load_b128 v[57:60], v[15:16], off offset:8192
	v_fma_f64 v[109:110], 0x80000000, v[75:76], v[63:64]
	v_fma_f64 v[77:78], v[77:78], v[75:76], v[65:66]
	v_fma_f64 v[111:112], 0x80000000, v[75:76], v[67:68]
	v_fma_f64 v[69:70], v[79:80], v[75:76], v[69:70]
	v_fma_f64 v[71:72], 0x80000000, v[75:76], v[71:72]
	v_fma_f64 v[79:80], v[81:82], v[75:76], v[105:106]
	v_fma_f64 v[81:82], 0x80000000, v[75:76], v[107:108]
	v_fma_f64 v[75:76], v[83:84], v[75:76], v[61:62]
	v_lshlrev_b64_e32 v[61:62], 6, v[73:74]
	s_delay_alu instid0(VALU_DEP_1) | instskip(SKIP_1) | instid1(VALU_DEP_2)
	v_add_co_u32 v83, vcc_lo, s4, v61
	s_wait_alu 0xfffd
	v_add_co_ci_u32_e64 v84, null, s5, v62, vcc_lo
	s_clause 0x1
	global_load_b128 v[61:64], v[83:84], off
	global_load_b128 v[65:68], v[83:84], off offset:16
	v_sub_co_u32 v103, vcc_lo, v103, v9
	s_wait_alu 0xfffd
	v_sub_co_ci_u32_e64 v104, null, v104, v10, vcc_lo
	s_wait_loadcnt 0xd
	v_fma_f64 v[73:74], v[89:90], v[93:94], v[109:110]
	v_fma_f64 v[77:78], v[93:94], 0, v[77:78]
	;; [unrolled: 1-line block ×16, first 2 shown]
	s_clause 0x1
	global_load_b128 v[69:72], v[15:16], off offset:8224
	global_load_b128 v[73:76], v[15:16], off offset:8240
	s_wait_loadcnt 0xd
	v_fma_f64 v[87:88], v[17:18], v[97:98], v[93:94]
	v_fma_f64 v[77:78], v[97:98], 0, v[77:78]
	;; [unrolled: 1-line block ×4, first 2 shown]
	s_wait_loadcnt 0xc
	v_fma_f64 v[93:94], v[23:24], v[97:98], v[101:102]
	v_fma_f64 v[79:80], v[97:98], 0, v[79:80]
	;; [unrolled: 1-line block ×12, first 2 shown]
	s_clause 0x1
	global_load_b128 v[17:20], v[15:16], off offset:8272
	global_load_b128 v[23:26], v[15:16], off offset:8256
	s_clause 0x1
	global_load_b128 v[77:80], v[83:84], off offset:32
	global_load_b128 v[81:84], v[83:84], off offset:48
	s_wait_loadcnt 0xd
	v_fma_f64 v[87:88], v[31:32], v[37:38], v[87:88]
	v_fma_f64 v[95:96], v[37:38], 0, v[95:96]
	;; [unrolled: 1-line block ×16, first 2 shown]
	s_clause 0x1
	global_load_b128 v[27:30], v[15:16], off offset:8288
	global_load_b128 v[31:34], v[15:16], off offset:8304
	s_wait_loadcnt 0xd
	v_fma_f64 v[99:100], v[45:46], v[41:42], v[85:86]
	v_fma_f64 v[101:102], v[41:42], 0, v[87:88]
	;; [unrolled: 1-line block ×4, first 2 shown]
	s_wait_loadcnt 0xc
	v_fma_f64 v[93:94], v[49:50], v[41:42], v[93:94]
	v_fma_f64 v[95:96], v[41:42], 0, v[95:96]
	;; [unrolled: 1-line block ×4, first 2 shown]
	s_clause 0x1
	global_load_b128 v[37:40], v[15:16], off offset:12304
	global_load_b128 v[85:88], v[15:16], off offset:12288
	v_fma_f64 v[99:100], 0x80000000, v[43:44], v[99:100]
	v_fma_f64 v[101:102], v[45:46], v[43:44], v[101:102]
	;; [unrolled: 1-line block ×8, first 2 shown]
	v_lshlrev_b64_e32 v[41:42], 6, v[103:104]
	s_delay_alu instid0(VALU_DEP_1) | instskip(SKIP_1) | instid1(VALU_DEP_2)
	v_add_co_u32 v97, vcc_lo, s4, v41
	s_wait_alu 0xfffd
	v_add_co_ci_u32_e64 v98, null, s5, v42, vcc_lo
	s_clause 0x1
	global_load_b128 v[41:44], v[97:98], off
	global_load_b128 v[45:48], v[97:98], off offset:16
	v_add_co_u32 v11, vcc_lo, 0x80, v11
	s_wait_alu 0xfffd
	v_add_co_ci_u32_e64 v12, null, 0, v12, vcc_lo
	s_wait_loadcnt 0xd
	v_fma_f64 v[99:100], v[57:58], v[61:62], v[99:100]
	v_fma_f64 v[101:102], v[61:62], 0, v[101:102]
	v_fma_f64 v[89:90], v[59:60], v[61:62], v[89:90]
	v_fma_f64 v[91:92], v[61:62], 0, v[91:92]
	v_fma_f64 v[93:94], v[53:54], v[61:62], v[93:94]
	v_fma_f64 v[49:50], v[61:62], 0, v[49:50]
	v_fma_f64 v[95:96], v[55:56], v[61:62], v[95:96]
	v_fma_f64 v[51:52], v[61:62], 0, v[51:52]
	v_fma_f64 v[61:62], 0x80000000, v[63:64], v[99:100]
	v_fma_f64 v[57:58], v[57:58], v[63:64], v[101:102]
	v_fma_f64 v[89:90], 0x80000000, v[63:64], v[89:90]
	v_fma_f64 v[59:60], v[59:60], v[63:64], v[91:92]
	v_fma_f64 v[91:92], 0x80000000, v[63:64], v[93:94]
	v_fma_f64 v[93:94], v[53:54], v[63:64], v[49:50]
	v_fma_f64 v[95:96], 0x80000000, v[63:64], v[95:96]
	v_fma_f64 v[63:64], v[55:56], v[63:64], v[51:52]
	s_clause 0x1
	global_load_b128 v[49:52], v[15:16], off offset:12320
	global_load_b128 v[53:56], v[15:16], off offset:12336
	s_wait_loadcnt 0xd
	v_fma_f64 v[61:62], v[69:70], v[65:66], v[61:62]
	v_fma_f64 v[57:58], v[65:66], 0, v[57:58]
	;; [unrolled: 1-line block ×4, first 2 shown]
	s_wait_loadcnt 0xc
	v_fma_f64 v[91:92], v[73:74], v[65:66], v[91:92]
	v_fma_f64 v[93:94], v[65:66], 0, v[93:94]
	;; [unrolled: 1-line block ×12, first 2 shown]
	s_clause 0x1
	global_load_b128 v[57:60], v[15:16], off offset:12368
	global_load_b128 v[61:64], v[15:16], off offset:12352
	s_clause 0x1
	global_load_b128 v[65:68], v[97:98], off offset:32
	global_load_b128 v[69:72], v[97:98], off offset:48
	s_wait_loadcnt 0xd
	v_fma_f64 v[95:96], v[23:24], v[77:78], v[99:100]
	v_fma_f64 v[97:98], v[77:78], 0, v[101:102]
	;; [unrolled: 1-line block ×16, first 2 shown]
	s_clause 0x1
	global_load_b128 v[17:20], v[15:16], off offset:12384
	global_load_b128 v[73:76], v[15:16], off offset:12400
	v_add_co_u32 v15, vcc_lo, 0x4000, v15
	s_wait_alu 0xfffd
	v_add_co_ci_u32_e64 v16, null, 0, v16, vcc_lo
	v_cmp_ge_i64_e32 vcc_lo, v[11:12], v[13:14]
	s_wait_alu 0xfffe
	s_or_b32 s7, vcc_lo, s7
	s_wait_loadcnt 0xd
	v_fma_f64 v[77:78], v[27:28], v[81:82], v[77:78]
	v_fma_f64 v[23:24], v[81:82], 0, v[23:24]
	;; [unrolled: 1-line block ×4, first 2 shown]
	s_wait_loadcnt 0xc
	v_fma_f64 v[91:92], v[31:32], v[81:82], v[91:92]
	v_fma_f64 v[95:96], v[81:82], 0, v[95:96]
	;; [unrolled: 1-line block ×12, first 2 shown]
	s_wait_loadcnt 0x9
	v_fma_f64 v[77:78], v[85:86], v[41:42], v[77:78]
	v_fma_f64 v[23:24], v[41:42], 0, v[23:24]
	;; [unrolled: 1-line block ×16, first 2 shown]
	s_wait_loadcnt 0x7
	v_fma_f64 v[39:40], v[49:50], v[45:46], v[41:42]
	v_fma_f64 v[23:24], v[45:46], 0, v[23:24]
	;; [unrolled: 1-line block ×4, first 2 shown]
	s_wait_loadcnt 0x6
	v_fma_f64 v[29:30], v[53:54], v[45:46], v[29:30]
	v_fma_f64 v[31:32], v[45:46], 0, v[31:32]
	;; [unrolled: 1-line block ×12, first 2 shown]
	s_wait_loadcnt 0x3
	v_fma_f64 v[39:40], v[61:62], v[65:66], v[39:40]
	v_fma_f64 v[23:24], v[65:66], 0, v[23:24]
	;; [unrolled: 1-line block ×16, first 2 shown]
	s_wait_loadcnt 0x1
	v_fma_f64 v[39:40], v[17:18], v[69:70], v[39:40]
	v_fma_f64 v[23:24], v[69:70], 0, v[23:24]
	v_fma_f64 v[41:42], v[19:20], v[69:70], v[27:28]
	v_fma_f64 v[25:26], v[69:70], 0, v[25:26]
	s_wait_loadcnt 0x0
	v_fma_f64 v[29:30], v[73:74], v[69:70], v[29:30]
	v_fma_f64 v[43:44], v[69:70], 0, v[31:32]
	;; [unrolled: 1-line block ×12, first 2 shown]
	s_wait_alu 0xfffe
	s_and_not1_b32 exec_lo, exec_lo, s7
	s_cbranch_execnz .LBB148_33
; %bb.34:
	s_or_b32 exec_lo, exec_lo, s7
.LBB148_35:
	s_wait_alu 0xfffe
	s_or_b32 exec_lo, exec_lo, s6
.LBB148_36:
	s_wait_alu 0xfffe
	s_or_b32 exec_lo, exec_lo, s3
.LBB148_37:
	v_mbcnt_lo_u32_b32 v45, -1, 0
	s_delay_alu instid0(VALU_DEP_1) | instskip(NEXT) | instid1(VALU_DEP_1)
	v_xor_b32_e32 v9, 16, v45
	v_cmp_gt_i32_e32 vcc_lo, 32, v9
	s_wait_alu 0xfffd
	v_cndmask_b32_e32 v9, v45, v9, vcc_lo
	s_delay_alu instid0(VALU_DEP_1)
	v_lshlrev_b32_e32 v42, 2, v9
	ds_bpermute_b32 v9, v42, v27
	ds_bpermute_b32 v10, v42, v28
	s_wait_dscnt 0x0
	v_add_f64_e32 v[9:10], v[27:28], v[9:10]
	v_xor_b32_e32 v27, 8, v45
	s_delay_alu instid0(VALU_DEP_1)
	v_cmp_gt_i32_e32 vcc_lo, 32, v27
	s_wait_alu 0xfffd
	v_cndmask_b32_e32 v27, v45, v27, vcc_lo
	ds_bpermute_b32 v11, v42, v23
	ds_bpermute_b32 v12, v42, v24
	;; [unrolled: 1-line block ×14, first 2 shown]
	s_wait_dscnt 0xc
	v_add_f64_e32 v[11:12], v[23:24], v[11:12]
	s_wait_dscnt 0xa
	v_add_f64_e32 v[13:14], v[33:34], v[13:14]
	;; [unrolled: 2-line block ×7, first 2 shown]
	v_lshlrev_b32_e32 v42, 2, v27
	ds_bpermute_b32 v27, v42, v9
	ds_bpermute_b32 v28, v42, v10
	;; [unrolled: 1-line block ×16, first 2 shown]
	s_wait_dscnt 0xe
	v_add_f64_e32 v[9:10], v[9:10], v[27:28]
	v_xor_b32_e32 v27, 4, v45
	s_delay_alu instid0(VALU_DEP_1)
	v_cmp_gt_i32_e32 vcc_lo, 32, v27
	s_wait_dscnt 0xc
	v_add_f64_e32 v[11:12], v[11:12], v[29:30]
	s_wait_dscnt 0xa
	v_add_f64_e32 v[13:14], v[13:14], v[31:32]
	;; [unrolled: 2-line block ×3, first 2 shown]
	s_wait_alu 0xfffd
	v_cndmask_b32_e32 v27, v45, v27, vcc_lo
	s_wait_dscnt 0x6
	v_add_f64_e32 v[23:24], v[23:24], v[35:36]
	s_wait_dscnt 0x4
	v_add_f64_e32 v[25:26], v[25:26], v[37:38]
	;; [unrolled: 2-line block ×4, first 2 shown]
	v_lshlrev_b32_e32 v42, 2, v27
	ds_bpermute_b32 v27, v42, v9
	ds_bpermute_b32 v28, v42, v10
	;; [unrolled: 1-line block ×16, first 2 shown]
	s_wait_dscnt 0xe
	v_add_f64_e32 v[9:10], v[9:10], v[27:28]
	s_wait_dscnt 0xc
	v_add_f64_e32 v[11:12], v[11:12], v[29:30]
	;; [unrolled: 2-line block ×8, first 2 shown]
	v_xor_b32_e32 v19, 2, v45
	s_delay_alu instid0(VALU_DEP_1) | instskip(SKIP_2) | instid1(VALU_DEP_1)
	v_cmp_gt_i32_e32 vcc_lo, 32, v19
	s_wait_alu 0xfffd
	v_cndmask_b32_e32 v19, v45, v19, vcc_lo
	v_lshlrev_b32_e32 v29, 2, v19
	ds_bpermute_b32 v19, v29, v9
	ds_bpermute_b32 v20, v29, v10
	;; [unrolled: 1-line block ×16, first 2 shown]
	s_wait_dscnt 0xe
	v_add_f64_e32 v[9:10], v[9:10], v[19:20]
	s_wait_dscnt 0xc
	v_add_f64_e32 v[29:30], v[11:12], v[25:26]
	;; [unrolled: 2-line block ×5, first 2 shown]
	v_xor_b32_e32 v23, 1, v45
	s_wait_dscnt 0x4
	v_add_f64_e32 v[19:20], v[27:28], v[39:40]
	s_wait_dscnt 0x2
	v_add_f64_e32 v[15:16], v[17:18], v[41:42]
	;; [unrolled: 2-line block ×3, first 2 shown]
	v_cmp_gt_i32_e32 vcc_lo, 32, v23
	s_wait_alu 0xfffd
	v_cndmask_b32_e32 v23, v45, v23, vcc_lo
	v_cmp_eq_u32_e32 vcc_lo, 31, v0
	s_delay_alu instid0(VALU_DEP_2)
	v_lshlrev_b32_e32 v36, 2, v23
	ds_bpermute_b32 v23, v36, v9
	ds_bpermute_b32 v24, v36, v10
	;; [unrolled: 1-line block ×16, first 2 shown]
	s_and_b32 exec_lo, exec_lo, vcc_lo
	s_cbranch_execz .LBB148_8
; %bb.38:
	s_wait_dscnt 0xc
	v_add_f64_e32 v[29:30], v[29:30], v[41:42]
	s_wait_dscnt 0x8
	v_add_f64_e32 v[25:26], v[25:26], v[39:40]
	;; [unrolled: 2-line block ×4, first 2 shown]
	v_add_f64_e32 v[9:10], v[9:10], v[23:24]
	v_add_f64_e32 v[11:12], v[11:12], v[27:28]
	;; [unrolled: 1-line block ×4, first 2 shown]
	v_cmp_eq_f64_e32 vcc_lo, 0, v[1:2]
	v_cmp_eq_f64_e64 s2, 0, v[3:4]
	s_load_b64 s[0:1], s[0:1], 0x68
	v_lshlrev_b64_e32 v[21:22], 6, v[21:22]
	v_mul_f64_e64 v[13:14], v[29:30], -v[7:8]
	v_mul_f64_e32 v[15:16], v[5:6], v[29:30]
	v_mul_f64_e64 v[29:30], v[25:26], -v[7:8]
	v_mul_f64_e32 v[25:26], v[5:6], v[25:26]
	;; [unrolled: 2-line block ×4, first 2 shown]
	s_and_b32 s2, vcc_lo, s2
	v_fma_f64 v[17:18], v[5:6], v[9:10], v[13:14]
	v_fma_f64 v[19:20], v[7:8], v[9:10], v[15:16]
	;; [unrolled: 1-line block ×8, first 2 shown]
	s_wait_alu 0xfffe
	s_and_saveexec_b32 s3, s2
	s_wait_alu 0xfffe
	s_xor_b32 s2, exec_lo, s3
	s_cbranch_execz .LBB148_40
; %bb.39:
	s_wait_kmcnt 0x0
	v_add_co_u32 v0, vcc_lo, s0, v21
	s_wait_alu 0xfffd
	v_add_co_ci_u32_e64 v1, null, s1, v22, vcc_lo
                                        ; implicit-def: $vgpr21_vgpr22
	s_clause 0x3
	global_store_b128 v[0:1], v[17:20], off
	global_store_b128 v[0:1], v[13:16], off offset:16
	global_store_b128 v[0:1], v[9:12], off offset:32
	;; [unrolled: 1-line block ×3, first 2 shown]
                                        ; implicit-def: $vgpr3_vgpr4
                                        ; implicit-def: $vgpr17_vgpr18
                                        ; implicit-def: $vgpr13_vgpr14
                                        ; implicit-def: $vgpr9_vgpr10
                                        ; implicit-def: $vgpr5_vgpr6
.LBB148_40:
	s_wait_alu 0xfffe
	s_and_not1_saveexec_b32 s2, s2
	s_cbranch_execz .LBB148_8
; %bb.41:
	s_wait_kmcnt 0x0
	v_add_co_u32 v37, vcc_lo, s0, v21
	s_wait_alu 0xfffd
	v_add_co_ci_u32_e64 v38, null, s1, v22, vcc_lo
	s_clause 0x3
	global_load_b128 v[21:24], v[37:38], off
	global_load_b128 v[25:28], v[37:38], off offset:16
	global_load_b128 v[29:32], v[37:38], off offset:32
	;; [unrolled: 1-line block ×3, first 2 shown]
	s_wait_loadcnt 0x3
	v_fma_f64 v[17:18], v[1:2], v[21:22], v[17:18]
	v_fma_f64 v[19:20], v[3:4], v[21:22], v[19:20]
	s_wait_loadcnt 0x2
	v_fma_f64 v[13:14], v[1:2], v[25:26], v[13:14]
	v_fma_f64 v[15:16], v[3:4], v[25:26], v[15:16]
	;; [unrolled: 3-line block ×4, first 2 shown]
	v_fma_f64 v[5:6], -v[3:4], v[23:24], v[17:18]
	v_fma_f64 v[7:8], v[1:2], v[23:24], v[19:20]
	v_fma_f64 v[9:10], -v[3:4], v[27:28], v[13:14]
	v_fma_f64 v[11:12], v[1:2], v[27:28], v[15:16]
	;; [unrolled: 2-line block ×4, first 2 shown]
	s_clause 0x3
	global_store_b128 v[37:38], v[5:8], off
	global_store_b128 v[37:38], v[9:12], off offset:16
	global_store_b128 v[37:38], v[13:16], off offset:32
	;; [unrolled: 1-line block ×3, first 2 shown]
	s_nop 0
	s_sendmsg sendmsg(MSG_DEALLOC_VGPRS)
	s_endpgm
	.section	.rodata,"a",@progbits
	.p2align	6, 0x0
	.amdhsa_kernel _ZN9rocsparseL18bsrxmvn_4x4_kernelILj128ELj32E21rocsparse_complex_numIdElldS2_S2_EEvT3_20rocsparse_direction_NS_24const_host_device_scalarIT1_EES3_PKS3_PKT2_SC_S9_PKT4_PKT5_S7_PT6_21rocsparse_index_base_b
		.amdhsa_group_segment_fixed_size 0
		.amdhsa_private_segment_fixed_size 0
		.amdhsa_kernarg_size 120
		.amdhsa_user_sgpr_count 2
		.amdhsa_user_sgpr_dispatch_ptr 0
		.amdhsa_user_sgpr_queue_ptr 0
		.amdhsa_user_sgpr_kernarg_segment_ptr 1
		.amdhsa_user_sgpr_dispatch_id 0
		.amdhsa_user_sgpr_private_segment_size 0
		.amdhsa_wavefront_size32 1
		.amdhsa_uses_dynamic_stack 0
		.amdhsa_enable_private_segment 0
		.amdhsa_system_sgpr_workgroup_id_x 1
		.amdhsa_system_sgpr_workgroup_id_y 0
		.amdhsa_system_sgpr_workgroup_id_z 0
		.amdhsa_system_sgpr_workgroup_info 0
		.amdhsa_system_vgpr_workitem_id 0
		.amdhsa_next_free_vgpr 121
		.amdhsa_next_free_sgpr 12
		.amdhsa_reserve_vcc 1
		.amdhsa_float_round_mode_32 0
		.amdhsa_float_round_mode_16_64 0
		.amdhsa_float_denorm_mode_32 3
		.amdhsa_float_denorm_mode_16_64 3
		.amdhsa_fp16_overflow 0
		.amdhsa_workgroup_processor_mode 1
		.amdhsa_memory_ordered 1
		.amdhsa_forward_progress 1
		.amdhsa_inst_pref_size 95
		.amdhsa_round_robin_scheduling 0
		.amdhsa_exception_fp_ieee_invalid_op 0
		.amdhsa_exception_fp_denorm_src 0
		.amdhsa_exception_fp_ieee_div_zero 0
		.amdhsa_exception_fp_ieee_overflow 0
		.amdhsa_exception_fp_ieee_underflow 0
		.amdhsa_exception_fp_ieee_inexact 0
		.amdhsa_exception_int_div_zero 0
	.end_amdhsa_kernel
	.section	.text._ZN9rocsparseL18bsrxmvn_4x4_kernelILj128ELj32E21rocsparse_complex_numIdElldS2_S2_EEvT3_20rocsparse_direction_NS_24const_host_device_scalarIT1_EES3_PKS3_PKT2_SC_S9_PKT4_PKT5_S7_PT6_21rocsparse_index_base_b,"axG",@progbits,_ZN9rocsparseL18bsrxmvn_4x4_kernelILj128ELj32E21rocsparse_complex_numIdElldS2_S2_EEvT3_20rocsparse_direction_NS_24const_host_device_scalarIT1_EES3_PKS3_PKT2_SC_S9_PKT4_PKT5_S7_PT6_21rocsparse_index_base_b,comdat
.Lfunc_end148:
	.size	_ZN9rocsparseL18bsrxmvn_4x4_kernelILj128ELj32E21rocsparse_complex_numIdElldS2_S2_EEvT3_20rocsparse_direction_NS_24const_host_device_scalarIT1_EES3_PKS3_PKT2_SC_S9_PKT4_PKT5_S7_PT6_21rocsparse_index_base_b, .Lfunc_end148-_ZN9rocsparseL18bsrxmvn_4x4_kernelILj128ELj32E21rocsparse_complex_numIdElldS2_S2_EEvT3_20rocsparse_direction_NS_24const_host_device_scalarIT1_EES3_PKS3_PKT2_SC_S9_PKT4_PKT5_S7_PT6_21rocsparse_index_base_b
                                        ; -- End function
	.set _ZN9rocsparseL18bsrxmvn_4x4_kernelILj128ELj32E21rocsparse_complex_numIdElldS2_S2_EEvT3_20rocsparse_direction_NS_24const_host_device_scalarIT1_EES3_PKS3_PKT2_SC_S9_PKT4_PKT5_S7_PT6_21rocsparse_index_base_b.num_vgpr, 121
	.set _ZN9rocsparseL18bsrxmvn_4x4_kernelILj128ELj32E21rocsparse_complex_numIdElldS2_S2_EEvT3_20rocsparse_direction_NS_24const_host_device_scalarIT1_EES3_PKS3_PKT2_SC_S9_PKT4_PKT5_S7_PT6_21rocsparse_index_base_b.num_agpr, 0
	.set _ZN9rocsparseL18bsrxmvn_4x4_kernelILj128ELj32E21rocsparse_complex_numIdElldS2_S2_EEvT3_20rocsparse_direction_NS_24const_host_device_scalarIT1_EES3_PKS3_PKT2_SC_S9_PKT4_PKT5_S7_PT6_21rocsparse_index_base_b.numbered_sgpr, 12
	.set _ZN9rocsparseL18bsrxmvn_4x4_kernelILj128ELj32E21rocsparse_complex_numIdElldS2_S2_EEvT3_20rocsparse_direction_NS_24const_host_device_scalarIT1_EES3_PKS3_PKT2_SC_S9_PKT4_PKT5_S7_PT6_21rocsparse_index_base_b.num_named_barrier, 0
	.set _ZN9rocsparseL18bsrxmvn_4x4_kernelILj128ELj32E21rocsparse_complex_numIdElldS2_S2_EEvT3_20rocsparse_direction_NS_24const_host_device_scalarIT1_EES3_PKS3_PKT2_SC_S9_PKT4_PKT5_S7_PT6_21rocsparse_index_base_b.private_seg_size, 0
	.set _ZN9rocsparseL18bsrxmvn_4x4_kernelILj128ELj32E21rocsparse_complex_numIdElldS2_S2_EEvT3_20rocsparse_direction_NS_24const_host_device_scalarIT1_EES3_PKS3_PKT2_SC_S9_PKT4_PKT5_S7_PT6_21rocsparse_index_base_b.uses_vcc, 1
	.set _ZN9rocsparseL18bsrxmvn_4x4_kernelILj128ELj32E21rocsparse_complex_numIdElldS2_S2_EEvT3_20rocsparse_direction_NS_24const_host_device_scalarIT1_EES3_PKS3_PKT2_SC_S9_PKT4_PKT5_S7_PT6_21rocsparse_index_base_b.uses_flat_scratch, 0
	.set _ZN9rocsparseL18bsrxmvn_4x4_kernelILj128ELj32E21rocsparse_complex_numIdElldS2_S2_EEvT3_20rocsparse_direction_NS_24const_host_device_scalarIT1_EES3_PKS3_PKT2_SC_S9_PKT4_PKT5_S7_PT6_21rocsparse_index_base_b.has_dyn_sized_stack, 0
	.set _ZN9rocsparseL18bsrxmvn_4x4_kernelILj128ELj32E21rocsparse_complex_numIdElldS2_S2_EEvT3_20rocsparse_direction_NS_24const_host_device_scalarIT1_EES3_PKS3_PKT2_SC_S9_PKT4_PKT5_S7_PT6_21rocsparse_index_base_b.has_recursion, 0
	.set _ZN9rocsparseL18bsrxmvn_4x4_kernelILj128ELj32E21rocsparse_complex_numIdElldS2_S2_EEvT3_20rocsparse_direction_NS_24const_host_device_scalarIT1_EES3_PKS3_PKT2_SC_S9_PKT4_PKT5_S7_PT6_21rocsparse_index_base_b.has_indirect_call, 0
	.section	.AMDGPU.csdata,"",@progbits
; Kernel info:
; codeLenInByte = 12136
; TotalNumSgprs: 14
; NumVgprs: 121
; ScratchSize: 0
; MemoryBound: 0
; FloatMode: 240
; IeeeMode: 1
; LDSByteSize: 0 bytes/workgroup (compile time only)
; SGPRBlocks: 0
; VGPRBlocks: 15
; NumSGPRsForWavesPerEU: 14
; NumVGPRsForWavesPerEU: 121
; Occupancy: 10
; WaveLimiterHint : 1
; COMPUTE_PGM_RSRC2:SCRATCH_EN: 0
; COMPUTE_PGM_RSRC2:USER_SGPR: 2
; COMPUTE_PGM_RSRC2:TRAP_HANDLER: 0
; COMPUTE_PGM_RSRC2:TGID_X_EN: 1
; COMPUTE_PGM_RSRC2:TGID_Y_EN: 0
; COMPUTE_PGM_RSRC2:TGID_Z_EN: 0
; COMPUTE_PGM_RSRC2:TIDIG_COMP_CNT: 0
	.section	.text._ZN9rocsparseL18bsrxmvn_4x4_kernelILj128ELj64E21rocsparse_complex_numIdElldS2_S2_EEvT3_20rocsparse_direction_NS_24const_host_device_scalarIT1_EES3_PKS3_PKT2_SC_S9_PKT4_PKT5_S7_PT6_21rocsparse_index_base_b,"axG",@progbits,_ZN9rocsparseL18bsrxmvn_4x4_kernelILj128ELj64E21rocsparse_complex_numIdElldS2_S2_EEvT3_20rocsparse_direction_NS_24const_host_device_scalarIT1_EES3_PKS3_PKT2_SC_S9_PKT4_PKT5_S7_PT6_21rocsparse_index_base_b,comdat
	.globl	_ZN9rocsparseL18bsrxmvn_4x4_kernelILj128ELj64E21rocsparse_complex_numIdElldS2_S2_EEvT3_20rocsparse_direction_NS_24const_host_device_scalarIT1_EES3_PKS3_PKT2_SC_S9_PKT4_PKT5_S7_PT6_21rocsparse_index_base_b ; -- Begin function _ZN9rocsparseL18bsrxmvn_4x4_kernelILj128ELj64E21rocsparse_complex_numIdElldS2_S2_EEvT3_20rocsparse_direction_NS_24const_host_device_scalarIT1_EES3_PKS3_PKT2_SC_S9_PKT4_PKT5_S7_PT6_21rocsparse_index_base_b
	.p2align	8
	.type	_ZN9rocsparseL18bsrxmvn_4x4_kernelILj128ELj64E21rocsparse_complex_numIdElldS2_S2_EEvT3_20rocsparse_direction_NS_24const_host_device_scalarIT1_EES3_PKS3_PKT2_SC_S9_PKT4_PKT5_S7_PT6_21rocsparse_index_base_b,@function
_ZN9rocsparseL18bsrxmvn_4x4_kernelILj128ELj64E21rocsparse_complex_numIdElldS2_S2_EEvT3_20rocsparse_direction_NS_24const_host_device_scalarIT1_EES3_PKS3_PKT2_SC_S9_PKT4_PKT5_S7_PT6_21rocsparse_index_base_b: ; @_ZN9rocsparseL18bsrxmvn_4x4_kernelILj128ELj64E21rocsparse_complex_numIdElldS2_S2_EEvT3_20rocsparse_direction_NS_24const_host_device_scalarIT1_EES3_PKS3_PKT2_SC_S9_PKT4_PKT5_S7_PT6_21rocsparse_index_base_b
; %bb.0:
	s_clause 0x1
	s_load_b64 s[4:5], s[0:1], 0x70
	s_load_b64 s[2:3], s[0:1], 0x10
	s_add_nc_u64 s[6:7], s[0:1], 16
	s_load_b64 s[8:9], s[0:1], 0x58
	s_wait_kmcnt 0x0
	s_bitcmp1_b32 s5, 0
	s_cselect_b32 s2, s6, s2
	s_cselect_b32 s3, s7, s3
	s_delay_alu instid0(SALU_CYCLE_1)
	v_dual_mov_b32 v1, s2 :: v_dual_mov_b32 v2, s3
	s_add_nc_u64 s[2:3], s[0:1], 0x58
	s_wait_alu 0xfffe
	s_cselect_b32 s2, s2, s8
	s_cselect_b32 s3, s3, s9
	flat_load_b128 v[5:8], v[1:2]
	s_wait_alu 0xfffe
	v_dual_mov_b32 v1, s2 :: v_dual_mov_b32 v2, s3
	flat_load_b128 v[1:4], v[1:2]
	s_wait_loadcnt_dscnt 0x101
	v_cmp_eq_f64_e32 vcc_lo, 0, v[5:6]
	v_cmp_eq_f64_e64 s2, 0, v[7:8]
	s_and_b32 s5, vcc_lo, s2
	s_mov_b32 s2, -1
	s_and_saveexec_b32 s3, s5
	s_cbranch_execz .LBB149_2
; %bb.1:
	s_wait_loadcnt_dscnt 0x0
	v_cmp_neq_f64_e32 vcc_lo, 1.0, v[1:2]
	v_cmp_neq_f64_e64 s2, 0, v[3:4]
	s_wait_alu 0xfffe
	s_or_b32 s2, vcc_lo, s2
	s_wait_alu 0xfffe
	s_or_not1_b32 s2, s2, exec_lo
.LBB149_2:
	s_wait_alu 0xfffe
	s_or_b32 exec_lo, exec_lo, s3
	s_and_saveexec_b32 s3, s2
	s_cbranch_execz .LBB149_8
; %bb.3:
	s_load_b64 s[2:3], s[0:1], 0x28
	v_lshrrev_b32_e32 v9, 6, v0
	v_mov_b32_e32 v12, 0
	s_delay_alu instid0(VALU_DEP_2)
	v_lshl_or_b32 v11, ttmp9, 1, v9
	s_wait_kmcnt 0x0
	s_cmp_lg_u64 s[2:3], 0
	s_cbranch_scc0 .LBB149_9
; %bb.4:
	s_load_b64 s[6:7], s[0:1], 0x20
                                        ; implicit-def: $vgpr21_vgpr22
                                        ; implicit-def: $vgpr9_vgpr10
	s_wait_kmcnt 0x0
	v_cmp_gt_i64_e32 vcc_lo, s[6:7], v[11:12]
	s_mov_b32 s7, 0
	s_mov_b32 s6, 0
	s_and_saveexec_b32 s5, vcc_lo
	s_delay_alu instid0(SALU_CYCLE_1)
	s_xor_b32 s8, exec_lo, s5
	s_cbranch_execz .LBB149_6
; %bb.5:
	v_lshlrev_b64_e32 v[9:10], 3, v[11:12]
	s_mov_b32 s5, 0
	s_mov_b32 s6, exec_lo
	s_delay_alu instid0(VALU_DEP_1) | instskip(NEXT) | instid1(VALU_DEP_1)
	v_add_co_u32 v9, vcc_lo, s2, v9
	v_add_co_ci_u32_e64 v10, null, s3, v10, vcc_lo
	global_load_b64 v[9:10], v[9:10], off
	s_wait_loadcnt 0x0
	v_sub_co_u32 v21, vcc_lo, v9, s4
	s_wait_alu 0xfffd
	v_subrev_co_ci_u32_e64 v22, null, 0, v10, vcc_lo
	v_dual_mov_b32 v10, s5 :: v_dual_mov_b32 v9, s4
.LBB149_6:
	s_or_b32 exec_lo, exec_lo, s8
	s_wait_alu 0xfffe
	s_and_b32 vcc_lo, exec_lo, s7
	s_wait_alu 0xfffe
	s_cbranch_vccnz .LBB149_10
.LBB149_7:
	s_and_b32 exec_lo, exec_lo, s6
	s_cbranch_execnz .LBB149_13
.LBB149_8:
	s_nop 0
	s_sendmsg sendmsg(MSG_DEALLOC_VGPRS)
	s_endpgm
.LBB149_9:
	s_mov_b32 s6, 0
                                        ; implicit-def: $vgpr21_vgpr22
                                        ; implicit-def: $vgpr9_vgpr10
	s_cbranch_execz .LBB149_7
.LBB149_10:
	s_load_b64 s[2:3], s[0:1], 0x0
	s_wait_kmcnt 0x0
	v_cmp_gt_i64_e32 vcc_lo, s[2:3], v[11:12]
	s_and_saveexec_b32 s2, vcc_lo
; %bb.11:
	s_mov_b32 s5, 0
	s_or_b32 s6, s6, exec_lo
; %bb.12:
	s_wait_alu 0xfffe
	s_or_b32 exec_lo, exec_lo, s2
	v_dual_mov_b32 v10, s5 :: v_dual_mov_b32 v9, s4
	v_dual_mov_b32 v22, v12 :: v_dual_mov_b32 v21, v11
	s_and_b32 exec_lo, exec_lo, s6
	s_cbranch_execz .LBB149_8
.LBB149_13:
	s_load_b256 s[4:11], s[0:1], 0x30
	s_delay_alu instid0(VALU_DEP_1) | instskip(SKIP_3) | instid1(VALU_DEP_2)
	v_lshlrev_b64_e32 v[11:12], 3, v[21:22]
	v_and_b32_e32 v0, 63, v0
	s_load_b32 s3, s[0:1], 0x8
	s_wait_kmcnt 0x0
	v_add_co_u32 v13, vcc_lo, s4, v11
	s_wait_alu 0xfffd
	v_add_co_ci_u32_e64 v14, null, s5, v12, vcc_lo
	v_add_co_u32 v11, vcc_lo, s6, v11
	s_wait_alu 0xfffd
	v_add_co_ci_u32_e64 v12, null, s7, v12, vcc_lo
	v_add_co_u32 v15, vcc_lo, v13, 8
	global_load_b64 v[35:36], v[13:14], off
	s_wait_alu 0xfffd
	v_add_co_ci_u32_e64 v16, null, 0, v14, vcc_lo
	s_cmp_eq_u64 s[6:7], 0
	s_load_b64 s[4:5], s[0:1], 0x50
	s_cselect_b32 vcc_lo, -1, 0
	s_cmp_eq_u32 s3, 1
	s_wait_alu 0xfffe
	v_dual_cndmask_b32 v12, v12, v16 :: v_dual_cndmask_b32 v11, v11, v15
	global_load_b64 v[13:14], v[11:12], off
	s_wait_loadcnt 0x1
	v_sub_co_u32 v11, vcc_lo, v35, v9
	s_wait_alu 0xfffd
	v_sub_co_ci_u32_e64 v12, null, v36, v10, vcc_lo
	s_delay_alu instid0(VALU_DEP_2) | instskip(SKIP_1) | instid1(VALU_DEP_2)
	v_add_co_u32 v11, vcc_lo, v11, v0
	s_wait_alu 0xfffd
	v_add_co_ci_u32_e64 v12, null, 0, v12, vcc_lo
	s_delay_alu instid0(VALU_DEP_1) | instskip(SKIP_4) | instid1(VALU_DEP_3)
	v_lshlrev_b64_e32 v[15:16], 7, v[11:12]
	s_wait_loadcnt 0x0
	v_sub_co_u32 v13, vcc_lo, v13, v9
	s_wait_alu 0xfffd
	v_sub_co_ci_u32_e64 v14, null, v14, v10, vcc_lo
	v_add_co_u32 v15, vcc_lo, s10, v15
	s_delay_alu instid0(VALU_DEP_2)
	v_cmp_lt_i64_e64 s2, v[11:12], v[13:14]
	s_wait_alu 0xfffd
	v_add_co_ci_u32_e64 v16, null, s11, v16, vcc_lo
	s_cbranch_scc1 .LBB149_25
; %bb.14:
	v_mov_b32_e32 v23, 0
	v_mov_b32_e32 v31, 0
	;; [unrolled: 1-line block ×3, first 2 shown]
	v_dual_mov_b32 v19, 0 :: v_dual_mov_b32 v24, 0
	v_dual_mov_b32 v27, 0 :: v_dual_mov_b32 v32, 0
	;; [unrolled: 1-line block ×5, first 2 shown]
	v_mov_b32_e32 v34, 0
	v_mov_b32_e32 v26, 0
	;; [unrolled: 1-line block ×3, first 2 shown]
	s_and_saveexec_b32 s6, s2
	s_cbranch_execz .LBB149_24
; %bb.15:
	v_or_b32_e32 v17, 64, v0
	v_not_b32_e32 v24, v35
	v_mov_b32_e32 v38, 0
	v_not_b32_e32 v23, v36
	v_mov_b32_e32 v31, 0
	v_sub_co_u32 v17, vcc_lo, v17, v9
	s_wait_alu 0xfffd
	v_sub_co_ci_u32_e64 v18, null, 0, v10, vcc_lo
	v_mov_b32_e32 v29, 0
	s_delay_alu instid0(VALU_DEP_3) | instskip(SKIP_1) | instid1(VALU_DEP_3)
	v_add_co_u32 v19, vcc_lo, v17, v35
	s_wait_alu 0xfffd
	v_add_co_ci_u32_e64 v20, null, v18, v36, vcc_lo
	v_sub_co_u32 v25, vcc_lo, v9, v0
	s_wait_alu 0xfffd
	v_subrev_co_ci_u32_e64 v26, null, 0, v10, vcc_lo
	s_delay_alu instid0(VALU_DEP_3) | instskip(NEXT) | instid1(VALU_DEP_3)
	v_cmp_gt_i64_e32 vcc_lo, v[19:20], v[13:14]
	v_add_co_u32 v24, s3, v25, v24
	v_mov_b32_e32 v17, 0
	v_mov_b32_e32 v18, 0
	s_wait_alu 0xf1ff
	v_add_co_ci_u32_e64 v23, null, v26, v23, s3
	s_wait_alu 0xfffd
	v_cndmask_b32_e32 v25, v13, v19, vcc_lo
	v_cndmask_b32_e32 v27, v14, v20, vcc_lo
	v_mov_b32_e32 v19, 0
	v_dual_mov_b32 v20, 0 :: v_dual_mov_b32 v33, 0
	s_delay_alu instid0(VALU_DEP_4) | instskip(SKIP_3) | instid1(VALU_DEP_3)
	v_add_co_u32 v41, vcc_lo, v24, v25
	v_dual_mov_b32 v25, 0 :: v_dual_mov_b32 v30, 0
	s_wait_alu 0xfffd
	v_add_co_ci_u32_e64 v42, null, v23, v27, vcc_lo
	v_dual_mov_b32 v32, 0 :: v_dual_and_b32 v37, 0xc0, v41
	v_dual_mov_b32 v27, 0 :: v_dual_mov_b32 v40, v16
	v_mov_b32_e32 v23, 0
	s_delay_alu instid0(VALU_DEP_3)
	v_cmp_ne_u64_e32 vcc_lo, 0xc0, v[37:38]
	v_mov_b32_e32 v38, v12
	v_mov_b32_e32 v26, 0
	;; [unrolled: 1-line block ×4, first 2 shown]
	v_dual_mov_b32 v24, 0 :: v_dual_mov_b32 v39, v15
	v_mov_b32_e32 v37, v11
	s_and_saveexec_b32 s7, vcc_lo
	s_cbranch_execz .LBB149_19
; %bb.16:
	v_lshrrev_b32_e32 v19, 6, v41
	v_lshlrev_b64_e32 v[17:18], 3, v[11:12]
	v_dual_mov_b32 v23, 0 :: v_dual_mov_b32 v38, v12
	v_mov_b32_e32 v29, 0
	s_delay_alu instid0(VALU_DEP_4) | instskip(NEXT) | instid1(VALU_DEP_4)
	v_dual_mov_b32 v24, 0 :: v_dual_add_nc_u32 v19, 1, v19
	v_add_co_u32 v43, vcc_lo, s8, v17
	v_mov_b32_e32 v27, 0
	s_delay_alu instid0(VALU_DEP_3) | instskip(SKIP_3) | instid1(VALU_DEP_3)
	v_dual_mov_b32 v30, 0 :: v_dual_and_b32 v19, 3, v19
	v_mov_b32_e32 v31, 0
	s_wait_alu 0xfffd
	v_add_co_ci_u32_e64 v44, null, s9, v18, vcc_lo
	v_sub_co_u32 v45, s3, 0, v19
	v_mov_b32_e32 v33, 0
	v_mov_b32_e32 v25, 0
	v_dual_mov_b32 v19, 0 :: v_dual_mov_b32 v40, v16
	v_mov_b32_e32 v17, 0
	v_dual_mov_b32 v37, v11 :: v_dual_mov_b32 v28, 0
	v_mov_b32_e32 v32, 0
	s_wait_alu 0xf1ff
	v_sub_co_ci_u32_e64 v46, null, 0, 0, s3
	v_mov_b32_e32 v34, 0
	v_mov_b32_e32 v26, 0
	;; [unrolled: 1-line block ×3, first 2 shown]
	v_dual_mov_b32 v18, 0 :: v_dual_mov_b32 v39, v15
	s_mov_b32 s10, 0
.LBB149_17:                             ; =>This Inner Loop Header: Depth=1
	global_load_b64 v[79:80], v[43:44], off
	s_clause 0x7
	global_load_b128 v[47:50], v[39:40], off offset:48
	global_load_b128 v[51:54], v[39:40], off offset:32
	;; [unrolled: 1-line block ×3, first 2 shown]
	global_load_b128 v[59:62], v[39:40], off
	global_load_b128 v[63:66], v[39:40], off offset:112
	global_load_b128 v[67:70], v[39:40], off offset:96
	;; [unrolled: 1-line block ×4, first 2 shown]
	v_add_co_u32 v43, s3, 0x200, v43
	s_wait_alu 0xf1ff
	v_add_co_ci_u32_e64 v44, null, 0, v44, s3
	s_wait_loadcnt 0x8
	v_sub_co_u32 v79, vcc_lo, v79, v9
	s_wait_alu 0xfffd
	v_sub_co_ci_u32_e64 v80, null, v80, v10, vcc_lo
	s_delay_alu instid0(VALU_DEP_1) | instskip(SKIP_1) | instid1(VALU_DEP_1)
	v_lshlrev_b64_e32 v[79:80], 6, v[79:80]
	s_wait_kmcnt 0x0
	v_add_co_u32 v91, vcc_lo, s4, v79
	s_wait_alu 0xfffd
	s_delay_alu instid0(VALU_DEP_2)
	v_add_co_ci_u32_e64 v92, null, s5, v80, vcc_lo
	v_add_co_u32 v39, vcc_lo, 0x2000, v39
	s_wait_alu 0xfffd
	v_add_co_ci_u32_e64 v40, null, 0, v40, vcc_lo
	s_clause 0x3
	global_load_b128 v[79:82], v[91:92], off
	global_load_b128 v[83:86], v[91:92], off offset:16
	global_load_b128 v[87:90], v[91:92], off offset:32
	;; [unrolled: 1-line block ×3, first 2 shown]
	v_add_co_u32 v45, vcc_lo, v45, 1
	s_wait_alu 0xfffd
	v_add_co_ci_u32_e64 v46, null, 0, v46, vcc_lo
	v_add_co_u32 v37, vcc_lo, v37, 64
	s_wait_alu 0xfffd
	v_add_co_ci_u32_e64 v38, null, 0, v38, vcc_lo
	s_delay_alu instid0(VALU_DEP_3)
	v_cmp_eq_u64_e32 vcc_lo, 0, v[45:46]
	s_wait_alu 0xfffe
	s_or_b32 s10, vcc_lo, s10
	s_wait_loadcnt 0x3
	v_fma_f64 v[27:28], v[59:60], v[79:80], v[27:28]
	v_fma_f64 v[23:24], v[79:80], 0, v[23:24]
	v_fma_f64 v[33:34], v[51:52], v[79:80], v[33:34]
	v_fma_f64 v[31:32], v[79:80], 0, v[31:32]
	v_fma_f64 v[25:26], v[75:76], v[79:80], v[25:26]
	v_fma_f64 v[29:30], v[79:80], 0, v[29:30]
	v_fma_f64 v[17:18], v[67:68], v[79:80], v[17:18]
	v_fma_f64 v[19:20], v[79:80], 0, v[19:20]
	v_fma_f64 v[27:28], 0x80000000, v[81:82], v[27:28]
	v_fma_f64 v[23:24], v[59:60], v[81:82], v[23:24]
	v_fma_f64 v[33:34], 0x80000000, v[81:82], v[33:34]
	v_fma_f64 v[31:32], v[51:52], v[81:82], v[31:32]
	v_fma_f64 v[25:26], 0x80000000, v[81:82], v[25:26]
	v_fma_f64 v[29:30], v[75:76], v[81:82], v[29:30]
	v_fma_f64 v[17:18], 0x80000000, v[81:82], v[17:18]
	v_fma_f64 v[19:20], v[67:68], v[81:82], v[19:20]
	s_wait_loadcnt 0x2
	v_fma_f64 v[27:28], v[61:62], v[83:84], v[27:28]
	v_fma_f64 v[23:24], v[83:84], 0, v[23:24]
	v_fma_f64 v[33:34], v[53:54], v[83:84], v[33:34]
	v_fma_f64 v[31:32], v[83:84], 0, v[31:32]
	v_fma_f64 v[25:26], v[77:78], v[83:84], v[25:26]
	v_fma_f64 v[29:30], v[83:84], 0, v[29:30]
	v_fma_f64 v[17:18], v[69:70], v[83:84], v[17:18]
	v_fma_f64 v[19:20], v[83:84], 0, v[19:20]
	v_fma_f64 v[27:28], 0x80000000, v[85:86], v[27:28]
	v_fma_f64 v[23:24], v[61:62], v[85:86], v[23:24]
	v_fma_f64 v[33:34], 0x80000000, v[85:86], v[33:34]
	v_fma_f64 v[31:32], v[53:54], v[85:86], v[31:32]
	v_fma_f64 v[25:26], 0x80000000, v[85:86], v[25:26]
	v_fma_f64 v[29:30], v[77:78], v[85:86], v[29:30]
	v_fma_f64 v[17:18], 0x80000000, v[85:86], v[17:18]
	v_fma_f64 v[19:20], v[69:70], v[85:86], v[19:20]
	;; [unrolled: 17-line block ×4, first 2 shown]
	s_wait_alu 0xfffe
	s_and_not1_b32 exec_lo, exec_lo, s10
	s_cbranch_execnz .LBB149_17
; %bb.18:
	s_or_b32 exec_lo, exec_lo, s10
.LBB149_19:
	s_wait_alu 0xfffe
	s_or_b32 exec_lo, exec_lo, s7
	s_delay_alu instid0(SALU_CYCLE_1)
	s_mov_b32 s7, exec_lo
	v_cmpx_lt_u64_e32 0xbf, v[41:42]
	s_cbranch_execz .LBB149_23
; %bb.20:
	v_lshlrev_b64_e32 v[41:42], 3, v[37:38]
	s_mov_b32 s10, 0
	s_delay_alu instid0(VALU_DEP_1) | instskip(SKIP_1) | instid1(VALU_DEP_2)
	v_add_co_u32 v41, vcc_lo, s8, v41
	s_wait_alu 0xfffd
	v_add_co_ci_u32_e64 v42, null, s9, v42, vcc_lo
	s_delay_alu instid0(VALU_DEP_2) | instskip(SKIP_1) | instid1(VALU_DEP_2)
	v_add_co_u32 v41, vcc_lo, 0x400, v41
	s_wait_alu 0xfffd
	v_add_co_ci_u32_e64 v42, null, 0, v42, vcc_lo
.LBB149_21:                             ; =>This Inner Loop Header: Depth=1
	s_clause 0x1
	global_load_b64 v[59:60], v[41:42], off offset:-1024
	global_load_b64 v[107:108], v[41:42], off offset:-512
	s_clause 0x3
	global_load_b128 v[43:46], v[39:40], off offset:32
	global_load_b128 v[47:50], v[39:40], off
	global_load_b128 v[51:54], v[39:40], off offset:96
	global_load_b128 v[55:58], v[39:40], off offset:64
	s_clause 0x1
	global_load_b64 v[111:112], v[41:42], off
	global_load_b64 v[113:114], v[41:42], off offset:512
	v_add_co_u32 v41, s3, 0x800, v41
	s_wait_alu 0xf1ff
	v_add_co_ci_u32_e64 v42, null, 0, v42, s3
	s_wait_loadcnt 0x7
	v_sub_co_u32 v59, vcc_lo, v59, v9
	s_wait_alu 0xfffd
	v_sub_co_ci_u32_e64 v60, null, v60, v10, vcc_lo
	s_delay_alu instid0(VALU_DEP_1) | instskip(SKIP_1) | instid1(VALU_DEP_1)
	v_lshlrev_b64_e32 v[59:60], 6, v[59:60]
	s_wait_kmcnt 0x0
	v_add_co_u32 v87, vcc_lo, s4, v59
	s_wait_alu 0xfffd
	s_delay_alu instid0(VALU_DEP_2)
	v_add_co_ci_u32_e64 v88, null, s5, v60, vcc_lo
	s_wait_loadcnt 0x6
	v_sub_co_u32 v107, vcc_lo, v107, v9
	s_wait_alu 0xfffd
	v_sub_co_ci_u32_e64 v108, null, v108, v10, vcc_lo
	s_clause 0x1
	global_load_b128 v[59:62], v[87:88], off
	global_load_b128 v[63:66], v[87:88], off offset:16
	s_clause 0x3
	global_load_b128 v[67:70], v[39:40], off offset:48
	global_load_b128 v[71:74], v[39:40], off offset:16
	;; [unrolled: 1-line block ×4, first 2 shown]
	s_clause 0x1
	global_load_b128 v[83:86], v[87:88], off offset:32
	global_load_b128 v[87:90], v[87:88], off offset:48
	s_clause 0x3
	global_load_b128 v[91:94], v[39:40], off offset:8224
	global_load_b128 v[95:98], v[39:40], off offset:8192
	;; [unrolled: 1-line block ×4, first 2 shown]
	v_lshlrev_b64_e32 v[107:108], 6, v[107:108]
	s_delay_alu instid0(VALU_DEP_1) | instskip(SKIP_1) | instid1(VALU_DEP_2)
	v_add_co_u32 v115, vcc_lo, s4, v107
	s_wait_alu 0xfffd
	v_add_co_ci_u32_e64 v116, null, s5, v108, vcc_lo
	s_wait_loadcnt 0xd
	v_sub_co_u32 v111, vcc_lo, v111, v9
	s_wait_alu 0xfffd
	v_sub_co_ci_u32_e64 v112, null, v112, v10, vcc_lo
	global_load_b128 v[107:110], v[115:116], off
	s_wait_loadcnt 0xc
	v_fma_f64 v[23:24], v[59:60], 0, v[23:24]
	v_fma_f64 v[31:32], v[59:60], 0, v[31:32]
	v_fma_f64 v[29:30], v[59:60], 0, v[29:30]
	v_fma_f64 v[19:20], v[59:60], 0, v[19:20]
	v_fma_f64 v[27:28], v[47:48], v[59:60], v[27:28]
	v_fma_f64 v[33:34], v[43:44], v[59:60], v[33:34]
	v_fma_f64 v[25:26], v[55:56], v[59:60], v[25:26]
	v_fma_f64 v[17:18], v[51:52], v[59:60], v[17:18]
	v_fma_f64 v[23:24], v[47:48], v[61:62], v[23:24]
	v_fma_f64 v[31:32], v[43:44], v[61:62], v[31:32]
	v_fma_f64 v[29:30], v[55:56], v[61:62], v[29:30]
	v_fma_f64 v[43:44], v[51:52], v[61:62], v[19:20]
	v_fma_f64 v[27:28], 0x80000000, v[61:62], v[27:28]
	v_fma_f64 v[33:34], 0x80000000, v[61:62], v[33:34]
	v_fma_f64 v[25:26], 0x80000000, v[61:62], v[25:26]
	v_fma_f64 v[47:48], 0x80000000, v[61:62], v[17:18]
	global_load_b128 v[17:20], v[115:116], off offset:16
	s_wait_loadcnt 0xc
	v_fma_f64 v[23:24], v[63:64], 0, v[23:24]
	v_fma_f64 v[31:32], v[63:64], 0, v[31:32]
	v_fma_f64 v[29:30], v[63:64], 0, v[29:30]
	v_fma_f64 v[43:44], v[63:64], 0, v[43:44]
	v_fma_f64 v[27:28], v[49:50], v[63:64], v[27:28]
	v_fma_f64 v[33:34], v[45:46], v[63:64], v[33:34]
	v_fma_f64 v[25:26], v[57:58], v[63:64], v[25:26]
	v_fma_f64 v[47:48], v[53:54], v[63:64], v[47:48]
	v_fma_f64 v[51:52], v[49:50], v[65:66], v[23:24]
	v_fma_f64 v[55:56], v[45:46], v[65:66], v[31:32]
	v_fma_f64 v[57:58], v[57:58], v[65:66], v[29:30]
	v_fma_f64 v[53:54], v[53:54], v[65:66], v[43:44]
	v_fma_f64 v[59:60], 0x80000000, v[65:66], v[27:28]
	v_fma_f64 v[61:62], 0x80000000, v[65:66], v[33:34]
	v_fma_f64 v[63:64], 0x80000000, v[65:66], v[25:26]
	v_fma_f64 v[65:66], 0x80000000, v[65:66], v[47:48]
	s_clause 0x3
	global_load_b128 v[23:26], v[39:40], off offset:8240
	global_load_b128 v[27:30], v[39:40], off offset:8208
	;; [unrolled: 1-line block ×5, first 2 shown]
	s_wait_loadcnt 0xc
	v_fma_f64 v[51:52], v[83:84], 0, v[51:52]
	v_fma_f64 v[55:56], v[83:84], 0, v[55:56]
	;; [unrolled: 1-line block ×16, first 2 shown]
	global_load_b128 v[51:54], v[115:116], off offset:48
	s_wait_loadcnt 0xc
	v_fma_f64 v[71:72], v[87:88], 0, v[71:72]
	v_fma_f64 v[75:76], v[87:88], 0, v[55:56]
	;; [unrolled: 1-line block ×8, first 2 shown]
	s_clause 0x3
	global_load_b128 v[55:58], v[39:40], off offset:16416
	global_load_b128 v[59:62], v[39:40], off offset:16384
	;; [unrolled: 1-line block ×4, first 2 shown]
	v_fma_f64 v[71:72], v[73:74], v[89:90], v[71:72]
	v_fma_f64 v[73:74], v[69:70], v[89:90], v[75:76]
	;; [unrolled: 1-line block ×8, first 2 shown]
	v_lshlrev_b64_e32 v[67:68], 6, v[111:112]
	s_delay_alu instid0(VALU_DEP_1) | instskip(SKIP_1) | instid1(VALU_DEP_2)
	v_add_co_u32 v111, vcc_lo, s4, v67
	s_wait_alu 0xfffd
	v_add_co_ci_u32_e64 v112, null, s5, v68, vcc_lo
	v_sub_co_u32 v113, vcc_lo, v113, v9
	s_wait_alu 0xfffd
	v_sub_co_ci_u32_e64 v114, null, v114, v10, vcc_lo
	global_load_b128 v[67:70], v[111:112], off
	s_wait_loadcnt 0xc
	v_fma_f64 v[71:72], v[107:108], 0, v[71:72]
	v_fma_f64 v[73:74], v[107:108], 0, v[73:74]
	;; [unrolled: 1-line block ×16, first 2 shown]
	global_load_b128 v[71:74], v[111:112], off offset:16
	s_wait_loadcnt 0xc
	v_fma_f64 v[95:96], v[17:18], 0, v[95:96]
	v_fma_f64 v[91:92], v[17:18], 0, v[91:92]
	;; [unrolled: 1-line block ×16, first 2 shown]
	s_clause 0x3
	global_load_b128 v[17:20], v[39:40], off offset:16432
	global_load_b128 v[75:78], v[39:40], off offset:16400
	global_load_b128 v[79:82], v[39:40], off offset:16496
	global_load_b128 v[87:90], v[39:40], off offset:16464
	global_load_b128 v[91:94], v[111:112], off offset:32
	s_wait_loadcnt 0xc
	v_fma_f64 v[95:96], v[47:48], 0, v[95:96]
	v_fma_f64 v[97:98], v[47:48], 0, v[97:98]
	;; [unrolled: 1-line block ×16, first 2 shown]
	global_load_b128 v[47:50], v[111:112], off offset:48
	s_wait_loadcnt 0xc
	v_fma_f64 v[27:28], v[51:52], 0, v[27:28]
	v_fma_f64 v[23:24], v[51:52], 0, v[23:24]
	;; [unrolled: 1-line block ×8, first 2 shown]
	s_clause 0x3
	global_load_b128 v[95:98], v[39:40], off offset:24608
	global_load_b128 v[99:102], v[39:40], off offset:24576
	;; [unrolled: 1-line block ×4, first 2 shown]
	v_fma_f64 v[27:28], v[29:30], v[53:54], v[27:28]
	v_fma_f64 v[29:30], v[25:26], v[53:54], v[23:24]
	;; [unrolled: 1-line block ×8, first 2 shown]
	v_lshlrev_b64_e32 v[23:24], 6, v[113:114]
	s_delay_alu instid0(VALU_DEP_1) | instskip(SKIP_1) | instid1(VALU_DEP_2)
	v_add_co_u32 v113, vcc_lo, s4, v23
	s_wait_alu 0xfffd
	v_add_co_ci_u32_e64 v114, null, s5, v24, vcc_lo
	v_add_co_u32 v37, vcc_lo, 0x100, v37
	s_wait_alu 0xfffd
	v_add_co_ci_u32_e64 v38, null, 0, v38, vcc_lo
	global_load_b128 v[23:26], v[113:114], off
	s_wait_loadcnt 0xc
	v_fma_f64 v[27:28], v[67:68], 0, v[27:28]
	v_fma_f64 v[29:30], v[67:68], 0, v[29:30]
	;; [unrolled: 1-line block ×16, first 2 shown]
	global_load_b128 v[27:30], v[113:114], off offset:16
	s_wait_loadcnt 0xc
	v_fma_f64 v[59:60], v[71:72], 0, v[59:60]
	v_fma_f64 v[55:56], v[71:72], 0, v[55:56]
	;; [unrolled: 1-line block ×16, first 2 shown]
	s_clause 0x3
	global_load_b128 v[43:46], v[39:40], off offset:24624
	global_load_b128 v[31:34], v[39:40], off offset:24592
	;; [unrolled: 1-line block ×5, first 2 shown]
	v_add_co_u32 v39, vcc_lo, 0x8000, v39
	s_wait_alu 0xfffd
	v_add_co_ci_u32_e64 v40, null, 0, v40, vcc_lo
	v_cmp_ge_i64_e32 vcc_lo, v[37:38], v[13:14]
	s_wait_alu 0xfffe
	s_or_b32 s10, vcc_lo, s10
	s_wait_loadcnt 0xc
	v_fma_f64 v[67:68], v[91:92], 0, v[67:68]
	v_fma_f64 v[71:72], v[91:92], 0, v[71:72]
	;; [unrolled: 1-line block ×16, first 2 shown]
	global_load_b128 v[63:66], v[113:114], off offset:48
	s_wait_loadcnt 0xc
	v_fma_f64 v[67:68], v[47:48], 0, v[67:68]
	v_fma_f64 v[17:18], v[47:48], 0, v[17:18]
	v_fma_f64 v[83:84], v[77:78], v[47:48], v[91:92]
	v_fma_f64 v[69:70], v[19:20], v[47:48], v[69:70]
	v_fma_f64 v[71:72], v[89:90], v[47:48], v[71:72]
	v_fma_f64 v[73:74], v[47:48], 0, v[73:74]
	v_fma_f64 v[75:76], v[81:82], v[47:48], v[75:76]
	v_fma_f64 v[47:48], v[47:48], 0, v[79:80]
	v_fma_f64 v[67:68], v[77:78], v[49:50], v[67:68]
	v_fma_f64 v[17:18], v[19:20], v[49:50], v[17:18]
	v_fma_f64 v[79:80], 0x80000000, v[49:50], v[83:84]
	v_fma_f64 v[69:70], 0x80000000, v[49:50], v[69:70]
	v_fma_f64 v[19:20], 0x80000000, v[49:50], v[71:72]
	v_fma_f64 v[71:72], v[89:90], v[49:50], v[73:74]
	v_fma_f64 v[73:74], 0x80000000, v[49:50], v[75:76]
	v_fma_f64 v[47:48], v[81:82], v[49:50], v[47:48]
	s_wait_loadcnt 0x7
	v_fma_f64 v[67:68], v[23:24], 0, v[67:68]
	v_fma_f64 v[17:18], v[23:24], 0, v[17:18]
	v_fma_f64 v[49:50], v[99:100], v[23:24], v[79:80]
	v_fma_f64 v[69:70], v[95:96], v[23:24], v[69:70]
	v_fma_f64 v[19:20], v[107:108], v[23:24], v[19:20]
	v_fma_f64 v[71:72], v[23:24], 0, v[71:72]
	v_fma_f64 v[73:74], v[103:104], v[23:24], v[73:74]
	v_fma_f64 v[23:24], v[23:24], 0, v[47:48]
	v_fma_f64 v[17:18], v[95:96], v[25:26], v[17:18]
	v_fma_f64 v[47:48], 0x80000000, v[25:26], v[49:50]
	v_fma_f64 v[49:50], v[99:100], v[25:26], v[67:68]
	v_fma_f64 v[67:68], 0x80000000, v[25:26], v[69:70]
	v_fma_f64 v[19:20], 0x80000000, v[25:26], v[19:20]
	v_fma_f64 v[69:70], v[107:108], v[25:26], v[71:72]
	v_fma_f64 v[71:72], 0x80000000, v[25:26], v[73:74]
	v_fma_f64 v[23:24], v[103:104], v[25:26], v[23:24]
	;; [unrolled: 17-line block ×5, first 2 shown]
	s_wait_alu 0xfffe
	s_and_not1_b32 exec_lo, exec_lo, s10
	s_cbranch_execnz .LBB149_21
; %bb.22:
	s_or_b32 exec_lo, exec_lo, s10
.LBB149_23:
	s_wait_alu 0xfffe
	s_or_b32 exec_lo, exec_lo, s7
.LBB149_24:
	s_wait_alu 0xfffe
	s_or_b32 exec_lo, exec_lo, s6
	s_cbranch_execz .LBB149_26
	s_branch .LBB149_37
.LBB149_25:
                                        ; implicit-def: $vgpr23_vgpr24
                                        ; implicit-def: $vgpr27_vgpr28
                                        ; implicit-def: $vgpr31_vgpr32
                                        ; implicit-def: $vgpr33_vgpr34
                                        ; implicit-def: $vgpr29_vgpr30
                                        ; implicit-def: $vgpr25_vgpr26
                                        ; implicit-def: $vgpr19_vgpr20
                                        ; implicit-def: $vgpr17_vgpr18
.LBB149_26:
	v_mov_b32_e32 v23, 0
	v_mov_b32_e32 v31, 0
	;; [unrolled: 1-line block ×3, first 2 shown]
	v_dual_mov_b32 v19, 0 :: v_dual_mov_b32 v24, 0
	v_dual_mov_b32 v27, 0 :: v_dual_mov_b32 v32, 0
	;; [unrolled: 1-line block ×5, first 2 shown]
	v_mov_b32_e32 v34, 0
	v_mov_b32_e32 v26, 0
	;; [unrolled: 1-line block ×3, first 2 shown]
	s_and_saveexec_b32 s3, s2
	s_cbranch_execz .LBB149_36
; %bb.27:
	v_or_b32_e32 v17, 64, v0
	v_not_b32_e32 v20, v35
	v_sub_co_u32 v23, s2, v9, v0
	v_not_b32_e32 v19, v36
	s_delay_alu instid0(VALU_DEP_4)
	v_sub_co_u32 v17, vcc_lo, v17, v9
	s_wait_alu 0xfffd
	v_sub_co_ci_u32_e64 v18, null, 0, v10, vcc_lo
	s_wait_alu 0xf1ff
	v_subrev_co_ci_u32_e64 v25, null, 0, v10, s2
	v_add_co_u32 v17, vcc_lo, v17, v35
	s_wait_alu 0xfffd
	v_add_co_ci_u32_e64 v18, null, v18, v36, vcc_lo
	v_add_co_u32 v20, s2, v23, v20
	s_wait_alu 0xf1ff
	v_add_co_ci_u32_e64 v27, null, v25, v19, s2
	s_delay_alu instid0(VALU_DEP_3)
	v_cmp_gt_i64_e32 vcc_lo, v[17:18], v[13:14]
	v_dual_mov_b32 v24, 0 :: v_dual_mov_b32 v29, 0
	v_dual_mov_b32 v31, 0 :: v_dual_mov_b32 v30, 0
	s_wait_alu 0xfffd
	v_dual_mov_b32 v33, 0 :: v_dual_cndmask_b32 v26, v13, v17
	v_cndmask_b32_e32 v23, v14, v18, vcc_lo
	v_mov_b32_e32 v17, 0
	v_mov_b32_e32 v18, 0
	v_mov_b32_e32 v32, 0
	v_add_co_u32 v35, vcc_lo, v20, v26
	v_mov_b32_e32 v19, 0
	v_dual_mov_b32 v20, 0 :: v_dual_mov_b32 v25, 0
	v_mov_b32_e32 v26, 0
	s_wait_alu 0xfffd
	v_add_co_ci_u32_e64 v36, null, v27, v23, vcc_lo
	v_and_b32_e32 v23, 0xc0, v35
	v_dual_mov_b32 v27, 0 :: v_dual_mov_b32 v34, 0
	v_mov_b32_e32 v28, 0
	s_delay_alu instid0(VALU_DEP_3)
	v_cmp_ne_u64_e32 vcc_lo, 0xc0, v[23:24]
	v_mov_b32_e32 v23, 0
	v_mov_b32_e32 v24, 0
	s_and_saveexec_b32 s6, vcc_lo
	s_cbranch_execz .LBB149_31
; %bb.28:
	v_lshrrev_b32_e32 v19, 6, v35
	v_mov_b32_e32 v31, 0
	v_mov_b32_e32 v32, 0
	v_lshlrev_b64_e32 v[17:18], 3, v[11:12]
	v_mov_b32_e32 v29, 0
	v_add_nc_u32_e32 v19, 1, v19
	v_mov_b32_e32 v23, 0
	v_dual_mov_b32 v24, 0 :: v_dual_mov_b32 v27, 0
	v_add_co_u32 v37, vcc_lo, s8, v17
	s_delay_alu instid0(VALU_DEP_4) | instskip(SKIP_3) | instid1(VALU_DEP_3)
	v_dual_mov_b32 v30, 0 :: v_dual_and_b32 v39, 3, v19
	s_wait_alu 0xfffd
	v_add_co_ci_u32_e64 v38, null, s9, v18, vcc_lo
	v_mov_b32_e32 v33, 0
	v_sub_co_u32 v39, s2, 0, v39
	v_mov_b32_e32 v25, 0
	v_mov_b32_e32 v19, 0
	v_dual_mov_b32 v17, 0 :: v_dual_mov_b32 v28, 0
	v_mov_b32_e32 v34, 0
	v_mov_b32_e32 v26, 0
	;; [unrolled: 1-line block ×4, first 2 shown]
	s_wait_alu 0xf1ff
	v_sub_co_ci_u32_e64 v40, null, 0, 0, s2
	s_mov_b32 s7, 0
.LBB149_29:                             ; =>This Inner Loop Header: Depth=1
	global_load_b64 v[49:50], v[37:38], off
	s_clause 0x1
	global_load_b128 v[41:44], v[15:16], off offset:16
	global_load_b128 v[45:48], v[15:16], off
	v_add_co_u32 v37, s2, 0x200, v37
	s_wait_alu 0xf1ff
	v_add_co_ci_u32_e64 v38, null, 0, v38, s2
	s_wait_loadcnt 0x2
	v_sub_co_u32 v49, vcc_lo, v49, v9
	s_wait_alu 0xfffd
	v_sub_co_ci_u32_e64 v50, null, v50, v10, vcc_lo
	s_delay_alu instid0(VALU_DEP_1) | instskip(SKIP_1) | instid1(VALU_DEP_1)
	v_lshlrev_b64_e32 v[49:50], 6, v[49:50]
	s_wait_kmcnt 0x0
	v_add_co_u32 v77, vcc_lo, s4, v49
	s_wait_alu 0xfffd
	s_delay_alu instid0(VALU_DEP_2)
	v_add_co_ci_u32_e64 v78, null, s5, v50, vcc_lo
	s_clause 0x1
	global_load_b128 v[49:52], v[77:78], off
	global_load_b128 v[53:56], v[77:78], off offset:16
	s_clause 0x3
	global_load_b128 v[57:60], v[15:16], off offset:32
	global_load_b128 v[61:64], v[15:16], off offset:48
	global_load_b128 v[65:68], v[15:16], off offset:80
	global_load_b128 v[69:72], v[15:16], off offset:64
	s_clause 0x1
	global_load_b128 v[73:76], v[77:78], off offset:32
	global_load_b128 v[77:80], v[77:78], off offset:48
	s_clause 0x1
	global_load_b128 v[81:84], v[15:16], off offset:96
	global_load_b128 v[85:88], v[15:16], off offset:112
	v_add_co_u32 v15, vcc_lo, 0x2000, v15
	s_wait_alu 0xfffd
	v_add_co_ci_u32_e64 v16, null, 0, v16, vcc_lo
	v_add_co_u32 v39, vcc_lo, v39, 1
	s_wait_alu 0xfffd
	v_add_co_ci_u32_e64 v40, null, 0, v40, vcc_lo
	v_add_co_u32 v11, vcc_lo, v11, 64
	s_wait_alu 0xfffd
	v_add_co_ci_u32_e64 v12, null, 0, v12, vcc_lo
	s_delay_alu instid0(VALU_DEP_3)
	v_cmp_eq_u64_e32 vcc_lo, 0, v[39:40]
	s_wait_alu 0xfffe
	s_or_b32 s7, vcc_lo, s7
	s_wait_loadcnt 0x9
	v_fma_f64 v[27:28], v[45:46], v[49:50], v[27:28]
	v_fma_f64 v[23:24], v[49:50], 0, v[23:24]
	;; [unrolled: 1-line block ×16, first 2 shown]
	s_wait_loadcnt 0x7
	v_fma_f64 v[27:28], v[57:58], v[53:54], v[27:28]
	v_fma_f64 v[23:24], v[53:54], 0, v[23:24]
	;; [unrolled: 1-line block ×4, first 2 shown]
	s_wait_loadcnt 0x6
	v_fma_f64 v[25:26], v[61:62], v[53:54], v[25:26]
	v_fma_f64 v[29:30], v[53:54], 0, v[29:30]
	;; [unrolled: 1-line block ×12, first 2 shown]
	s_wait_loadcnt 0x3
	v_fma_f64 v[27:28], v[69:70], v[73:74], v[27:28]
	v_fma_f64 v[23:24], v[73:74], 0, v[23:24]
	;; [unrolled: 1-line block ×16, first 2 shown]
	s_wait_loadcnt 0x1
	v_fma_f64 v[27:28], v[81:82], v[77:78], v[27:28]
	v_fma_f64 v[23:24], v[77:78], 0, v[23:24]
	;; [unrolled: 1-line block ×4, first 2 shown]
	s_wait_loadcnt 0x0
	v_fma_f64 v[25:26], v[85:86], v[77:78], v[25:26]
	v_fma_f64 v[29:30], v[77:78], 0, v[29:30]
	;; [unrolled: 1-line block ×12, first 2 shown]
	s_wait_alu 0xfffe
	s_and_not1_b32 exec_lo, exec_lo, s7
	s_cbranch_execnz .LBB149_29
; %bb.30:
	s_or_b32 exec_lo, exec_lo, s7
.LBB149_31:
	s_wait_alu 0xfffe
	s_or_b32 exec_lo, exec_lo, s6
	s_delay_alu instid0(SALU_CYCLE_1)
	s_mov_b32 s6, exec_lo
	v_cmpx_lt_u64_e32 0xbf, v[35:36]
	s_cbranch_execz .LBB149_35
; %bb.32:
	v_lshlrev_b64_e32 v[35:36], 3, v[11:12]
	s_mov_b32 s7, 0
	s_delay_alu instid0(VALU_DEP_1) | instskip(SKIP_1) | instid1(VALU_DEP_2)
	v_add_co_u32 v35, vcc_lo, s8, v35
	s_wait_alu 0xfffd
	v_add_co_ci_u32_e64 v36, null, s9, v36, vcc_lo
	s_delay_alu instid0(VALU_DEP_2) | instskip(SKIP_1) | instid1(VALU_DEP_2)
	v_add_co_u32 v35, vcc_lo, 0x400, v35
	s_wait_alu 0xfffd
	v_add_co_ci_u32_e64 v36, null, 0, v36, vcc_lo
.LBB149_33:                             ; =>This Inner Loop Header: Depth=1
	s_clause 0x1
	global_load_b64 v[45:46], v[35:36], off offset:-1024
	global_load_b64 v[93:94], v[35:36], off offset:-512
	s_clause 0x1
	global_load_b128 v[37:40], v[15:16], off offset:16
	global_load_b128 v[41:44], v[15:16], off
	s_clause 0x1
	global_load_b64 v[101:102], v[35:36], off
	global_load_b64 v[103:104], v[35:36], off offset:512
	v_add_co_u32 v35, s2, 0x800, v35
	s_wait_alu 0xf1ff
	v_add_co_ci_u32_e64 v36, null, 0, v36, s2
	s_wait_loadcnt 0x5
	v_sub_co_u32 v45, vcc_lo, v45, v9
	s_wait_alu 0xfffd
	v_sub_co_ci_u32_e64 v46, null, v46, v10, vcc_lo
	s_delay_alu instid0(VALU_DEP_1) | instskip(SKIP_1) | instid1(VALU_DEP_1)
	v_lshlrev_b64_e32 v[45:46], 6, v[45:46]
	s_wait_kmcnt 0x0
	v_add_co_u32 v73, vcc_lo, s4, v45
	s_wait_alu 0xfffd
	s_delay_alu instid0(VALU_DEP_2)
	v_add_co_ci_u32_e64 v74, null, s5, v46, vcc_lo
	s_wait_loadcnt 0x4
	v_sub_co_u32 v93, vcc_lo, v93, v9
	s_wait_alu 0xfffd
	v_sub_co_ci_u32_e64 v94, null, v94, v10, vcc_lo
	s_clause 0x1
	global_load_b128 v[45:48], v[73:74], off
	global_load_b128 v[49:52], v[73:74], off offset:16
	s_clause 0x3
	global_load_b128 v[53:56], v[15:16], off offset:32
	global_load_b128 v[57:60], v[15:16], off offset:48
	;; [unrolled: 1-line block ×4, first 2 shown]
	s_clause 0x1
	global_load_b128 v[69:72], v[73:74], off offset:32
	global_load_b128 v[73:76], v[73:74], off offset:48
	s_clause 0x3
	global_load_b128 v[77:80], v[15:16], off offset:96
	global_load_b128 v[81:84], v[15:16], off offset:112
	;; [unrolled: 1-line block ×4, first 2 shown]
	v_lshlrev_b64_e32 v[93:94], 6, v[93:94]
	s_delay_alu instid0(VALU_DEP_1) | instskip(SKIP_1) | instid1(VALU_DEP_2)
	v_add_co_u32 v105, vcc_lo, s4, v93
	s_wait_alu 0xfffd
	v_add_co_ci_u32_e64 v106, null, s5, v94, vcc_lo
	s_clause 0x1
	global_load_b128 v[93:96], v[105:106], off
	global_load_b128 v[97:100], v[105:106], off offset:16
	s_wait_loadcnt 0xd
	v_fma_f64 v[27:28], v[41:42], v[45:46], v[27:28]
	v_fma_f64 v[23:24], v[45:46], 0, v[23:24]
	;; [unrolled: 1-line block ×16, first 2 shown]
	s_clause 0x1
	global_load_b128 v[17:20], v[15:16], off offset:8224
	global_load_b128 v[23:26], v[15:16], off offset:8240
	s_wait_loadcnt 0xd
	v_fma_f64 v[27:28], v[53:54], v[49:50], v[27:28]
	v_fma_f64 v[41:42], v[49:50], 0, v[41:42]
	v_fma_f64 v[33:34], v[55:56], v[49:50], v[33:34]
	v_fma_f64 v[31:32], v[49:50], 0, v[31:32]
	s_wait_loadcnt 0xc
	v_fma_f64 v[43:44], v[57:58], v[49:50], v[43:44]
	v_fma_f64 v[29:30], v[49:50], 0, v[29:30]
	;; [unrolled: 1-line block ×12, first 2 shown]
	s_clause 0x1
	global_load_b128 v[27:30], v[15:16], off offset:8272
	global_load_b128 v[31:34], v[15:16], off offset:8256
	s_clause 0x1
	global_load_b128 v[37:40], v[105:106], off offset:32
	global_load_b128 v[41:44], v[105:106], off offset:48
	s_wait_loadcnt 0xd
	v_fma_f64 v[45:46], v[65:66], v[69:70], v[45:46]
	v_fma_f64 v[47:48], v[69:70], 0, v[47:48]
	;; [unrolled: 1-line block ×16, first 2 shown]
	s_clause 0x1
	global_load_b128 v[45:48], v[15:16], off offset:8288
	global_load_b128 v[49:52], v[15:16], off offset:8304
	s_wait_loadcnt 0xd
	v_fma_f64 v[63:64], v[77:78], v[73:74], v[69:70]
	v_fma_f64 v[65:66], v[73:74], 0, v[65:66]
	;; [unrolled: 1-line block ×4, first 2 shown]
	s_wait_loadcnt 0xc
	v_fma_f64 v[71:72], v[81:82], v[73:74], v[55:56]
	v_fma_f64 v[105:106], v[73:74], 0, v[57:58]
	;; [unrolled: 1-line block ×4, first 2 shown]
	v_sub_co_u32 v73, vcc_lo, v101, v9
	s_wait_alu 0xfffd
	v_sub_co_ci_u32_e64 v74, null, v102, v10, vcc_lo
	s_clause 0x1
	global_load_b128 v[53:56], v[15:16], off offset:16400
	global_load_b128 v[57:60], v[15:16], off offset:16384
	v_fma_f64 v[109:110], 0x80000000, v[75:76], v[63:64]
	v_fma_f64 v[77:78], v[77:78], v[75:76], v[65:66]
	;; [unrolled: 1-line block ×8, first 2 shown]
	v_lshlrev_b64_e32 v[61:62], 6, v[73:74]
	s_delay_alu instid0(VALU_DEP_1) | instskip(SKIP_1) | instid1(VALU_DEP_2)
	v_add_co_u32 v83, vcc_lo, s4, v61
	s_wait_alu 0xfffd
	v_add_co_ci_u32_e64 v84, null, s5, v62, vcc_lo
	s_clause 0x1
	global_load_b128 v[61:64], v[83:84], off
	global_load_b128 v[65:68], v[83:84], off offset:16
	v_sub_co_u32 v103, vcc_lo, v103, v9
	s_wait_alu 0xfffd
	v_sub_co_ci_u32_e64 v104, null, v104, v10, vcc_lo
	s_wait_loadcnt 0xd
	v_fma_f64 v[73:74], v[89:90], v[93:94], v[109:110]
	v_fma_f64 v[77:78], v[93:94], 0, v[77:78]
	;; [unrolled: 1-line block ×16, first 2 shown]
	s_clause 0x1
	global_load_b128 v[69:72], v[15:16], off offset:16416
	global_load_b128 v[73:76], v[15:16], off offset:16432
	s_wait_loadcnt 0xd
	v_fma_f64 v[87:88], v[17:18], v[97:98], v[93:94]
	v_fma_f64 v[77:78], v[97:98], 0, v[77:78]
	;; [unrolled: 1-line block ×4, first 2 shown]
	s_wait_loadcnt 0xc
	v_fma_f64 v[93:94], v[23:24], v[97:98], v[101:102]
	v_fma_f64 v[79:80], v[97:98], 0, v[79:80]
	;; [unrolled: 1-line block ×12, first 2 shown]
	s_clause 0x1
	global_load_b128 v[17:20], v[15:16], off offset:16464
	global_load_b128 v[23:26], v[15:16], off offset:16448
	s_clause 0x1
	global_load_b128 v[77:80], v[83:84], off offset:32
	global_load_b128 v[81:84], v[83:84], off offset:48
	s_wait_loadcnt 0xd
	v_fma_f64 v[87:88], v[31:32], v[37:38], v[87:88]
	v_fma_f64 v[95:96], v[37:38], 0, v[95:96]
	;; [unrolled: 1-line block ×16, first 2 shown]
	s_clause 0x1
	global_load_b128 v[27:30], v[15:16], off offset:16480
	global_load_b128 v[31:34], v[15:16], off offset:16496
	s_wait_loadcnt 0xd
	v_fma_f64 v[99:100], v[45:46], v[41:42], v[85:86]
	v_fma_f64 v[101:102], v[41:42], 0, v[87:88]
	;; [unrolled: 1-line block ×4, first 2 shown]
	s_wait_loadcnt 0xc
	v_fma_f64 v[93:94], v[49:50], v[41:42], v[93:94]
	v_fma_f64 v[95:96], v[41:42], 0, v[95:96]
	;; [unrolled: 1-line block ×4, first 2 shown]
	s_clause 0x1
	global_load_b128 v[37:40], v[15:16], off offset:24592
	global_load_b128 v[85:88], v[15:16], off offset:24576
	v_fma_f64 v[99:100], 0x80000000, v[43:44], v[99:100]
	v_fma_f64 v[101:102], v[45:46], v[43:44], v[101:102]
	;; [unrolled: 1-line block ×8, first 2 shown]
	v_lshlrev_b64_e32 v[41:42], 6, v[103:104]
	s_delay_alu instid0(VALU_DEP_1) | instskip(SKIP_1) | instid1(VALU_DEP_2)
	v_add_co_u32 v97, vcc_lo, s4, v41
	s_wait_alu 0xfffd
	v_add_co_ci_u32_e64 v98, null, s5, v42, vcc_lo
	s_clause 0x1
	global_load_b128 v[41:44], v[97:98], off
	global_load_b128 v[45:48], v[97:98], off offset:16
	v_add_co_u32 v11, vcc_lo, 0x100, v11
	s_wait_alu 0xfffd
	v_add_co_ci_u32_e64 v12, null, 0, v12, vcc_lo
	s_wait_loadcnt 0xd
	v_fma_f64 v[99:100], v[57:58], v[61:62], v[99:100]
	v_fma_f64 v[101:102], v[61:62], 0, v[101:102]
	;; [unrolled: 1-line block ×16, first 2 shown]
	s_clause 0x1
	global_load_b128 v[49:52], v[15:16], off offset:24608
	global_load_b128 v[53:56], v[15:16], off offset:24624
	s_wait_loadcnt 0xd
	v_fma_f64 v[61:62], v[69:70], v[65:66], v[61:62]
	v_fma_f64 v[57:58], v[65:66], 0, v[57:58]
	;; [unrolled: 1-line block ×4, first 2 shown]
	s_wait_loadcnt 0xc
	v_fma_f64 v[91:92], v[73:74], v[65:66], v[91:92]
	v_fma_f64 v[93:94], v[65:66], 0, v[93:94]
	;; [unrolled: 1-line block ×12, first 2 shown]
	s_clause 0x1
	global_load_b128 v[57:60], v[15:16], off offset:24656
	global_load_b128 v[61:64], v[15:16], off offset:24640
	s_clause 0x1
	global_load_b128 v[65:68], v[97:98], off offset:32
	global_load_b128 v[69:72], v[97:98], off offset:48
	s_wait_loadcnt 0xd
	v_fma_f64 v[95:96], v[23:24], v[77:78], v[99:100]
	v_fma_f64 v[97:98], v[77:78], 0, v[101:102]
	;; [unrolled: 1-line block ×16, first 2 shown]
	s_clause 0x1
	global_load_b128 v[17:20], v[15:16], off offset:24672
	global_load_b128 v[73:76], v[15:16], off offset:24688
	v_add_co_u32 v15, vcc_lo, 0x8000, v15
	s_wait_alu 0xfffd
	v_add_co_ci_u32_e64 v16, null, 0, v16, vcc_lo
	v_cmp_ge_i64_e32 vcc_lo, v[11:12], v[13:14]
	s_wait_alu 0xfffe
	s_or_b32 s7, vcc_lo, s7
	s_wait_loadcnt 0xd
	v_fma_f64 v[77:78], v[27:28], v[81:82], v[77:78]
	v_fma_f64 v[23:24], v[81:82], 0, v[23:24]
	;; [unrolled: 1-line block ×4, first 2 shown]
	s_wait_loadcnt 0xc
	v_fma_f64 v[91:92], v[31:32], v[81:82], v[91:92]
	v_fma_f64 v[95:96], v[81:82], 0, v[95:96]
	;; [unrolled: 1-line block ×12, first 2 shown]
	s_wait_loadcnt 0x9
	v_fma_f64 v[77:78], v[85:86], v[41:42], v[77:78]
	v_fma_f64 v[23:24], v[41:42], 0, v[23:24]
	;; [unrolled: 1-line block ×16, first 2 shown]
	s_wait_loadcnt 0x7
	v_fma_f64 v[39:40], v[49:50], v[45:46], v[41:42]
	v_fma_f64 v[23:24], v[45:46], 0, v[23:24]
	;; [unrolled: 1-line block ×4, first 2 shown]
	s_wait_loadcnt 0x6
	v_fma_f64 v[29:30], v[53:54], v[45:46], v[29:30]
	v_fma_f64 v[31:32], v[45:46], 0, v[31:32]
	;; [unrolled: 1-line block ×12, first 2 shown]
	s_wait_loadcnt 0x3
	v_fma_f64 v[39:40], v[61:62], v[65:66], v[39:40]
	v_fma_f64 v[23:24], v[65:66], 0, v[23:24]
	;; [unrolled: 1-line block ×16, first 2 shown]
	s_wait_loadcnt 0x1
	v_fma_f64 v[39:40], v[17:18], v[69:70], v[39:40]
	v_fma_f64 v[23:24], v[69:70], 0, v[23:24]
	;; [unrolled: 1-line block ×4, first 2 shown]
	s_wait_loadcnt 0x0
	v_fma_f64 v[29:30], v[73:74], v[69:70], v[29:30]
	v_fma_f64 v[43:44], v[69:70], 0, v[31:32]
	;; [unrolled: 1-line block ×12, first 2 shown]
	s_wait_alu 0xfffe
	s_and_not1_b32 exec_lo, exec_lo, s7
	s_cbranch_execnz .LBB149_33
; %bb.34:
	s_or_b32 exec_lo, exec_lo, s7
.LBB149_35:
	s_wait_alu 0xfffe
	s_or_b32 exec_lo, exec_lo, s6
.LBB149_36:
	s_wait_alu 0xfffe
	s_or_b32 exec_lo, exec_lo, s3
.LBB149_37:
	v_mbcnt_lo_u32_b32 v45, -1, 0
	s_delay_alu instid0(VALU_DEP_1) | instskip(NEXT) | instid1(VALU_DEP_1)
	v_or_b32_e32 v9, 32, v45
	v_cmp_gt_i32_e32 vcc_lo, 32, v9
	s_wait_alu 0xfffd
	v_cndmask_b32_e32 v9, v45, v9, vcc_lo
	s_delay_alu instid0(VALU_DEP_1)
	v_lshlrev_b32_e32 v42, 2, v9
	ds_bpermute_b32 v9, v42, v27
	ds_bpermute_b32 v10, v42, v28
	s_wait_dscnt 0x0
	v_add_f64_e32 v[9:10], v[27:28], v[9:10]
	v_xor_b32_e32 v27, 16, v45
	s_delay_alu instid0(VALU_DEP_1)
	v_cmp_gt_i32_e32 vcc_lo, 32, v27
	s_wait_alu 0xfffd
	v_cndmask_b32_e32 v27, v45, v27, vcc_lo
	ds_bpermute_b32 v11, v42, v23
	ds_bpermute_b32 v12, v42, v24
	;; [unrolled: 1-line block ×14, first 2 shown]
	s_wait_dscnt 0xc
	v_add_f64_e32 v[11:12], v[23:24], v[11:12]
	s_wait_dscnt 0xa
	v_add_f64_e32 v[13:14], v[33:34], v[13:14]
	;; [unrolled: 2-line block ×7, first 2 shown]
	v_lshlrev_b32_e32 v42, 2, v27
	ds_bpermute_b32 v27, v42, v9
	ds_bpermute_b32 v28, v42, v10
	;; [unrolled: 1-line block ×16, first 2 shown]
	s_wait_dscnt 0xe
	v_add_f64_e32 v[9:10], v[9:10], v[27:28]
	v_xor_b32_e32 v27, 8, v45
	s_delay_alu instid0(VALU_DEP_1)
	v_cmp_gt_i32_e32 vcc_lo, 32, v27
	s_wait_dscnt 0xc
	v_add_f64_e32 v[11:12], v[11:12], v[29:30]
	s_wait_dscnt 0xa
	v_add_f64_e32 v[13:14], v[13:14], v[31:32]
	;; [unrolled: 2-line block ×3, first 2 shown]
	s_wait_alu 0xfffd
	v_cndmask_b32_e32 v27, v45, v27, vcc_lo
	s_wait_dscnt 0x6
	v_add_f64_e32 v[23:24], v[23:24], v[35:36]
	s_wait_dscnt 0x4
	v_add_f64_e32 v[25:26], v[25:26], v[37:38]
	s_wait_dscnt 0x2
	v_add_f64_e32 v[17:18], v[17:18], v[39:40]
	s_wait_dscnt 0x0
	v_add_f64_e32 v[19:20], v[19:20], v[41:42]
	v_lshlrev_b32_e32 v42, 2, v27
	ds_bpermute_b32 v27, v42, v9
	ds_bpermute_b32 v28, v42, v10
	;; [unrolled: 1-line block ×16, first 2 shown]
	s_wait_dscnt 0xe
	v_add_f64_e32 v[9:10], v[9:10], v[27:28]
	v_xor_b32_e32 v27, 4, v45
	s_delay_alu instid0(VALU_DEP_1)
	v_cmp_gt_i32_e32 vcc_lo, 32, v27
	s_wait_dscnt 0xc
	v_add_f64_e32 v[11:12], v[11:12], v[29:30]
	s_wait_dscnt 0xa
	v_add_f64_e32 v[13:14], v[13:14], v[31:32]
	;; [unrolled: 2-line block ×3, first 2 shown]
	s_wait_alu 0xfffd
	v_cndmask_b32_e32 v27, v45, v27, vcc_lo
	s_wait_dscnt 0x6
	v_add_f64_e32 v[23:24], v[23:24], v[35:36]
	s_wait_dscnt 0x4
	v_add_f64_e32 v[25:26], v[25:26], v[37:38]
	;; [unrolled: 2-line block ×4, first 2 shown]
	v_lshlrev_b32_e32 v42, 2, v27
	ds_bpermute_b32 v27, v42, v9
	ds_bpermute_b32 v28, v42, v10
	;; [unrolled: 1-line block ×16, first 2 shown]
	s_wait_dscnt 0xe
	v_add_f64_e32 v[9:10], v[9:10], v[27:28]
	s_wait_dscnt 0xc
	v_add_f64_e32 v[11:12], v[11:12], v[29:30]
	;; [unrolled: 2-line block ×8, first 2 shown]
	v_xor_b32_e32 v19, 2, v45
	s_delay_alu instid0(VALU_DEP_1) | instskip(SKIP_2) | instid1(VALU_DEP_1)
	v_cmp_gt_i32_e32 vcc_lo, 32, v19
	s_wait_alu 0xfffd
	v_cndmask_b32_e32 v19, v45, v19, vcc_lo
	v_lshlrev_b32_e32 v29, 2, v19
	ds_bpermute_b32 v19, v29, v9
	ds_bpermute_b32 v20, v29, v10
	;; [unrolled: 1-line block ×16, first 2 shown]
	s_wait_dscnt 0xe
	v_add_f64_e32 v[9:10], v[9:10], v[19:20]
	s_wait_dscnt 0xc
	v_add_f64_e32 v[29:30], v[11:12], v[25:26]
	s_wait_dscnt 0xa
	v_add_f64_e32 v[11:12], v[13:14], v[33:34]
	s_wait_dscnt 0x8
	v_add_f64_e32 v[25:26], v[15:16], v[35:36]
	s_wait_dscnt 0x6
	v_add_f64_e32 v[13:14], v[23:24], v[37:38]
	v_xor_b32_e32 v23, 1, v45
	s_wait_dscnt 0x4
	v_add_f64_e32 v[19:20], v[27:28], v[39:40]
	s_wait_dscnt 0x2
	v_add_f64_e32 v[15:16], v[17:18], v[41:42]
	;; [unrolled: 2-line block ×3, first 2 shown]
	v_cmp_gt_i32_e32 vcc_lo, 32, v23
	s_wait_alu 0xfffd
	v_cndmask_b32_e32 v23, v45, v23, vcc_lo
	v_cmp_eq_u32_e32 vcc_lo, 63, v0
	s_delay_alu instid0(VALU_DEP_2)
	v_lshlrev_b32_e32 v36, 2, v23
	ds_bpermute_b32 v23, v36, v9
	ds_bpermute_b32 v24, v36, v10
	;; [unrolled: 1-line block ×16, first 2 shown]
	s_and_b32 exec_lo, exec_lo, vcc_lo
	s_cbranch_execz .LBB149_8
; %bb.38:
	s_wait_dscnt 0xc
	v_add_f64_e32 v[29:30], v[29:30], v[41:42]
	s_wait_dscnt 0x8
	v_add_f64_e32 v[25:26], v[25:26], v[39:40]
	;; [unrolled: 2-line block ×4, first 2 shown]
	v_add_f64_e32 v[9:10], v[9:10], v[23:24]
	v_add_f64_e32 v[11:12], v[11:12], v[27:28]
	v_add_f64_e32 v[23:24], v[13:14], v[31:32]
	v_add_f64_e32 v[27:28], v[15:16], v[33:34]
	v_cmp_eq_f64_e32 vcc_lo, 0, v[1:2]
	v_cmp_eq_f64_e64 s2, 0, v[3:4]
	s_load_b64 s[0:1], s[0:1], 0x68
	v_lshlrev_b64_e32 v[21:22], 6, v[21:22]
	v_mul_f64_e64 v[13:14], v[29:30], -v[7:8]
	v_mul_f64_e32 v[15:16], v[5:6], v[29:30]
	v_mul_f64_e64 v[29:30], v[25:26], -v[7:8]
	v_mul_f64_e32 v[25:26], v[5:6], v[25:26]
	;; [unrolled: 2-line block ×4, first 2 shown]
	s_and_b32 s2, vcc_lo, s2
	v_fma_f64 v[17:18], v[5:6], v[9:10], v[13:14]
	v_fma_f64 v[19:20], v[7:8], v[9:10], v[15:16]
	;; [unrolled: 1-line block ×8, first 2 shown]
	s_wait_alu 0xfffe
	s_and_saveexec_b32 s3, s2
	s_wait_alu 0xfffe
	s_xor_b32 s2, exec_lo, s3
	s_cbranch_execz .LBB149_40
; %bb.39:
	s_wait_kmcnt 0x0
	v_add_co_u32 v0, vcc_lo, s0, v21
	s_wait_alu 0xfffd
	v_add_co_ci_u32_e64 v1, null, s1, v22, vcc_lo
                                        ; implicit-def: $vgpr21_vgpr22
	s_clause 0x3
	global_store_b128 v[0:1], v[17:20], off
	global_store_b128 v[0:1], v[13:16], off offset:16
	global_store_b128 v[0:1], v[9:12], off offset:32
	;; [unrolled: 1-line block ×3, first 2 shown]
                                        ; implicit-def: $vgpr3_vgpr4
                                        ; implicit-def: $vgpr17_vgpr18
                                        ; implicit-def: $vgpr13_vgpr14
                                        ; implicit-def: $vgpr9_vgpr10
                                        ; implicit-def: $vgpr5_vgpr6
.LBB149_40:
	s_wait_alu 0xfffe
	s_and_not1_saveexec_b32 s2, s2
	s_cbranch_execz .LBB149_8
; %bb.41:
	s_wait_kmcnt 0x0
	v_add_co_u32 v37, vcc_lo, s0, v21
	s_wait_alu 0xfffd
	v_add_co_ci_u32_e64 v38, null, s1, v22, vcc_lo
	s_clause 0x3
	global_load_b128 v[21:24], v[37:38], off
	global_load_b128 v[25:28], v[37:38], off offset:16
	global_load_b128 v[29:32], v[37:38], off offset:32
	;; [unrolled: 1-line block ×3, first 2 shown]
	s_wait_loadcnt 0x3
	v_fma_f64 v[17:18], v[1:2], v[21:22], v[17:18]
	v_fma_f64 v[19:20], v[3:4], v[21:22], v[19:20]
	s_wait_loadcnt 0x2
	v_fma_f64 v[13:14], v[1:2], v[25:26], v[13:14]
	v_fma_f64 v[15:16], v[3:4], v[25:26], v[15:16]
	;; [unrolled: 3-line block ×4, first 2 shown]
	v_fma_f64 v[5:6], -v[3:4], v[23:24], v[17:18]
	v_fma_f64 v[7:8], v[1:2], v[23:24], v[19:20]
	v_fma_f64 v[9:10], -v[3:4], v[27:28], v[13:14]
	v_fma_f64 v[11:12], v[1:2], v[27:28], v[15:16]
	;; [unrolled: 2-line block ×4, first 2 shown]
	s_clause 0x3
	global_store_b128 v[37:38], v[5:8], off
	global_store_b128 v[37:38], v[9:12], off offset:16
	global_store_b128 v[37:38], v[13:16], off offset:32
	;; [unrolled: 1-line block ×3, first 2 shown]
	s_nop 0
	s_sendmsg sendmsg(MSG_DEALLOC_VGPRS)
	s_endpgm
	.section	.rodata,"a",@progbits
	.p2align	6, 0x0
	.amdhsa_kernel _ZN9rocsparseL18bsrxmvn_4x4_kernelILj128ELj64E21rocsparse_complex_numIdElldS2_S2_EEvT3_20rocsparse_direction_NS_24const_host_device_scalarIT1_EES3_PKS3_PKT2_SC_S9_PKT4_PKT5_S7_PT6_21rocsparse_index_base_b
		.amdhsa_group_segment_fixed_size 0
		.amdhsa_private_segment_fixed_size 0
		.amdhsa_kernarg_size 120
		.amdhsa_user_sgpr_count 2
		.amdhsa_user_sgpr_dispatch_ptr 0
		.amdhsa_user_sgpr_queue_ptr 0
		.amdhsa_user_sgpr_kernarg_segment_ptr 1
		.amdhsa_user_sgpr_dispatch_id 0
		.amdhsa_user_sgpr_private_segment_size 0
		.amdhsa_wavefront_size32 1
		.amdhsa_uses_dynamic_stack 0
		.amdhsa_enable_private_segment 0
		.amdhsa_system_sgpr_workgroup_id_x 1
		.amdhsa_system_sgpr_workgroup_id_y 0
		.amdhsa_system_sgpr_workgroup_id_z 0
		.amdhsa_system_sgpr_workgroup_info 0
		.amdhsa_system_vgpr_workitem_id 0
		.amdhsa_next_free_vgpr 121
		.amdhsa_next_free_sgpr 12
		.amdhsa_reserve_vcc 1
		.amdhsa_float_round_mode_32 0
		.amdhsa_float_round_mode_16_64 0
		.amdhsa_float_denorm_mode_32 3
		.amdhsa_float_denorm_mode_16_64 3
		.amdhsa_fp16_overflow 0
		.amdhsa_workgroup_processor_mode 1
		.amdhsa_memory_ordered 1
		.amdhsa_forward_progress 1
		.amdhsa_inst_pref_size 97
		.amdhsa_round_robin_scheduling 0
		.amdhsa_exception_fp_ieee_invalid_op 0
		.amdhsa_exception_fp_denorm_src 0
		.amdhsa_exception_fp_ieee_div_zero 0
		.amdhsa_exception_fp_ieee_overflow 0
		.amdhsa_exception_fp_ieee_underflow 0
		.amdhsa_exception_fp_ieee_inexact 0
		.amdhsa_exception_int_div_zero 0
	.end_amdhsa_kernel
	.section	.text._ZN9rocsparseL18bsrxmvn_4x4_kernelILj128ELj64E21rocsparse_complex_numIdElldS2_S2_EEvT3_20rocsparse_direction_NS_24const_host_device_scalarIT1_EES3_PKS3_PKT2_SC_S9_PKT4_PKT5_S7_PT6_21rocsparse_index_base_b,"axG",@progbits,_ZN9rocsparseL18bsrxmvn_4x4_kernelILj128ELj64E21rocsparse_complex_numIdElldS2_S2_EEvT3_20rocsparse_direction_NS_24const_host_device_scalarIT1_EES3_PKS3_PKT2_SC_S9_PKT4_PKT5_S7_PT6_21rocsparse_index_base_b,comdat
.Lfunc_end149:
	.size	_ZN9rocsparseL18bsrxmvn_4x4_kernelILj128ELj64E21rocsparse_complex_numIdElldS2_S2_EEvT3_20rocsparse_direction_NS_24const_host_device_scalarIT1_EES3_PKS3_PKT2_SC_S9_PKT4_PKT5_S7_PT6_21rocsparse_index_base_b, .Lfunc_end149-_ZN9rocsparseL18bsrxmvn_4x4_kernelILj128ELj64E21rocsparse_complex_numIdElldS2_S2_EEvT3_20rocsparse_direction_NS_24const_host_device_scalarIT1_EES3_PKS3_PKT2_SC_S9_PKT4_PKT5_S7_PT6_21rocsparse_index_base_b
                                        ; -- End function
	.set _ZN9rocsparseL18bsrxmvn_4x4_kernelILj128ELj64E21rocsparse_complex_numIdElldS2_S2_EEvT3_20rocsparse_direction_NS_24const_host_device_scalarIT1_EES3_PKS3_PKT2_SC_S9_PKT4_PKT5_S7_PT6_21rocsparse_index_base_b.num_vgpr, 121
	.set _ZN9rocsparseL18bsrxmvn_4x4_kernelILj128ELj64E21rocsparse_complex_numIdElldS2_S2_EEvT3_20rocsparse_direction_NS_24const_host_device_scalarIT1_EES3_PKS3_PKT2_SC_S9_PKT4_PKT5_S7_PT6_21rocsparse_index_base_b.num_agpr, 0
	.set _ZN9rocsparseL18bsrxmvn_4x4_kernelILj128ELj64E21rocsparse_complex_numIdElldS2_S2_EEvT3_20rocsparse_direction_NS_24const_host_device_scalarIT1_EES3_PKS3_PKT2_SC_S9_PKT4_PKT5_S7_PT6_21rocsparse_index_base_b.numbered_sgpr, 12
	.set _ZN9rocsparseL18bsrxmvn_4x4_kernelILj128ELj64E21rocsparse_complex_numIdElldS2_S2_EEvT3_20rocsparse_direction_NS_24const_host_device_scalarIT1_EES3_PKS3_PKT2_SC_S9_PKT4_PKT5_S7_PT6_21rocsparse_index_base_b.num_named_barrier, 0
	.set _ZN9rocsparseL18bsrxmvn_4x4_kernelILj128ELj64E21rocsparse_complex_numIdElldS2_S2_EEvT3_20rocsparse_direction_NS_24const_host_device_scalarIT1_EES3_PKS3_PKT2_SC_S9_PKT4_PKT5_S7_PT6_21rocsparse_index_base_b.private_seg_size, 0
	.set _ZN9rocsparseL18bsrxmvn_4x4_kernelILj128ELj64E21rocsparse_complex_numIdElldS2_S2_EEvT3_20rocsparse_direction_NS_24const_host_device_scalarIT1_EES3_PKS3_PKT2_SC_S9_PKT4_PKT5_S7_PT6_21rocsparse_index_base_b.uses_vcc, 1
	.set _ZN9rocsparseL18bsrxmvn_4x4_kernelILj128ELj64E21rocsparse_complex_numIdElldS2_S2_EEvT3_20rocsparse_direction_NS_24const_host_device_scalarIT1_EES3_PKS3_PKT2_SC_S9_PKT4_PKT5_S7_PT6_21rocsparse_index_base_b.uses_flat_scratch, 0
	.set _ZN9rocsparseL18bsrxmvn_4x4_kernelILj128ELj64E21rocsparse_complex_numIdElldS2_S2_EEvT3_20rocsparse_direction_NS_24const_host_device_scalarIT1_EES3_PKS3_PKT2_SC_S9_PKT4_PKT5_S7_PT6_21rocsparse_index_base_b.has_dyn_sized_stack, 0
	.set _ZN9rocsparseL18bsrxmvn_4x4_kernelILj128ELj64E21rocsparse_complex_numIdElldS2_S2_EEvT3_20rocsparse_direction_NS_24const_host_device_scalarIT1_EES3_PKS3_PKT2_SC_S9_PKT4_PKT5_S7_PT6_21rocsparse_index_base_b.has_recursion, 0
	.set _ZN9rocsparseL18bsrxmvn_4x4_kernelILj128ELj64E21rocsparse_complex_numIdElldS2_S2_EEvT3_20rocsparse_direction_NS_24const_host_device_scalarIT1_EES3_PKS3_PKT2_SC_S9_PKT4_PKT5_S7_PT6_21rocsparse_index_base_b.has_indirect_call, 0
	.section	.AMDGPU.csdata,"",@progbits
; Kernel info:
; codeLenInByte = 12352
; TotalNumSgprs: 14
; NumVgprs: 121
; ScratchSize: 0
; MemoryBound: 0
; FloatMode: 240
; IeeeMode: 1
; LDSByteSize: 0 bytes/workgroup (compile time only)
; SGPRBlocks: 0
; VGPRBlocks: 15
; NumSGPRsForWavesPerEU: 14
; NumVGPRsForWavesPerEU: 121
; Occupancy: 10
; WaveLimiterHint : 1
; COMPUTE_PGM_RSRC2:SCRATCH_EN: 0
; COMPUTE_PGM_RSRC2:USER_SGPR: 2
; COMPUTE_PGM_RSRC2:TRAP_HANDLER: 0
; COMPUTE_PGM_RSRC2:TGID_X_EN: 1
; COMPUTE_PGM_RSRC2:TGID_Y_EN: 0
; COMPUTE_PGM_RSRC2:TGID_Z_EN: 0
; COMPUTE_PGM_RSRC2:TIDIG_COMP_CNT: 0
	.section	.text._ZN9rocsparseL18bsrxmvn_4x4_kernelILj128ELj4EdiifddEEvT3_20rocsparse_direction_NS_24const_host_device_scalarIT1_EES1_PKS1_PKT2_SA_S7_PKT4_PKT5_S5_PT6_21rocsparse_index_base_b,"axG",@progbits,_ZN9rocsparseL18bsrxmvn_4x4_kernelILj128ELj4EdiifddEEvT3_20rocsparse_direction_NS_24const_host_device_scalarIT1_EES1_PKS1_PKT2_SA_S7_PKT4_PKT5_S5_PT6_21rocsparse_index_base_b,comdat
	.globl	_ZN9rocsparseL18bsrxmvn_4x4_kernelILj128ELj4EdiifddEEvT3_20rocsparse_direction_NS_24const_host_device_scalarIT1_EES1_PKS1_PKT2_SA_S7_PKT4_PKT5_S5_PT6_21rocsparse_index_base_b ; -- Begin function _ZN9rocsparseL18bsrxmvn_4x4_kernelILj128ELj4EdiifddEEvT3_20rocsparse_direction_NS_24const_host_device_scalarIT1_EES1_PKS1_PKT2_SA_S7_PKT4_PKT5_S5_PT6_21rocsparse_index_base_b
	.p2align	8
	.type	_ZN9rocsparseL18bsrxmvn_4x4_kernelILj128ELj4EdiifddEEvT3_20rocsparse_direction_NS_24const_host_device_scalarIT1_EES1_PKS1_PKT2_SA_S7_PKT4_PKT5_S5_PT6_21rocsparse_index_base_b,@function
_ZN9rocsparseL18bsrxmvn_4x4_kernelILj128ELj4EdiifddEEvT3_20rocsparse_direction_NS_24const_host_device_scalarIT1_EES1_PKS1_PKT2_SA_S7_PKT4_PKT5_S5_PT6_21rocsparse_index_base_b: ; @_ZN9rocsparseL18bsrxmvn_4x4_kernelILj128ELj4EdiifddEEvT3_20rocsparse_direction_NS_24const_host_device_scalarIT1_EES1_PKS1_PKT2_SA_S7_PKT4_PKT5_S5_PT6_21rocsparse_index_base_b
; %bb.0:
	s_clause 0x2
	s_load_b64 s[12:13], s[0:1], 0x58
	s_load_b64 s[4:5], s[0:1], 0x8
	;; [unrolled: 1-line block ×3, first 2 shown]
	s_wait_kmcnt 0x0
	s_bitcmp1_b32 s13, 0
	v_dual_mov_b32 v2, s4 :: v_dual_mov_b32 v3, s5
	s_cselect_b32 s6, -1, 0
	s_delay_alu instid0(SALU_CYCLE_1)
	s_and_b32 vcc_lo, exec_lo, s6
	s_xor_b32 s6, s6, -1
	s_cbranch_vccnz .LBB150_2
; %bb.1:
	v_dual_mov_b32 v1, s4 :: v_dual_mov_b32 v2, s5
	flat_load_b64 v[2:3], v[1:2]
.LBB150_2:
	v_dual_mov_b32 v9, s3 :: v_dual_mov_b32 v8, s2
	s_and_not1_b32 vcc_lo, exec_lo, s6
	s_cbranch_vccnz .LBB150_4
; %bb.3:
	v_dual_mov_b32 v5, s3 :: v_dual_mov_b32 v4, s2
	flat_load_b64 v[8:9], v[4:5]
.LBB150_4:
	s_wait_loadcnt_dscnt 0x0
	v_cmp_neq_f64_e32 vcc_lo, 0, v[2:3]
	v_cmp_neq_f64_e64 s2, 1.0, v[8:9]
	s_or_b32 s2, vcc_lo, s2
	s_wait_alu 0xfffe
	s_and_saveexec_b32 s3, s2
	s_cbranch_execz .LBB150_10
; %bb.5:
	s_clause 0x1
	s_load_b64 s[4:5], s[0:1], 0x18
	s_load_b64 s[2:3], s[0:1], 0x0
	v_lshrrev_b32_e32 v1, 2, v0
	s_delay_alu instid0(VALU_DEP_1)
	v_lshl_or_b32 v10, ttmp9, 5, v1
	s_wait_kmcnt 0x0
	s_cmp_lg_u64 s[4:5], 0
	s_cbranch_scc0 .LBB150_11
; %bb.6:
	s_load_b32 s6, s[0:1], 0x10
	s_mov_b32 s7, 0
                                        ; implicit-def: $vgpr1
	s_wait_kmcnt 0x0
	v_cmp_gt_i32_e32 vcc_lo, s6, v10
	s_mov_b32 s6, 0
	s_and_saveexec_b32 s8, vcc_lo
	s_delay_alu instid0(SALU_CYCLE_1)
	s_xor_b32 s8, exec_lo, s8
	s_cbranch_execz .LBB150_8
; %bb.7:
	v_ashrrev_i32_e32 v11, 31, v10
	s_mov_b32 s6, exec_lo
	s_delay_alu instid0(VALU_DEP_1) | instskip(NEXT) | instid1(VALU_DEP_1)
	v_lshlrev_b64_e32 v[4:5], 2, v[10:11]
	v_add_co_u32 v4, vcc_lo, s4, v4
	s_delay_alu instid0(VALU_DEP_1)
	v_add_co_ci_u32_e64 v5, null, s5, v5, vcc_lo
	global_load_b32 v1, v[4:5], off
	s_wait_loadcnt 0x0
	v_subrev_nc_u32_e32 v1, s12, v1
.LBB150_8:
	s_or_b32 exec_lo, exec_lo, s8
	s_delay_alu instid0(SALU_CYCLE_1)
	s_and_b32 vcc_lo, exec_lo, s7
	s_wait_alu 0xfffe
	s_cbranch_vccz .LBB150_12
.LBB150_9:
	v_cmp_gt_i32_e32 vcc_lo, s2, v10
	s_and_not1_b32 s2, s6, exec_lo
	s_and_b32 s4, vcc_lo, exec_lo
	s_wait_alu 0xfffe
	s_or_b32 s6, s2, s4
	s_wait_alu 0xfffe
	s_and_b32 exec_lo, exec_lo, s6
	s_cbranch_execnz .LBB150_13
.LBB150_10:
	s_nop 0
	s_sendmsg sendmsg(MSG_DEALLOC_VGPRS)
	s_endpgm
.LBB150_11:
	s_mov_b32 s6, 0
                                        ; implicit-def: $vgpr1
	s_cbranch_execnz .LBB150_9
.LBB150_12:
	v_mov_b32_e32 v10, v1
	s_and_b32 exec_lo, exec_lo, s6
	s_cbranch_execz .LBB150_10
.LBB150_13:
	s_load_b256 s[4:11], s[0:1], 0x20
	s_delay_alu instid0(VALU_DEP_1) | instskip(SKIP_1) | instid1(VALU_DEP_2)
	v_ashrrev_i32_e32 v11, 31, v10
	v_and_b32_e32 v21, 3, v0
	v_lshlrev_b64_e32 v[4:5], 2, v[10:11]
	s_wait_kmcnt 0x0
	s_delay_alu instid0(VALU_DEP_1) | instskip(SKIP_1) | instid1(VALU_DEP_2)
	v_add_co_u32 v6, vcc_lo, s4, v4
	s_wait_alu 0xfffd
	v_add_co_ci_u32_e64 v7, null, s5, v5, vcc_lo
	v_add_co_u32 v1, vcc_lo, s6, v4
	s_wait_alu 0xfffd
	v_add_co_ci_u32_e64 v4, null, s7, v5, vcc_lo
	global_load_b32 v23, v[6:7], off
	v_add_co_u32 v6, vcc_lo, v6, 4
	s_wait_alu 0xfffd
	v_add_co_ci_u32_e64 v5, null, 0, v7, vcc_lo
	s_cmp_eq_u64 s[6:7], 0
	s_load_b64 s[4:5], s[0:1], 0x40
	s_cselect_b32 vcc_lo, -1, 0
	s_cmp_eq_u32 s3, 1
	s_wait_alu 0xfffe
	v_dual_cndmask_b32 v5, v4, v5 :: v_dual_cndmask_b32 v4, v1, v6
	global_load_b32 v6, v[4:5], off
	s_wait_loadcnt 0x1
	v_subrev_nc_u32_e32 v0, s12, v23
	s_delay_alu instid0(VALU_DEP_1) | instskip(NEXT) | instid1(VALU_DEP_1)
	v_add_nc_u32_e32 v0, v0, v21
	v_ashrrev_i32_e32 v1, 31, v0
	s_wait_loadcnt 0x0
	v_subrev_nc_u32_e32 v22, s12, v6
	s_delay_alu instid0(VALU_DEP_2) | instskip(NEXT) | instid1(VALU_DEP_2)
	v_lshlrev_b64_e32 v[4:5], 6, v[0:1]
	v_cmp_lt_i32_e64 s2, v0, v22
	s_delay_alu instid0(VALU_DEP_2) | instskip(SKIP_1) | instid1(VALU_DEP_3)
	v_add_co_u32 v4, vcc_lo, s10, v4
	s_wait_alu 0xfffd
	v_add_co_ci_u32_e64 v5, null, s11, v5, vcc_lo
	s_cbranch_scc1 .LBB150_25
; %bb.14:
	v_dual_mov_b32 v15, 0 :: v_dual_mov_b32 v6, 0
	v_dual_mov_b32 v11, 0 :: v_dual_mov_b32 v16, 0
	v_mov_b32_e32 v13, 0
	v_dual_mov_b32 v7, 0 :: v_dual_mov_b32 v12, 0
	v_mov_b32_e32 v14, 0
	s_and_saveexec_b32 s6, s2
	s_cbranch_execz .LBB150_24
; %bb.15:
	v_add_nc_u32_e32 v1, v23, v21
	v_mov_b32_e32 v13, 0
	v_dual_mov_b32 v14, 0 :: v_dual_mov_b32 v15, 0
	v_not_b32_e32 v6, v23
	s_delay_alu instid0(VALU_DEP_4) | instskip(SKIP_2) | instid1(VALU_DEP_3)
	v_subrev_nc_u32_e32 v1, s12, v1
	v_mov_b32_e32 v11, 0
	v_dual_mov_b32 v12, 0 :: v_dual_mov_b32 v19, v0
	v_dual_mov_b32 v16, 0 :: v_dual_add_nc_u32 v1, 4, v1
	s_delay_alu instid0(VALU_DEP_1) | instskip(NEXT) | instid1(VALU_DEP_1)
	v_max_i32_e32 v1, v1, v22
	v_add3_u32 v1, s12, v1, v6
	v_mov_b32_e32 v6, 0
	v_mov_b32_e32 v7, 0
	s_delay_alu instid0(VALU_DEP_3) | instskip(NEXT) | instid1(VALU_DEP_1)
	v_sub_nc_u32_e32 v1, v1, v21
	v_and_b32_e32 v17, 12, v1
	s_delay_alu instid0(VALU_DEP_1)
	v_cmp_ne_u32_e32 vcc_lo, 12, v17
	v_dual_mov_b32 v18, v5 :: v_dual_mov_b32 v17, v4
	s_and_saveexec_b32 s3, vcc_lo
	s_cbranch_execz .LBB150_19
; %bb.16:
	v_lshrrev_b32_e32 v6, 2, v1
	v_mov_b32_e32 v15, 0
	v_mov_b32_e32 v13, 0
	s_mov_b32 s7, 0
	s_delay_alu instid0(VALU_DEP_3) | instskip(SKIP_3) | instid1(VALU_DEP_4)
	v_dual_mov_b32 v18, v5 :: v_dual_add_nc_u32 v11, 1, v6
	v_mov_b32_e32 v6, 0
	v_mov_b32_e32 v7, 0
	v_dual_mov_b32 v17, v4 :: v_dual_mov_b32 v16, 0
	v_and_b32_e32 v19, 3, v11
	v_dual_mov_b32 v11, 0 :: v_dual_mov_b32 v14, 0
	v_mov_b32_e32 v12, 0
	s_delay_alu instid0(VALU_DEP_3)
	v_sub_nc_u32_e32 v24, 0, v19
	v_mov_b32_e32 v19, v0
.LBB150_17:                             ; =>This Inner Loop Header: Depth=1
	s_delay_alu instid0(VALU_DEP_1) | instskip(NEXT) | instid1(VALU_DEP_3)
	v_ashrrev_i32_e32 v20, 31, v19
	v_add_co_u32 v24, s10, v24, 1
	s_wait_alu 0xfffe
	s_or_b32 s7, s10, s7
	s_delay_alu instid0(VALU_DEP_2) | instskip(SKIP_1) | instid1(VALU_DEP_2)
	v_lshlrev_b64_e32 v[25:26], 2, v[19:20]
	v_add_nc_u32_e32 v19, 4, v19
	v_add_co_u32 v25, vcc_lo, s8, v25
	s_wait_alu 0xfffd
	s_delay_alu instid0(VALU_DEP_3)
	v_add_co_ci_u32_e64 v26, null, s9, v26, vcc_lo
	global_load_b32 v20, v[25:26], off
	s_clause 0x3
	global_load_b128 v[25:28], v[17:18], off
	global_load_b128 v[29:32], v[17:18], off offset:16
	global_load_b128 v[33:36], v[17:18], off offset:32
	global_load_b128 v[37:40], v[17:18], off offset:48
	s_wait_loadcnt 0x4
	v_subrev_nc_u32_e32 v20, s12, v20
	s_wait_loadcnt 0x3
	v_cvt_f64_f32_e32 v[49:50], v25
	s_wait_loadcnt 0x2
	v_cvt_f64_f32_e32 v[51:52], v29
	;; [unrolled: 2-line block ×4, first 2 shown]
	v_lshlrev_b32_e32 v41, 2, v20
	v_cvt_f64_f32_e32 v[25:26], v26
	v_cvt_f64_f32_e32 v[29:30], v30
	;; [unrolled: 1-line block ×4, first 2 shown]
	v_ashrrev_i32_e32 v42, 31, v41
	s_delay_alu instid0(VALU_DEP_1) | instskip(SKIP_1) | instid1(VALU_DEP_1)
	v_lshlrev_b64_e32 v[41:42], 3, v[41:42]
	s_wait_kmcnt 0x0
	v_add_co_u32 v45, vcc_lo, s4, v41
	s_wait_alu 0xfffd
	s_delay_alu instid0(VALU_DEP_2)
	v_add_co_ci_u32_e64 v46, null, s5, v42, vcc_lo
	v_add_co_u32 v17, vcc_lo, 0x100, v17
	s_wait_alu 0xfffd
	v_add_co_ci_u32_e64 v18, null, 0, v18, vcc_lo
	s_clause 0x1
	global_load_b128 v[41:44], v[45:46], off
	global_load_b128 v[45:48], v[45:46], off offset:16
	s_wait_loadcnt 0x1
	v_fma_f64 v[13:14], v[49:50], v[41:42], v[13:14]
	v_fma_f64 v[15:16], v[51:52], v[41:42], v[15:16]
	;; [unrolled: 1-line block ×4, first 2 shown]
	v_cvt_f64_f32_e32 v[41:42], v27
	v_cvt_f64_f32_e32 v[49:50], v31
	;; [unrolled: 1-line block ×4, first 2 shown]
	v_fma_f64 v[13:14], v[25:26], v[43:44], v[13:14]
	v_fma_f64 v[15:16], v[29:30], v[43:44], v[15:16]
	;; [unrolled: 1-line block ×4, first 2 shown]
	v_cvt_f64_f32_e32 v[25:26], v28
	v_cvt_f64_f32_e32 v[27:28], v32
	;; [unrolled: 1-line block ×4, first 2 shown]
	s_wait_loadcnt 0x0
	v_fma_f64 v[13:14], v[41:42], v[45:46], v[13:14]
	v_fma_f64 v[15:16], v[49:50], v[45:46], v[15:16]
	v_fma_f64 v[11:12], v[51:52], v[45:46], v[11:12]
	v_fma_f64 v[6:7], v[53:54], v[45:46], v[6:7]
	s_delay_alu instid0(VALU_DEP_4) | instskip(NEXT) | instid1(VALU_DEP_4)
	v_fma_f64 v[13:14], v[25:26], v[47:48], v[13:14]
	v_fma_f64 v[15:16], v[27:28], v[47:48], v[15:16]
	s_delay_alu instid0(VALU_DEP_4) | instskip(NEXT) | instid1(VALU_DEP_4)
	v_fma_f64 v[11:12], v[29:30], v[47:48], v[11:12]
	v_fma_f64 v[6:7], v[31:32], v[47:48], v[6:7]
	s_wait_alu 0xfffe
	s_and_not1_b32 exec_lo, exec_lo, s7
	s_cbranch_execnz .LBB150_17
; %bb.18:
	s_or_b32 exec_lo, exec_lo, s7
.LBB150_19:
	s_wait_alu 0xfffe
	s_or_b32 exec_lo, exec_lo, s3
	s_delay_alu instid0(SALU_CYCLE_1)
	s_mov_b32 s7, exec_lo
	v_cmpx_lt_u32_e32 11, v1
	s_cbranch_execz .LBB150_23
; %bb.20:
	s_mov_b32 s10, 0
.LBB150_21:                             ; =>This Inner Loop Header: Depth=1
	v_ashrrev_i32_e32 v20, 31, v19
	s_delay_alu instid0(VALU_DEP_1) | instskip(SKIP_1) | instid1(VALU_DEP_2)
	v_lshlrev_b64_e32 v[24:25], 2, v[19:20]
	v_add_nc_u32_e32 v19, 16, v19
	v_add_co_u32 v40, vcc_lo, s8, v24
	s_wait_alu 0xfffd
	s_delay_alu instid0(VALU_DEP_3)
	v_add_co_ci_u32_e64 v41, null, s9, v25, vcc_lo
	s_clause 0x1
	global_load_b32 v1, v[40:41], off
	global_load_b32 v20, v[40:41], off offset:16
	s_clause 0x3
	global_load_b128 v[24:27], v[17:18], off
	global_load_b128 v[28:31], v[17:18], off offset:16
	global_load_b128 v[32:35], v[17:18], off offset:32
	;; [unrolled: 1-line block ×3, first 2 shown]
	s_clause 0x1
	global_load_b32 v90, v[40:41], off offset:32
	global_load_b32 v104, v[40:41], off offset:48
	s_wait_loadcnt 0x7
	v_subrev_nc_u32_e32 v1, s12, v1
	s_wait_loadcnt 0x5
	v_cvt_f64_f32_e32 v[88:89], v24
	s_wait_loadcnt 0x4
	v_cvt_f64_f32_e32 v[92:93], v28
	;; [unrolled: 2-line block ×3, first 2 shown]
	v_lshlrev_b32_e32 v40, 2, v1
	v_subrev_nc_u32_e32 v1, s12, v20
	s_wait_loadcnt 0x2
	v_cvt_f64_f32_e32 v[96:97], v36
	v_cvt_f64_f32_e32 v[24:25], v25
	;; [unrolled: 1-line block ×3, first 2 shown]
	v_ashrrev_i32_e32 v41, 31, v40
	v_lshlrev_b32_e32 v64, 2, v1
	s_wait_loadcnt 0x1
	v_subrev_nc_u32_e32 v1, s12, v90
	v_cvt_f64_f32_e32 v[32:33], v33
	v_cvt_f64_f32_e32 v[36:37], v37
	v_lshlrev_b64_e32 v[40:41], 3, v[40:41]
	v_ashrrev_i32_e32 v65, 31, v64
	v_lshlrev_b32_e32 v90, 2, v1
	v_cvt_f64_f32_e32 v[100:101], v39
	s_wait_loadcnt 0x0
	v_subrev_nc_u32_e32 v1, s12, v104
	v_lshlrev_b64_e32 v[64:65], 3, v[64:65]
	s_wait_kmcnt 0x0
	v_add_co_u32 v44, vcc_lo, s4, v40
	s_wait_alu 0xfffd
	v_add_co_ci_u32_e64 v45, null, s5, v41, vcc_lo
	v_ashrrev_i32_e32 v91, 31, v90
	v_add_co_u32 v68, vcc_lo, s4, v64
	s_clause 0x1
	global_load_b128 v[40:43], v[44:45], off
	global_load_b128 v[44:47], v[44:45], off offset:16
	s_clause 0x3
	global_load_b128 v[48:51], v[17:18], off offset:256
	global_load_b128 v[52:55], v[17:18], off offset:272
	;; [unrolled: 1-line block ×4, first 2 shown]
	s_wait_alu 0xfffd
	v_add_co_ci_u32_e64 v69, null, s5, v65, vcc_lo
	v_lshlrev_b64_e32 v[90:91], 3, v[90:91]
	s_clause 0x1
	global_load_b128 v[64:67], v[68:69], off
	global_load_b128 v[68:71], v[68:69], off offset:16
	s_clause 0x3
	global_load_b128 v[72:75], v[17:18], off offset:528
	global_load_b128 v[76:79], v[17:18], off offset:512
	;; [unrolled: 1-line block ×4, first 2 shown]
	v_add_co_u32 v98, vcc_lo, s4, v90
	s_wait_alu 0xfffd
	v_add_co_ci_u32_e64 v99, null, s5, v91, vcc_lo
	s_wait_loadcnt 0xb
	v_fma_f64 v[13:14], v[88:89], v[40:41], v[13:14]
	global_load_b128 v[88:91], v[98:99], off
	v_fma_f64 v[15:16], v[92:93], v[40:41], v[15:16]
	v_fma_f64 v[11:12], v[94:95], v[40:41], v[11:12]
	;; [unrolled: 1-line block ×3, first 2 shown]
	v_cvt_f64_f32_e32 v[40:41], v26
	v_cvt_f64_f32_e32 v[92:93], v34
	;; [unrolled: 1-line block ×4, first 2 shown]
	s_wait_loadcnt 0x9
	v_cvt_f64_f32_e32 v[102:103], v52
	v_cvt_f64_f32_e32 v[52:53], v53
	v_fma_f64 v[24:25], v[24:25], v[42:43], v[13:14]
	v_fma_f64 v[15:16], v[28:29], v[42:43], v[15:16]
	v_cvt_f64_f32_e32 v[28:29], v30
	v_fma_f64 v[32:33], v[32:33], v[42:43], v[11:12]
	v_fma_f64 v[6:7], v[36:37], v[42:43], v[6:7]
	v_cvt_f64_f32_e32 v[36:37], v38
	global_load_b128 v[11:14], v[98:99], off offset:16
	v_cvt_f64_f32_e32 v[42:43], v27
	v_fma_f64 v[40:41], v[40:41], v[44:45], v[24:25]
	v_fma_f64 v[15:16], v[28:29], v[44:45], v[15:16]
	;; [unrolled: 1-line block ×4, first 2 shown]
	s_clause 0x3
	global_load_b128 v[24:27], v[17:18], off offset:768
	global_load_b128 v[28:31], v[17:18], off offset:784
	;; [unrolled: 1-line block ×4, first 2 shown]
	v_cvt_f64_f32_e32 v[44:45], v48
	v_cvt_f64_f32_e32 v[48:49], v49
	v_add_co_u32 v17, s3, 0x400, v17
	s_wait_alu 0xf1ff
	v_add_co_ci_u32_e64 v18, null, 0, v18, s3
	v_fma_f64 v[98:99], v[42:43], v[46:47], v[40:41]
	v_lshlrev_b32_e32 v40, 2, v1
	v_fma_f64 v[15:16], v[94:95], v[46:47], v[15:16]
	s_wait_loadcnt 0xd
	v_cvt_f64_f32_e32 v[94:95], v56
	v_fma_f64 v[92:93], v[96:97], v[46:47], v[92:93]
	s_wait_loadcnt 0xc
	v_cvt_f64_f32_e32 v[96:97], v60
	v_fma_f64 v[6:7], v[100:101], v[46:47], v[6:7]
	v_ashrrev_i32_e32 v41, 31, v40
	v_cvt_f64_f32_e32 v[56:57], v57
	v_cvt_f64_f32_e32 v[60:61], v61
	s_delay_alu instid0(VALU_DEP_3) | instskip(NEXT) | instid1(VALU_DEP_1)
	v_lshlrev_b64_e32 v[40:41], 3, v[40:41]
	v_add_co_u32 v46, vcc_lo, s4, v40
	s_wait_alu 0xfffd
	s_delay_alu instid0(VALU_DEP_2)
	v_add_co_ci_u32_e64 v47, null, s5, v41, vcc_lo
	v_cmp_ge_i32_e32 vcc_lo, v19, v22
	global_load_b128 v[40:43], v[46:47], off
	s_wait_alu 0xfffe
	s_or_b32 s10, vcc_lo, s10
	s_wait_loadcnt 0xc
	v_fma_f64 v[44:45], v[44:45], v[64:65], v[98:99]
	v_fma_f64 v[15:16], v[102:103], v[64:65], v[15:16]
	v_fma_f64 v[92:93], v[94:95], v[64:65], v[92:93]
	v_fma_f64 v[6:7], v[96:97], v[64:65], v[6:7]
	v_cvt_f64_f32_e32 v[64:65], v50
	v_cvt_f64_f32_e32 v[50:51], v51
	v_fma_f64 v[48:49], v[48:49], v[66:67], v[44:45]
	global_load_b128 v[44:47], v[46:47], off offset:16
	v_fma_f64 v[15:16], v[52:53], v[66:67], v[15:16]
	v_cvt_f64_f32_e32 v[52:53], v54
	v_fma_f64 v[56:57], v[56:57], v[66:67], v[92:93]
	v_cvt_f64_f32_e32 v[92:93], v58
	;; [unrolled: 2-line block ×3, first 2 shown]
	v_cvt_f64_f32_e32 v[54:55], v55
	v_cvt_f64_f32_e32 v[58:59], v59
	;; [unrolled: 1-line block ×3, first 2 shown]
	s_wait_loadcnt 0x9
	v_cvt_f64_f32_e32 v[66:67], v80
	v_fma_f64 v[48:49], v[64:65], v[68:69], v[48:49]
	s_wait_loadcnt 0x8
	v_cvt_f64_f32_e32 v[64:65], v84
	v_fma_f64 v[15:16], v[52:53], v[68:69], v[15:16]
	v_fma_f64 v[52:53], v[92:93], v[68:69], v[56:57]
	v_cvt_f64_f32_e32 v[56:57], v76
	v_fma_f64 v[6:7], v[60:61], v[68:69], v[6:7]
	v_cvt_f64_f32_e32 v[60:61], v72
	v_fma_f64 v[48:49], v[50:51], v[70:71], v[48:49]
	v_fma_f64 v[15:16], v[54:55], v[70:71], v[15:16]
	v_cvt_f64_f32_e32 v[54:55], v73
	v_fma_f64 v[50:51], v[58:59], v[70:71], v[52:53]
	v_cvt_f64_f32_e32 v[52:53], v77
	;; [unrolled: 2-line block ×3, first 2 shown]
	v_cvt_f64_f32_e32 v[62:63], v81
	s_wait_loadcnt 0x7
	v_fma_f64 v[48:49], v[56:57], v[88:89], v[48:49]
	v_fma_f64 v[15:16], v[60:61], v[88:89], v[15:16]
	;; [unrolled: 1-line block ×4, first 2 shown]
	v_cvt_f64_f32_e32 v[56:57], v78
	v_cvt_f64_f32_e32 v[60:61], v74
	v_cvt_f64_f32_e32 v[64:65], v86
	v_cvt_f64_f32_e32 v[66:67], v82
	v_fma_f64 v[48:49], v[52:53], v[90:91], v[48:49]
	v_fma_f64 v[15:16], v[54:55], v[90:91], v[15:16]
	;; [unrolled: 1-line block ×4, first 2 shown]
	v_cvt_f64_f32_e32 v[52:53], v79
	v_cvt_f64_f32_e32 v[54:55], v75
	;; [unrolled: 1-line block ×4, first 2 shown]
	s_wait_loadcnt 0x6
	v_fma_f64 v[48:49], v[56:57], v[11:12], v[48:49]
	v_fma_f64 v[15:16], v[60:61], v[11:12], v[15:16]
	;; [unrolled: 1-line block ×4, first 2 shown]
	s_wait_loadcnt 0x5
	v_cvt_f64_f32_e32 v[11:12], v24
	s_wait_loadcnt 0x4
	v_cvt_f64_f32_e32 v[56:57], v28
	;; [unrolled: 2-line block ×4, first 2 shown]
	v_fma_f64 v[48:49], v[52:53], v[13:14], v[48:49]
	v_fma_f64 v[15:16], v[54:55], v[13:14], v[15:16]
	;; [unrolled: 1-line block ×4, first 2 shown]
	v_cvt_f64_f32_e32 v[13:14], v25
	v_cvt_f64_f32_e32 v[24:25], v29
	v_cvt_f64_f32_e32 v[28:29], v33
	v_cvt_f64_f32_e32 v[32:33], v37
	v_cvt_f64_f32_e32 v[52:53], v38
	s_wait_loadcnt 0x1
	v_fma_f64 v[11:12], v[11:12], v[40:41], v[48:49]
	v_fma_f64 v[15:16], v[56:57], v[40:41], v[15:16]
	v_fma_f64 v[36:37], v[60:61], v[40:41], v[50:51]
	v_fma_f64 v[6:7], v[64:65], v[40:41], v[6:7]
	v_cvt_f64_f32_e32 v[40:41], v26
	v_cvt_f64_f32_e32 v[48:49], v30
	;; [unrolled: 1-line block ×3, first 2 shown]
	v_fma_f64 v[11:12], v[13:14], v[42:43], v[11:12]
	v_fma_f64 v[13:14], v[24:25], v[42:43], v[15:16]
	;; [unrolled: 1-line block ×4, first 2 shown]
	v_cvt_f64_f32_e32 v[24:25], v27
	v_cvt_f64_f32_e32 v[26:27], v31
	;; [unrolled: 1-line block ×4, first 2 shown]
	s_wait_loadcnt 0x0
	v_fma_f64 v[11:12], v[40:41], v[44:45], v[11:12]
	v_fma_f64 v[32:33], v[48:49], v[44:45], v[13:14]
	;; [unrolled: 1-line block ×4, first 2 shown]
	s_delay_alu instid0(VALU_DEP_4) | instskip(NEXT) | instid1(VALU_DEP_4)
	v_fma_f64 v[13:14], v[24:25], v[46:47], v[11:12]
	v_fma_f64 v[15:16], v[26:27], v[46:47], v[32:33]
	s_delay_alu instid0(VALU_DEP_4) | instskip(NEXT) | instid1(VALU_DEP_4)
	v_fma_f64 v[11:12], v[28:29], v[46:47], v[34:35]
	v_fma_f64 v[6:7], v[30:31], v[46:47], v[6:7]
	s_wait_alu 0xfffe
	s_and_not1_b32 exec_lo, exec_lo, s10
	s_cbranch_execnz .LBB150_21
; %bb.22:
	s_or_b32 exec_lo, exec_lo, s10
.LBB150_23:
	s_wait_alu 0xfffe
	s_or_b32 exec_lo, exec_lo, s7
.LBB150_24:
	s_wait_alu 0xfffe
	s_or_b32 exec_lo, exec_lo, s6
	s_cbranch_execz .LBB150_26
	s_branch .LBB150_37
.LBB150_25:
                                        ; implicit-def: $vgpr6_vgpr7
                                        ; implicit-def: $vgpr11_vgpr12
                                        ; implicit-def: $vgpr15_vgpr16
                                        ; implicit-def: $vgpr13_vgpr14
.LBB150_26:
	v_dual_mov_b32 v15, 0 :: v_dual_mov_b32 v6, 0
	v_dual_mov_b32 v11, 0 :: v_dual_mov_b32 v16, 0
	v_mov_b32_e32 v13, 0
	v_dual_mov_b32 v7, 0 :: v_dual_mov_b32 v12, 0
	v_mov_b32_e32 v14, 0
	s_and_saveexec_b32 s3, s2
	s_cbranch_execz .LBB150_36
; %bb.27:
	v_add_nc_u32_e32 v1, v23, v21
	v_mov_b32_e32 v13, 0
	v_dual_mov_b32 v14, 0 :: v_dual_mov_b32 v15, 0
	v_not_b32_e32 v6, v23
	s_delay_alu instid0(VALU_DEP_4) | instskip(SKIP_3) | instid1(VALU_DEP_3)
	v_subrev_nc_u32_e32 v1, s12, v1
	v_mov_b32_e32 v11, 0
	s_mov_b32 s2, exec_lo
	v_mov_b32_e32 v16, 0
	v_dual_mov_b32 v12, 0 :: v_dual_add_nc_u32 v1, 4, v1
	s_delay_alu instid0(VALU_DEP_1) | instskip(NEXT) | instid1(VALU_DEP_1)
	v_max_i32_e32 v1, v1, v22
	v_add3_u32 v1, s12, v1, v6
	v_mov_b32_e32 v6, 0
	v_mov_b32_e32 v7, 0
	s_delay_alu instid0(VALU_DEP_3) | instskip(NEXT) | instid1(VALU_DEP_1)
	v_sub_nc_u32_e32 v17, v1, v21
	v_and_b32_e32 v1, 12, v17
	s_delay_alu instid0(VALU_DEP_1)
	v_cmpx_ne_u32_e32 12, v1
	s_cbranch_execz .LBB150_31
; %bb.28:
	v_lshrrev_b32_e32 v1, 2, v17
	v_mov_b32_e32 v11, 0
	v_mov_b32_e32 v15, 0
	;; [unrolled: 1-line block ×3, first 2 shown]
	s_delay_alu instid0(VALU_DEP_4) | instskip(SKIP_3) | instid1(VALU_DEP_3)
	v_dual_mov_b32 v14, 0 :: v_dual_add_nc_u32 v1, 1, v1
	v_mov_b32_e32 v6, 0
	v_dual_mov_b32 v7, 0 :: v_dual_mov_b32 v16, 0
	s_mov_b32 s6, 0
	v_dual_mov_b32 v12, 0 :: v_dual_and_b32 v1, 3, v1
	s_delay_alu instid0(VALU_DEP_1)
	v_sub_nc_u32_e32 v18, 0, v1
.LBB150_29:                             ; =>This Inner Loop Header: Depth=1
	v_ashrrev_i32_e32 v1, 31, v0
	s_delay_alu instid0(VALU_DEP_2) | instskip(SKIP_2) | instid1(VALU_DEP_2)
	v_add_co_u32 v18, s7, v18, 1
	s_wait_alu 0xfffe
	s_or_b32 s6, s7, s6
	v_lshlrev_b64_e32 v[19:20], 2, v[0:1]
	v_add_nc_u32_e32 v0, 4, v0
	s_delay_alu instid0(VALU_DEP_2) | instskip(SKIP_1) | instid1(VALU_DEP_3)
	v_add_co_u32 v19, vcc_lo, s8, v19
	s_wait_alu 0xfffd
	v_add_co_ci_u32_e64 v20, null, s9, v20, vcc_lo
	global_load_b32 v1, v[19:20], off
	s_clause 0x1
	global_load_b128 v[23:26], v[4:5], off
	global_load_b128 v[27:30], v[4:5], off offset:16
	s_wait_loadcnt 0x2
	v_subrev_nc_u32_e32 v1, s12, v1
	s_wait_loadcnt 0x1
	v_cvt_f64_f32_e32 v[47:48], v25
	v_cvt_f64_f32_e32 v[25:26], v26
	s_wait_loadcnt 0x0
	v_cvt_f64_f32_e32 v[49:50], v27
	v_cvt_f64_f32_e32 v[27:28], v28
	v_lshlrev_b32_e32 v19, 2, v1
	v_cvt_f64_f32_e32 v[51:52], v29
	v_cvt_f64_f32_e32 v[29:30], v30
	s_delay_alu instid0(VALU_DEP_3) | instskip(NEXT) | instid1(VALU_DEP_1)
	v_ashrrev_i32_e32 v20, 31, v19
	v_lshlrev_b64_e32 v[19:20], 3, v[19:20]
	s_wait_kmcnt 0x0
	s_delay_alu instid0(VALU_DEP_1) | instskip(SKIP_1) | instid1(VALU_DEP_2)
	v_add_co_u32 v19, vcc_lo, s4, v19
	s_wait_alu 0xfffd
	v_add_co_ci_u32_e64 v20, null, s5, v20, vcc_lo
	s_clause 0x1
	global_load_b128 v[31:34], v[19:20], off
	global_load_b128 v[35:38], v[19:20], off offset:16
	s_clause 0x1
	global_load_b128 v[39:42], v[4:5], off offset:32
	global_load_b128 v[43:46], v[4:5], off offset:48
	v_cvt_f64_f32_e32 v[19:20], v23
	v_cvt_f64_f32_e32 v[23:24], v24
	v_add_co_u32 v4, vcc_lo, 0x100, v4
	s_wait_alu 0xfffd
	v_add_co_ci_u32_e64 v5, null, 0, v5, vcc_lo
	s_wait_loadcnt 0x3
	s_delay_alu instid0(VALU_DEP_4) | instskip(NEXT) | instid1(VALU_DEP_4)
	v_fma_f64 v[13:14], v[19:20], v[31:32], v[13:14]
	v_fma_f64 v[15:16], v[23:24], v[31:32], v[15:16]
	;; [unrolled: 1-line block ×4, first 2 shown]
	s_wait_loadcnt 0x1
	v_cvt_f64_f32_e32 v[19:20], v39
	v_cvt_f64_f32_e32 v[23:24], v40
	;; [unrolled: 1-line block ×4, first 2 shown]
	s_wait_loadcnt 0x0
	v_cvt_f64_f32_e32 v[39:40], v46
	v_fma_f64 v[13:14], v[49:50], v[33:34], v[13:14]
	v_fma_f64 v[15:16], v[27:28], v[33:34], v[15:16]
	;; [unrolled: 1-line block ×4, first 2 shown]
	v_cvt_f64_f32_e32 v[27:28], v43
	v_cvt_f64_f32_e32 v[29:30], v44
	;; [unrolled: 1-line block ×3, first 2 shown]
	v_fma_f64 v[13:14], v[19:20], v[35:36], v[13:14]
	v_fma_f64 v[15:16], v[23:24], v[35:36], v[15:16]
	;; [unrolled: 1-line block ×4, first 2 shown]
	s_delay_alu instid0(VALU_DEP_4) | instskip(NEXT) | instid1(VALU_DEP_4)
	v_fma_f64 v[13:14], v[27:28], v[37:38], v[13:14]
	v_fma_f64 v[15:16], v[29:30], v[37:38], v[15:16]
	s_delay_alu instid0(VALU_DEP_4) | instskip(NEXT) | instid1(VALU_DEP_4)
	v_fma_f64 v[11:12], v[33:34], v[37:38], v[11:12]
	v_fma_f64 v[6:7], v[39:40], v[37:38], v[6:7]
	s_wait_alu 0xfffe
	s_and_not1_b32 exec_lo, exec_lo, s6
	s_cbranch_execnz .LBB150_29
; %bb.30:
	s_or_b32 exec_lo, exec_lo, s6
.LBB150_31:
	s_wait_alu 0xfffe
	s_or_b32 exec_lo, exec_lo, s2
	s_delay_alu instid0(SALU_CYCLE_1)
	s_mov_b32 s6, exec_lo
	v_cmpx_lt_u32_e32 11, v17
	s_cbranch_execz .LBB150_35
; %bb.32:
	s_mov_b32 s7, 0
.LBB150_33:                             ; =>This Inner Loop Header: Depth=1
	v_ashrrev_i32_e32 v1, 31, v0
	s_delay_alu instid0(VALU_DEP_1) | instskip(SKIP_1) | instid1(VALU_DEP_2)
	v_lshlrev_b64_e32 v[17:18], 2, v[0:1]
	v_add_nc_u32_e32 v0, 16, v0
	v_add_co_u32 v23, vcc_lo, s8, v17
	s_wait_alu 0xfffd
	s_delay_alu instid0(VALU_DEP_3)
	v_add_co_ci_u32_e64 v24, null, s9, v18, vcc_lo
	s_clause 0x2
	global_load_b32 v1, v[23:24], off
	global_load_b32 v47, v[23:24], off offset:16
	global_load_b32 v71, v[23:24], off offset:32
	global_load_b128 v[17:20], v[4:5], off
	global_load_b32 v89, v[23:24], off offset:48
	s_wait_loadcnt 0x4
	v_subrev_nc_u32_e32 v1, s12, v1
	s_wait_loadcnt 0x1
	v_cvt_f64_f32_e32 v[75:76], v17
	v_cvt_f64_f32_e32 v[77:78], v18
	s_delay_alu instid0(VALU_DEP_3) | instskip(SKIP_3) | instid1(VALU_DEP_4)
	v_lshlrev_b32_e32 v23, 2, v1
	v_subrev_nc_u32_e32 v1, s12, v47
	v_cvt_f64_f32_e32 v[79:80], v19
	v_cvt_f64_f32_e32 v[81:82], v20
	v_ashrrev_i32_e32 v24, 31, v23
	s_delay_alu instid0(VALU_DEP_4) | instskip(SKIP_1) | instid1(VALU_DEP_3)
	v_lshlrev_b32_e32 v47, 2, v1
	v_subrev_nc_u32_e32 v1, s12, v71
	v_lshlrev_b64_e32 v[23:24], 3, v[23:24]
	s_delay_alu instid0(VALU_DEP_3) | instskip(NEXT) | instid1(VALU_DEP_3)
	v_ashrrev_i32_e32 v48, 31, v47
	v_lshlrev_b32_e32 v17, 2, v1
	s_wait_loadcnt 0x0
	v_subrev_nc_u32_e32 v1, s12, v89
	s_delay_alu instid0(VALU_DEP_3)
	v_lshlrev_b64_e32 v[47:48], 3, v[47:48]
	s_wait_kmcnt 0x0
	v_add_co_u32 v39, vcc_lo, s4, v23
	s_wait_alu 0xfffd
	v_add_co_ci_u32_e64 v40, null, s5, v24, vcc_lo
	v_ashrrev_i32_e32 v18, 31, v17
	global_load_b128 v[23:26], v[4:5], off offset:16
	global_load_b128 v[27:30], v[39:40], off
	s_clause 0x1
	global_load_b128 v[31:34], v[4:5], off offset:32
	global_load_b128 v[35:38], v[4:5], off offset:48
	;; [unrolled: 1-line block ×4, first 2 shown]
	v_add_co_u32 v63, vcc_lo, s4, v47
	s_wait_alu 0xfffd
	v_add_co_ci_u32_e64 v64, null, s5, v48, vcc_lo
	global_load_b128 v[47:50], v[4:5], off offset:272
	global_load_b128 v[51:54], v[63:64], off
	s_clause 0x1
	global_load_b128 v[55:58], v[4:5], off offset:288
	global_load_b128 v[59:62], v[4:5], off offset:304
	;; [unrolled: 1-line block ×4, first 2 shown]
	v_lshlrev_b64_e32 v[17:18], 3, v[17:18]
	s_delay_alu instid0(VALU_DEP_1) | instskip(SKIP_1) | instid1(VALU_DEP_2)
	v_add_co_u32 v83, vcc_lo, s4, v17
	s_wait_alu 0xfffd
	v_add_co_ci_u32_e64 v84, null, s5, v18, vcc_lo
	global_load_b128 v[17:20], v[4:5], off offset:528
	global_load_b128 v[71:74], v[83:84], off
	s_wait_loadcnt 0xd
	v_cvt_f64_f32_e32 v[85:86], v23
	v_cvt_f64_f32_e32 v[23:24], v24
	;; [unrolled: 1-line block ×4, first 2 shown]
	s_wait_loadcnt 0xc
	v_fma_f64 v[75:76], v[75:76], v[27:28], v[13:14]
	v_fma_f64 v[15:16], v[77:78], v[27:28], v[15:16]
	;; [unrolled: 1-line block ×4, first 2 shown]
	global_load_b128 v[11:14], v[4:5], off offset:544
	s_wait_loadcnt 0xc
	v_cvt_f64_f32_e32 v[79:80], v31
	v_cvt_f64_f32_e32 v[31:32], v32
	;; [unrolled: 1-line block ×4, first 2 shown]
	v_fma_f64 v[75:76], v[85:86], v[29:30], v[75:76]
	v_fma_f64 v[15:16], v[23:24], v[29:30], v[15:16]
	;; [unrolled: 1-line block ×4, first 2 shown]
	global_load_b128 v[23:26], v[4:5], off offset:560
	global_load_b128 v[27:30], v[83:84], off offset:16
	s_wait_loadcnt 0xd
	v_cvt_f64_f32_e32 v[83:84], v35
	v_cvt_f64_f32_e32 v[35:36], v36
	;; [unrolled: 1-line block ×4, first 2 shown]
	s_wait_loadcnt 0xa
	v_cvt_f64_f32_e32 v[87:88], v49
	v_cvt_f64_f32_e32 v[49:50], v50
	v_fma_f64 v[75:76], v[79:80], v[39:40], v[75:76]
	v_fma_f64 v[15:16], v[31:32], v[39:40], v[15:16]
	;; [unrolled: 1-line block ×4, first 2 shown]
	global_load_b128 v[31:34], v[4:5], off offset:768
	v_cvt_f64_f32_e32 v[79:80], v43
	v_cvt_f64_f32_e32 v[43:44], v44
	;; [unrolled: 1-line block ×4, first 2 shown]
	v_lshlrev_b32_e32 v39, 2, v1
	s_delay_alu instid0(VALU_DEP_1)
	v_ashrrev_i32_e32 v40, 31, v39
	v_fma_f64 v[75:76], v[83:84], v[41:42], v[75:76]
	v_fma_f64 v[15:16], v[35:36], v[41:42], v[15:16]
	;; [unrolled: 1-line block ×4, first 2 shown]
	v_lshlrev_b64_e32 v[35:36], 3, v[39:40]
	v_cvt_f64_f32_e32 v[85:86], v47
	v_cvt_f64_f32_e32 v[47:48], v48
	s_delay_alu instid0(VALU_DEP_3) | instskip(SKIP_1) | instid1(VALU_DEP_4)
	v_add_co_u32 v83, vcc_lo, s4, v35
	s_wait_alu 0xfffd
	v_add_co_ci_u32_e64 v84, null, s5, v36, vcc_lo
	global_load_b128 v[35:38], v[4:5], off offset:784
	global_load_b128 v[39:42], v[83:84], off
	v_cmp_ge_i32_e32 vcc_lo, v0, v22
	s_wait_alu 0xfffe
	s_or_b32 s7, vcc_lo, s7
	s_wait_loadcnt 0xc
	v_fma_f64 v[75:76], v[79:80], v[51:52], v[75:76]
	v_fma_f64 v[15:16], v[43:44], v[51:52], v[15:16]
	;; [unrolled: 1-line block ×4, first 2 shown]
	global_load_b128 v[43:46], v[4:5], off offset:800
	s_wait_loadcnt 0xc
	v_cvt_f64_f32_e32 v[79:80], v55
	v_cvt_f64_f32_e32 v[55:56], v56
	v_cvt_f64_f32_e32 v[81:82], v57
	v_cvt_f64_f32_e32 v[57:58], v58
	v_fma_f64 v[75:76], v[85:86], v[53:54], v[75:76]
	v_fma_f64 v[15:16], v[47:48], v[53:54], v[15:16]
	;; [unrolled: 1-line block ×4, first 2 shown]
	global_load_b128 v[47:50], v[4:5], off offset:816
	global_load_b128 v[51:54], v[83:84], off offset:16
	s_wait_loadcnt 0xd
	v_cvt_f64_f32_e32 v[83:84], v59
	v_cvt_f64_f32_e32 v[59:60], v60
	;; [unrolled: 1-line block ×4, first 2 shown]
	v_add_co_u32 v4, s2, 0x400, v4
	s_wait_alu 0xf1ff
	v_add_co_ci_u32_e64 v5, null, 0, v5, s2
	s_wait_loadcnt 0xc
	v_fma_f64 v[75:76], v[79:80], v[63:64], v[75:76]
	v_fma_f64 v[15:16], v[55:56], v[63:64], v[15:16]
	v_fma_f64 v[55:56], v[81:82], v[63:64], v[77:78]
	v_fma_f64 v[6:7], v[57:58], v[63:64], v[6:7]
	s_wait_loadcnt 0xb
	v_cvt_f64_f32_e32 v[57:58], v67
	v_cvt_f64_f32_e32 v[63:64], v68
	v_cvt_f64_f32_e32 v[67:68], v69
	v_cvt_f64_f32_e32 v[69:70], v70
	v_fma_f64 v[75:76], v[83:84], v[65:66], v[75:76]
	v_fma_f64 v[15:16], v[59:60], v[65:66], v[15:16]
	v_fma_f64 v[55:56], v[85:86], v[65:66], v[55:56]
	v_fma_f64 v[6:7], v[61:62], v[65:66], v[6:7]
	s_wait_loadcnt 0xa
	v_cvt_f64_f32_e32 v[59:60], v17
	v_cvt_f64_f32_e32 v[17:18], v18
	v_cvt_f64_f32_e32 v[61:62], v19
	v_cvt_f64_f32_e32 v[19:20], v20
	s_wait_loadcnt 0x9
	v_fma_f64 v[57:58], v[57:58], v[71:72], v[75:76]
	v_fma_f64 v[15:16], v[63:64], v[71:72], v[15:16]
	v_fma_f64 v[55:56], v[67:68], v[71:72], v[55:56]
	v_fma_f64 v[6:7], v[69:70], v[71:72], v[6:7]
	s_wait_loadcnt 0x8
	v_cvt_f64_f32_e32 v[63:64], v11
	v_cvt_f64_f32_e32 v[11:12], v12
	v_cvt_f64_f32_e32 v[65:66], v13
	v_cvt_f64_f32_e32 v[13:14], v14
	v_fma_f64 v[57:58], v[59:60], v[73:74], v[57:58]
	v_fma_f64 v[15:16], v[17:18], v[73:74], v[15:16]
	v_fma_f64 v[17:18], v[61:62], v[73:74], v[55:56]
	v_fma_f64 v[6:7], v[19:20], v[73:74], v[6:7]
	s_wait_loadcnt 0x7
	v_cvt_f64_f32_e32 v[19:20], v23
	v_cvt_f64_f32_e32 v[23:24], v24
	v_cvt_f64_f32_e32 v[55:56], v25
	v_cvt_f64_f32_e32 v[25:26], v26
	;; [unrolled: 19-line block ×4, first 2 shown]
	s_wait_loadcnt 0x0
	v_fma_f64 v[13:14], v[17:18], v[51:52], v[13:14]
	v_fma_f64 v[11:12], v[19:20], v[51:52], v[11:12]
	;; [unrolled: 1-line block ×4, first 2 shown]
	s_delay_alu instid0(VALU_DEP_4) | instskip(NEXT) | instid1(VALU_DEP_4)
	v_fma_f64 v[13:14], v[23:24], v[53:54], v[13:14]
	v_fma_f64 v[15:16], v[25:26], v[53:54], v[11:12]
	s_delay_alu instid0(VALU_DEP_4) | instskip(NEXT) | instid1(VALU_DEP_4)
	v_fma_f64 v[11:12], v[29:30], v[53:54], v[17:18]
	v_fma_f64 v[6:7], v[33:34], v[53:54], v[6:7]
	s_wait_alu 0xfffe
	s_and_not1_b32 exec_lo, exec_lo, s7
	s_cbranch_execnz .LBB150_33
; %bb.34:
	s_or_b32 exec_lo, exec_lo, s7
.LBB150_35:
	s_wait_alu 0xfffe
	s_or_b32 exec_lo, exec_lo, s6
.LBB150_36:
	s_wait_alu 0xfffe
	s_or_b32 exec_lo, exec_lo, s3
.LBB150_37:
	v_mbcnt_lo_u32_b32 v24, -1, 0
	s_delay_alu instid0(VALU_DEP_1) | instskip(NEXT) | instid1(VALU_DEP_1)
	v_xor_b32_e32 v0, 2, v24
	v_cmp_gt_i32_e32 vcc_lo, 32, v0
	s_wait_alu 0xfffd
	v_cndmask_b32_e32 v0, v24, v0, vcc_lo
	s_delay_alu instid0(VALU_DEP_1)
	v_lshlrev_b32_e32 v17, 2, v0
	ds_bpermute_b32 v0, v17, v13
	ds_bpermute_b32 v1, v17, v14
	ds_bpermute_b32 v4, v17, v15
	ds_bpermute_b32 v5, v17, v16
	ds_bpermute_b32 v19, v17, v11
	ds_bpermute_b32 v20, v17, v12
	ds_bpermute_b32 v22, v17, v6
	ds_bpermute_b32 v23, v17, v7
	s_wait_dscnt 0x6
	v_add_f64_e32 v[17:18], v[13:14], v[0:1]
	s_wait_dscnt 0x4
	v_add_f64_e32 v[13:14], v[15:16], v[4:5]
	;; [unrolled: 2-line block ×4, first 2 shown]
	v_xor_b32_e32 v6, 1, v24
	s_delay_alu instid0(VALU_DEP_1) | instskip(SKIP_3) | instid1(VALU_DEP_2)
	v_cmp_gt_i32_e32 vcc_lo, 32, v6
	s_wait_alu 0xfffd
	v_cndmask_b32_e32 v6, v24, v6, vcc_lo
	v_cmp_eq_u32_e32 vcc_lo, 3, v21
	v_lshlrev_b32_e32 v7, 2, v6
	ds_bpermute_b32 v19, v7, v17
	ds_bpermute_b32 v20, v7, v18
	;; [unrolled: 1-line block ×8, first 2 shown]
	s_and_b32 exec_lo, exec_lo, vcc_lo
	s_cbranch_execz .LBB150_10
; %bb.38:
	s_wait_dscnt 0x6
	v_add_f64_e32 v[17:18], v[17:18], v[19:20]
	s_wait_dscnt 0x4
	v_add_f64_e32 v[13:14], v[13:14], v[15:16]
	s_wait_dscnt 0x2
	v_add_f64_e32 v[0:1], v[0:1], v[11:12]
	s_wait_dscnt 0x0
	v_add_f64_e32 v[11:12], v[4:5], v[6:7]
	s_load_b64 s[0:1], s[0:1], 0x50
	v_lshlrev_b32_e32 v10, 2, v10
	s_mov_b32 s2, exec_lo
	v_mul_f64_e32 v[4:5], v[2:3], v[17:18]
	v_mul_f64_e32 v[6:7], v[2:3], v[13:14]
	;; [unrolled: 1-line block ×4, first 2 shown]
	v_cmpx_eq_f64_e32 0, v[8:9]
	s_wait_alu 0xfffe
	s_xor_b32 s2, exec_lo, s2
	s_cbranch_execz .LBB150_40
; %bb.39:
	v_ashrrev_i32_e32 v11, 31, v10
	s_delay_alu instid0(VALU_DEP_1) | instskip(SKIP_1) | instid1(VALU_DEP_1)
	v_lshlrev_b64_e32 v[8:9], 3, v[10:11]
                                        ; implicit-def: $vgpr10
	s_wait_kmcnt 0x0
	v_add_co_u32 v8, vcc_lo, s0, v8
	s_wait_alu 0xfffd
	s_delay_alu instid0(VALU_DEP_2)
	v_add_co_ci_u32_e64 v9, null, s1, v9, vcc_lo
	s_clause 0x1
	global_store_b128 v[8:9], v[4:7], off
	global_store_b128 v[8:9], v[0:3], off offset:16
                                        ; implicit-def: $vgpr8_vgpr9
                                        ; implicit-def: $vgpr4_vgpr5
                                        ; implicit-def: $vgpr0_vgpr1
.LBB150_40:
	s_wait_alu 0xfffe
	s_and_not1_saveexec_b32 s2, s2
	s_cbranch_execz .LBB150_10
; %bb.41:
	v_ashrrev_i32_e32 v11, 31, v10
	s_delay_alu instid0(VALU_DEP_1) | instskip(SKIP_1) | instid1(VALU_DEP_1)
	v_lshlrev_b64_e32 v[10:11], 3, v[10:11]
	s_wait_kmcnt 0x0
	v_add_co_u32 v18, vcc_lo, s0, v10
	s_wait_alu 0xfffd
	s_delay_alu instid0(VALU_DEP_2)
	v_add_co_ci_u32_e64 v19, null, s1, v11, vcc_lo
	s_clause 0x1
	global_load_b128 v[10:13], v[18:19], off
	global_load_b128 v[14:17], v[18:19], off offset:16
	s_wait_loadcnt 0x1
	v_fma_f64 v[4:5], v[8:9], v[10:11], v[4:5]
	v_fma_f64 v[6:7], v[8:9], v[12:13], v[6:7]
	s_wait_loadcnt 0x0
	v_fma_f64 v[0:1], v[8:9], v[14:15], v[0:1]
	v_fma_f64 v[2:3], v[8:9], v[16:17], v[2:3]
	s_clause 0x1
	global_store_b128 v[18:19], v[4:7], off
	global_store_b128 v[18:19], v[0:3], off offset:16
	s_nop 0
	s_sendmsg sendmsg(MSG_DEALLOC_VGPRS)
	s_endpgm
	.section	.rodata,"a",@progbits
	.p2align	6, 0x0
	.amdhsa_kernel _ZN9rocsparseL18bsrxmvn_4x4_kernelILj128ELj4EdiifddEEvT3_20rocsparse_direction_NS_24const_host_device_scalarIT1_EES1_PKS1_PKT2_SA_S7_PKT4_PKT5_S5_PT6_21rocsparse_index_base_b
		.amdhsa_group_segment_fixed_size 0
		.amdhsa_private_segment_fixed_size 0
		.amdhsa_kernarg_size 96
		.amdhsa_user_sgpr_count 2
		.amdhsa_user_sgpr_dispatch_ptr 0
		.amdhsa_user_sgpr_queue_ptr 0
		.amdhsa_user_sgpr_kernarg_segment_ptr 1
		.amdhsa_user_sgpr_dispatch_id 0
		.amdhsa_user_sgpr_private_segment_size 0
		.amdhsa_wavefront_size32 1
		.amdhsa_uses_dynamic_stack 0
		.amdhsa_enable_private_segment 0
		.amdhsa_system_sgpr_workgroup_id_x 1
		.amdhsa_system_sgpr_workgroup_id_y 0
		.amdhsa_system_sgpr_workgroup_id_z 0
		.amdhsa_system_sgpr_workgroup_info 0
		.amdhsa_system_vgpr_workitem_id 0
		.amdhsa_next_free_vgpr 105
		.amdhsa_next_free_sgpr 14
		.amdhsa_reserve_vcc 1
		.amdhsa_float_round_mode_32 0
		.amdhsa_float_round_mode_16_64 0
		.amdhsa_float_denorm_mode_32 3
		.amdhsa_float_denorm_mode_16_64 3
		.amdhsa_fp16_overflow 0
		.amdhsa_workgroup_processor_mode 1
		.amdhsa_memory_ordered 1
		.amdhsa_forward_progress 1
		.amdhsa_inst_pref_size 44
		.amdhsa_round_robin_scheduling 0
		.amdhsa_exception_fp_ieee_invalid_op 0
		.amdhsa_exception_fp_denorm_src 0
		.amdhsa_exception_fp_ieee_div_zero 0
		.amdhsa_exception_fp_ieee_overflow 0
		.amdhsa_exception_fp_ieee_underflow 0
		.amdhsa_exception_fp_ieee_inexact 0
		.amdhsa_exception_int_div_zero 0
	.end_amdhsa_kernel
	.section	.text._ZN9rocsparseL18bsrxmvn_4x4_kernelILj128ELj4EdiifddEEvT3_20rocsparse_direction_NS_24const_host_device_scalarIT1_EES1_PKS1_PKT2_SA_S7_PKT4_PKT5_S5_PT6_21rocsparse_index_base_b,"axG",@progbits,_ZN9rocsparseL18bsrxmvn_4x4_kernelILj128ELj4EdiifddEEvT3_20rocsparse_direction_NS_24const_host_device_scalarIT1_EES1_PKS1_PKT2_SA_S7_PKT4_PKT5_S5_PT6_21rocsparse_index_base_b,comdat
.Lfunc_end150:
	.size	_ZN9rocsparseL18bsrxmvn_4x4_kernelILj128ELj4EdiifddEEvT3_20rocsparse_direction_NS_24const_host_device_scalarIT1_EES1_PKS1_PKT2_SA_S7_PKT4_PKT5_S5_PT6_21rocsparse_index_base_b, .Lfunc_end150-_ZN9rocsparseL18bsrxmvn_4x4_kernelILj128ELj4EdiifddEEvT3_20rocsparse_direction_NS_24const_host_device_scalarIT1_EES1_PKS1_PKT2_SA_S7_PKT4_PKT5_S5_PT6_21rocsparse_index_base_b
                                        ; -- End function
	.set _ZN9rocsparseL18bsrxmvn_4x4_kernelILj128ELj4EdiifddEEvT3_20rocsparse_direction_NS_24const_host_device_scalarIT1_EES1_PKS1_PKT2_SA_S7_PKT4_PKT5_S5_PT6_21rocsparse_index_base_b.num_vgpr, 105
	.set _ZN9rocsparseL18bsrxmvn_4x4_kernelILj128ELj4EdiifddEEvT3_20rocsparse_direction_NS_24const_host_device_scalarIT1_EES1_PKS1_PKT2_SA_S7_PKT4_PKT5_S5_PT6_21rocsparse_index_base_b.num_agpr, 0
	.set _ZN9rocsparseL18bsrxmvn_4x4_kernelILj128ELj4EdiifddEEvT3_20rocsparse_direction_NS_24const_host_device_scalarIT1_EES1_PKS1_PKT2_SA_S7_PKT4_PKT5_S5_PT6_21rocsparse_index_base_b.numbered_sgpr, 14
	.set _ZN9rocsparseL18bsrxmvn_4x4_kernelILj128ELj4EdiifddEEvT3_20rocsparse_direction_NS_24const_host_device_scalarIT1_EES1_PKS1_PKT2_SA_S7_PKT4_PKT5_S5_PT6_21rocsparse_index_base_b.num_named_barrier, 0
	.set _ZN9rocsparseL18bsrxmvn_4x4_kernelILj128ELj4EdiifddEEvT3_20rocsparse_direction_NS_24const_host_device_scalarIT1_EES1_PKS1_PKT2_SA_S7_PKT4_PKT5_S5_PT6_21rocsparse_index_base_b.private_seg_size, 0
	.set _ZN9rocsparseL18bsrxmvn_4x4_kernelILj128ELj4EdiifddEEvT3_20rocsparse_direction_NS_24const_host_device_scalarIT1_EES1_PKS1_PKT2_SA_S7_PKT4_PKT5_S5_PT6_21rocsparse_index_base_b.uses_vcc, 1
	.set _ZN9rocsparseL18bsrxmvn_4x4_kernelILj128ELj4EdiifddEEvT3_20rocsparse_direction_NS_24const_host_device_scalarIT1_EES1_PKS1_PKT2_SA_S7_PKT4_PKT5_S5_PT6_21rocsparse_index_base_b.uses_flat_scratch, 0
	.set _ZN9rocsparseL18bsrxmvn_4x4_kernelILj128ELj4EdiifddEEvT3_20rocsparse_direction_NS_24const_host_device_scalarIT1_EES1_PKS1_PKT2_SA_S7_PKT4_PKT5_S5_PT6_21rocsparse_index_base_b.has_dyn_sized_stack, 0
	.set _ZN9rocsparseL18bsrxmvn_4x4_kernelILj128ELj4EdiifddEEvT3_20rocsparse_direction_NS_24const_host_device_scalarIT1_EES1_PKS1_PKT2_SA_S7_PKT4_PKT5_S5_PT6_21rocsparse_index_base_b.has_recursion, 0
	.set _ZN9rocsparseL18bsrxmvn_4x4_kernelILj128ELj4EdiifddEEvT3_20rocsparse_direction_NS_24const_host_device_scalarIT1_EES1_PKS1_PKT2_SA_S7_PKT4_PKT5_S5_PT6_21rocsparse_index_base_b.has_indirect_call, 0
	.section	.AMDGPU.csdata,"",@progbits
; Kernel info:
; codeLenInByte = 5556
; TotalNumSgprs: 16
; NumVgprs: 105
; ScratchSize: 0
; MemoryBound: 0
; FloatMode: 240
; IeeeMode: 1
; LDSByteSize: 0 bytes/workgroup (compile time only)
; SGPRBlocks: 0
; VGPRBlocks: 13
; NumSGPRsForWavesPerEU: 16
; NumVGPRsForWavesPerEU: 105
; Occupancy: 12
; WaveLimiterHint : 1
; COMPUTE_PGM_RSRC2:SCRATCH_EN: 0
; COMPUTE_PGM_RSRC2:USER_SGPR: 2
; COMPUTE_PGM_RSRC2:TRAP_HANDLER: 0
; COMPUTE_PGM_RSRC2:TGID_X_EN: 1
; COMPUTE_PGM_RSRC2:TGID_Y_EN: 0
; COMPUTE_PGM_RSRC2:TGID_Z_EN: 0
; COMPUTE_PGM_RSRC2:TIDIG_COMP_CNT: 0
	.section	.text._ZN9rocsparseL18bsrxmvn_4x4_kernelILj128ELj8EdiifddEEvT3_20rocsparse_direction_NS_24const_host_device_scalarIT1_EES1_PKS1_PKT2_SA_S7_PKT4_PKT5_S5_PT6_21rocsparse_index_base_b,"axG",@progbits,_ZN9rocsparseL18bsrxmvn_4x4_kernelILj128ELj8EdiifddEEvT3_20rocsparse_direction_NS_24const_host_device_scalarIT1_EES1_PKS1_PKT2_SA_S7_PKT4_PKT5_S5_PT6_21rocsparse_index_base_b,comdat
	.globl	_ZN9rocsparseL18bsrxmvn_4x4_kernelILj128ELj8EdiifddEEvT3_20rocsparse_direction_NS_24const_host_device_scalarIT1_EES1_PKS1_PKT2_SA_S7_PKT4_PKT5_S5_PT6_21rocsparse_index_base_b ; -- Begin function _ZN9rocsparseL18bsrxmvn_4x4_kernelILj128ELj8EdiifddEEvT3_20rocsparse_direction_NS_24const_host_device_scalarIT1_EES1_PKS1_PKT2_SA_S7_PKT4_PKT5_S5_PT6_21rocsparse_index_base_b
	.p2align	8
	.type	_ZN9rocsparseL18bsrxmvn_4x4_kernelILj128ELj8EdiifddEEvT3_20rocsparse_direction_NS_24const_host_device_scalarIT1_EES1_PKS1_PKT2_SA_S7_PKT4_PKT5_S5_PT6_21rocsparse_index_base_b,@function
_ZN9rocsparseL18bsrxmvn_4x4_kernelILj128ELj8EdiifddEEvT3_20rocsparse_direction_NS_24const_host_device_scalarIT1_EES1_PKS1_PKT2_SA_S7_PKT4_PKT5_S5_PT6_21rocsparse_index_base_b: ; @_ZN9rocsparseL18bsrxmvn_4x4_kernelILj128ELj8EdiifddEEvT3_20rocsparse_direction_NS_24const_host_device_scalarIT1_EES1_PKS1_PKT2_SA_S7_PKT4_PKT5_S5_PT6_21rocsparse_index_base_b
; %bb.0:
	s_clause 0x2
	s_load_b64 s[12:13], s[0:1], 0x58
	s_load_b64 s[4:5], s[0:1], 0x8
	;; [unrolled: 1-line block ×3, first 2 shown]
	s_wait_kmcnt 0x0
	s_bitcmp1_b32 s13, 0
	v_dual_mov_b32 v2, s4 :: v_dual_mov_b32 v3, s5
	s_cselect_b32 s6, -1, 0
	s_delay_alu instid0(SALU_CYCLE_1)
	s_and_b32 vcc_lo, exec_lo, s6
	s_xor_b32 s6, s6, -1
	s_cbranch_vccnz .LBB151_2
; %bb.1:
	v_dual_mov_b32 v1, s4 :: v_dual_mov_b32 v2, s5
	flat_load_b64 v[2:3], v[1:2]
.LBB151_2:
	v_dual_mov_b32 v9, s3 :: v_dual_mov_b32 v8, s2
	s_and_not1_b32 vcc_lo, exec_lo, s6
	s_cbranch_vccnz .LBB151_4
; %bb.3:
	v_dual_mov_b32 v5, s3 :: v_dual_mov_b32 v4, s2
	flat_load_b64 v[8:9], v[4:5]
.LBB151_4:
	s_wait_loadcnt_dscnt 0x0
	v_cmp_neq_f64_e32 vcc_lo, 0, v[2:3]
	v_cmp_neq_f64_e64 s2, 1.0, v[8:9]
	s_or_b32 s2, vcc_lo, s2
	s_wait_alu 0xfffe
	s_and_saveexec_b32 s3, s2
	s_cbranch_execz .LBB151_10
; %bb.5:
	s_clause 0x1
	s_load_b64 s[4:5], s[0:1], 0x18
	s_load_b64 s[2:3], s[0:1], 0x0
	v_lshrrev_b32_e32 v1, 3, v0
	s_delay_alu instid0(VALU_DEP_1)
	v_lshl_or_b32 v10, ttmp9, 4, v1
	s_wait_kmcnt 0x0
	s_cmp_lg_u64 s[4:5], 0
	s_cbranch_scc0 .LBB151_11
; %bb.6:
	s_load_b32 s6, s[0:1], 0x10
	s_mov_b32 s7, 0
                                        ; implicit-def: $vgpr1
	s_wait_kmcnt 0x0
	v_cmp_gt_i32_e32 vcc_lo, s6, v10
	s_mov_b32 s6, 0
	s_and_saveexec_b32 s8, vcc_lo
	s_delay_alu instid0(SALU_CYCLE_1)
	s_xor_b32 s8, exec_lo, s8
	s_cbranch_execz .LBB151_8
; %bb.7:
	v_ashrrev_i32_e32 v11, 31, v10
	s_mov_b32 s6, exec_lo
	s_delay_alu instid0(VALU_DEP_1) | instskip(NEXT) | instid1(VALU_DEP_1)
	v_lshlrev_b64_e32 v[4:5], 2, v[10:11]
	v_add_co_u32 v4, vcc_lo, s4, v4
	s_delay_alu instid0(VALU_DEP_1)
	v_add_co_ci_u32_e64 v5, null, s5, v5, vcc_lo
	global_load_b32 v1, v[4:5], off
	s_wait_loadcnt 0x0
	v_subrev_nc_u32_e32 v1, s12, v1
.LBB151_8:
	s_or_b32 exec_lo, exec_lo, s8
	s_delay_alu instid0(SALU_CYCLE_1)
	s_and_b32 vcc_lo, exec_lo, s7
	s_wait_alu 0xfffe
	s_cbranch_vccz .LBB151_12
.LBB151_9:
	v_cmp_gt_i32_e32 vcc_lo, s2, v10
	s_and_not1_b32 s2, s6, exec_lo
	s_and_b32 s4, vcc_lo, exec_lo
	s_wait_alu 0xfffe
	s_or_b32 s6, s2, s4
	s_wait_alu 0xfffe
	s_and_b32 exec_lo, exec_lo, s6
	s_cbranch_execnz .LBB151_13
.LBB151_10:
	s_nop 0
	s_sendmsg sendmsg(MSG_DEALLOC_VGPRS)
	s_endpgm
.LBB151_11:
	s_mov_b32 s6, 0
                                        ; implicit-def: $vgpr1
	s_cbranch_execnz .LBB151_9
.LBB151_12:
	v_mov_b32_e32 v10, v1
	s_and_b32 exec_lo, exec_lo, s6
	s_cbranch_execz .LBB151_10
.LBB151_13:
	s_load_b256 s[4:11], s[0:1], 0x20
	s_delay_alu instid0(VALU_DEP_1) | instskip(SKIP_1) | instid1(VALU_DEP_2)
	v_ashrrev_i32_e32 v11, 31, v10
	v_and_b32_e32 v21, 7, v0
	v_lshlrev_b64_e32 v[4:5], 2, v[10:11]
	s_wait_kmcnt 0x0
	s_delay_alu instid0(VALU_DEP_1) | instskip(SKIP_1) | instid1(VALU_DEP_2)
	v_add_co_u32 v6, vcc_lo, s4, v4
	s_wait_alu 0xfffd
	v_add_co_ci_u32_e64 v7, null, s5, v5, vcc_lo
	v_add_co_u32 v1, vcc_lo, s6, v4
	s_wait_alu 0xfffd
	v_add_co_ci_u32_e64 v4, null, s7, v5, vcc_lo
	global_load_b32 v23, v[6:7], off
	v_add_co_u32 v6, vcc_lo, v6, 4
	s_wait_alu 0xfffd
	v_add_co_ci_u32_e64 v5, null, 0, v7, vcc_lo
	s_cmp_eq_u64 s[6:7], 0
	s_load_b64 s[4:5], s[0:1], 0x40
	s_cselect_b32 vcc_lo, -1, 0
	s_cmp_eq_u32 s3, 1
	s_wait_alu 0xfffe
	v_dual_cndmask_b32 v5, v4, v5 :: v_dual_cndmask_b32 v4, v1, v6
	global_load_b32 v6, v[4:5], off
	s_wait_loadcnt 0x1
	v_subrev_nc_u32_e32 v0, s12, v23
	s_delay_alu instid0(VALU_DEP_1) | instskip(NEXT) | instid1(VALU_DEP_1)
	v_add_nc_u32_e32 v0, v0, v21
	v_ashrrev_i32_e32 v1, 31, v0
	s_wait_loadcnt 0x0
	v_subrev_nc_u32_e32 v22, s12, v6
	s_delay_alu instid0(VALU_DEP_2) | instskip(NEXT) | instid1(VALU_DEP_2)
	v_lshlrev_b64_e32 v[4:5], 6, v[0:1]
	v_cmp_lt_i32_e64 s2, v0, v22
	s_delay_alu instid0(VALU_DEP_2) | instskip(SKIP_1) | instid1(VALU_DEP_3)
	v_add_co_u32 v4, vcc_lo, s10, v4
	s_wait_alu 0xfffd
	v_add_co_ci_u32_e64 v5, null, s11, v5, vcc_lo
	s_cbranch_scc1 .LBB151_25
; %bb.14:
	v_dual_mov_b32 v15, 0 :: v_dual_mov_b32 v6, 0
	v_dual_mov_b32 v11, 0 :: v_dual_mov_b32 v16, 0
	v_mov_b32_e32 v13, 0
	v_dual_mov_b32 v7, 0 :: v_dual_mov_b32 v12, 0
	v_mov_b32_e32 v14, 0
	s_and_saveexec_b32 s6, s2
	s_cbranch_execz .LBB151_24
; %bb.15:
	v_add_nc_u32_e32 v1, v23, v21
	v_mov_b32_e32 v13, 0
	v_dual_mov_b32 v14, 0 :: v_dual_mov_b32 v15, 0
	v_not_b32_e32 v6, v23
	s_delay_alu instid0(VALU_DEP_4) | instskip(SKIP_2) | instid1(VALU_DEP_3)
	v_subrev_nc_u32_e32 v1, s12, v1
	v_mov_b32_e32 v11, 0
	v_dual_mov_b32 v12, 0 :: v_dual_mov_b32 v19, v0
	v_dual_mov_b32 v16, 0 :: v_dual_add_nc_u32 v1, 8, v1
	s_delay_alu instid0(VALU_DEP_1) | instskip(NEXT) | instid1(VALU_DEP_1)
	v_max_i32_e32 v1, v1, v22
	v_add3_u32 v1, s12, v1, v6
	v_mov_b32_e32 v6, 0
	v_mov_b32_e32 v7, 0
	s_delay_alu instid0(VALU_DEP_3) | instskip(NEXT) | instid1(VALU_DEP_1)
	v_sub_nc_u32_e32 v1, v1, v21
	v_and_b32_e32 v17, 24, v1
	s_delay_alu instid0(VALU_DEP_1)
	v_cmp_ne_u32_e32 vcc_lo, 24, v17
	v_dual_mov_b32 v18, v5 :: v_dual_mov_b32 v17, v4
	s_and_saveexec_b32 s3, vcc_lo
	s_cbranch_execz .LBB151_19
; %bb.16:
	v_lshrrev_b32_e32 v6, 3, v1
	v_mov_b32_e32 v15, 0
	v_mov_b32_e32 v13, 0
	s_mov_b32 s7, 0
	s_delay_alu instid0(VALU_DEP_3) | instskip(SKIP_3) | instid1(VALU_DEP_4)
	v_dual_mov_b32 v18, v5 :: v_dual_add_nc_u32 v11, 1, v6
	v_mov_b32_e32 v6, 0
	v_mov_b32_e32 v7, 0
	v_dual_mov_b32 v17, v4 :: v_dual_mov_b32 v16, 0
	v_and_b32_e32 v19, 3, v11
	v_dual_mov_b32 v11, 0 :: v_dual_mov_b32 v14, 0
	v_mov_b32_e32 v12, 0
	s_delay_alu instid0(VALU_DEP_3)
	v_sub_nc_u32_e32 v24, 0, v19
	v_mov_b32_e32 v19, v0
.LBB151_17:                             ; =>This Inner Loop Header: Depth=1
	s_delay_alu instid0(VALU_DEP_1) | instskip(NEXT) | instid1(VALU_DEP_3)
	v_ashrrev_i32_e32 v20, 31, v19
	v_add_co_u32 v24, s10, v24, 1
	s_wait_alu 0xfffe
	s_or_b32 s7, s10, s7
	s_delay_alu instid0(VALU_DEP_2) | instskip(SKIP_1) | instid1(VALU_DEP_2)
	v_lshlrev_b64_e32 v[25:26], 2, v[19:20]
	v_add_nc_u32_e32 v19, 8, v19
	v_add_co_u32 v25, vcc_lo, s8, v25
	s_wait_alu 0xfffd
	s_delay_alu instid0(VALU_DEP_3)
	v_add_co_ci_u32_e64 v26, null, s9, v26, vcc_lo
	global_load_b32 v20, v[25:26], off
	s_clause 0x3
	global_load_b128 v[25:28], v[17:18], off
	global_load_b128 v[29:32], v[17:18], off offset:16
	global_load_b128 v[33:36], v[17:18], off offset:32
	;; [unrolled: 1-line block ×3, first 2 shown]
	s_wait_loadcnt 0x4
	v_subrev_nc_u32_e32 v20, s12, v20
	s_wait_loadcnt 0x3
	v_cvt_f64_f32_e32 v[49:50], v25
	s_wait_loadcnt 0x2
	v_cvt_f64_f32_e32 v[51:52], v29
	;; [unrolled: 2-line block ×4, first 2 shown]
	v_lshlrev_b32_e32 v41, 2, v20
	v_cvt_f64_f32_e32 v[25:26], v26
	v_cvt_f64_f32_e32 v[29:30], v30
	;; [unrolled: 1-line block ×4, first 2 shown]
	v_ashrrev_i32_e32 v42, 31, v41
	s_delay_alu instid0(VALU_DEP_1) | instskip(SKIP_1) | instid1(VALU_DEP_1)
	v_lshlrev_b64_e32 v[41:42], 3, v[41:42]
	s_wait_kmcnt 0x0
	v_add_co_u32 v45, vcc_lo, s4, v41
	s_wait_alu 0xfffd
	s_delay_alu instid0(VALU_DEP_2)
	v_add_co_ci_u32_e64 v46, null, s5, v42, vcc_lo
	v_add_co_u32 v17, vcc_lo, 0x200, v17
	s_wait_alu 0xfffd
	v_add_co_ci_u32_e64 v18, null, 0, v18, vcc_lo
	s_clause 0x1
	global_load_b128 v[41:44], v[45:46], off
	global_load_b128 v[45:48], v[45:46], off offset:16
	s_wait_loadcnt 0x1
	v_fma_f64 v[13:14], v[49:50], v[41:42], v[13:14]
	v_fma_f64 v[15:16], v[51:52], v[41:42], v[15:16]
	;; [unrolled: 1-line block ×4, first 2 shown]
	v_cvt_f64_f32_e32 v[41:42], v27
	v_cvt_f64_f32_e32 v[49:50], v31
	;; [unrolled: 1-line block ×4, first 2 shown]
	v_fma_f64 v[13:14], v[25:26], v[43:44], v[13:14]
	v_fma_f64 v[15:16], v[29:30], v[43:44], v[15:16]
	v_fma_f64 v[11:12], v[33:34], v[43:44], v[11:12]
	v_fma_f64 v[6:7], v[37:38], v[43:44], v[6:7]
	v_cvt_f64_f32_e32 v[25:26], v28
	v_cvt_f64_f32_e32 v[27:28], v32
	;; [unrolled: 1-line block ×4, first 2 shown]
	s_wait_loadcnt 0x0
	v_fma_f64 v[13:14], v[41:42], v[45:46], v[13:14]
	v_fma_f64 v[15:16], v[49:50], v[45:46], v[15:16]
	;; [unrolled: 1-line block ×4, first 2 shown]
	s_delay_alu instid0(VALU_DEP_4) | instskip(NEXT) | instid1(VALU_DEP_4)
	v_fma_f64 v[13:14], v[25:26], v[47:48], v[13:14]
	v_fma_f64 v[15:16], v[27:28], v[47:48], v[15:16]
	s_delay_alu instid0(VALU_DEP_4) | instskip(NEXT) | instid1(VALU_DEP_4)
	v_fma_f64 v[11:12], v[29:30], v[47:48], v[11:12]
	v_fma_f64 v[6:7], v[31:32], v[47:48], v[6:7]
	s_wait_alu 0xfffe
	s_and_not1_b32 exec_lo, exec_lo, s7
	s_cbranch_execnz .LBB151_17
; %bb.18:
	s_or_b32 exec_lo, exec_lo, s7
.LBB151_19:
	s_wait_alu 0xfffe
	s_or_b32 exec_lo, exec_lo, s3
	s_delay_alu instid0(SALU_CYCLE_1)
	s_mov_b32 s7, exec_lo
	v_cmpx_lt_u32_e32 23, v1
	s_cbranch_execz .LBB151_23
; %bb.20:
	s_mov_b32 s10, 0
.LBB151_21:                             ; =>This Inner Loop Header: Depth=1
	v_ashrrev_i32_e32 v20, 31, v19
	s_delay_alu instid0(VALU_DEP_1) | instskip(SKIP_1) | instid1(VALU_DEP_2)
	v_lshlrev_b64_e32 v[24:25], 2, v[19:20]
	v_add_nc_u32_e32 v19, 32, v19
	v_add_co_u32 v40, vcc_lo, s8, v24
	s_wait_alu 0xfffd
	s_delay_alu instid0(VALU_DEP_3)
	v_add_co_ci_u32_e64 v41, null, s9, v25, vcc_lo
	s_clause 0x1
	global_load_b32 v1, v[40:41], off
	global_load_b32 v20, v[40:41], off offset:32
	s_clause 0x3
	global_load_b128 v[24:27], v[17:18], off
	global_load_b128 v[28:31], v[17:18], off offset:16
	global_load_b128 v[32:35], v[17:18], off offset:32
	;; [unrolled: 1-line block ×3, first 2 shown]
	s_clause 0x1
	global_load_b32 v90, v[40:41], off offset:64
	global_load_b32 v104, v[40:41], off offset:96
	s_wait_loadcnt 0x7
	v_subrev_nc_u32_e32 v1, s12, v1
	s_wait_loadcnt 0x5
	v_cvt_f64_f32_e32 v[88:89], v24
	s_wait_loadcnt 0x4
	v_cvt_f64_f32_e32 v[92:93], v28
	;; [unrolled: 2-line block ×3, first 2 shown]
	v_lshlrev_b32_e32 v40, 2, v1
	v_subrev_nc_u32_e32 v1, s12, v20
	s_wait_loadcnt 0x2
	v_cvt_f64_f32_e32 v[96:97], v36
	v_cvt_f64_f32_e32 v[24:25], v25
	;; [unrolled: 1-line block ×3, first 2 shown]
	v_ashrrev_i32_e32 v41, 31, v40
	v_lshlrev_b32_e32 v64, 2, v1
	s_wait_loadcnt 0x1
	v_subrev_nc_u32_e32 v1, s12, v90
	v_cvt_f64_f32_e32 v[32:33], v33
	v_cvt_f64_f32_e32 v[36:37], v37
	v_lshlrev_b64_e32 v[40:41], 3, v[40:41]
	v_ashrrev_i32_e32 v65, 31, v64
	v_lshlrev_b32_e32 v90, 2, v1
	v_cvt_f64_f32_e32 v[100:101], v39
	s_wait_loadcnt 0x0
	v_subrev_nc_u32_e32 v1, s12, v104
	v_lshlrev_b64_e32 v[64:65], 3, v[64:65]
	s_wait_kmcnt 0x0
	v_add_co_u32 v44, vcc_lo, s4, v40
	s_wait_alu 0xfffd
	v_add_co_ci_u32_e64 v45, null, s5, v41, vcc_lo
	v_ashrrev_i32_e32 v91, 31, v90
	v_add_co_u32 v68, vcc_lo, s4, v64
	s_clause 0x1
	global_load_b128 v[40:43], v[44:45], off
	global_load_b128 v[44:47], v[44:45], off offset:16
	s_clause 0x3
	global_load_b128 v[48:51], v[17:18], off offset:512
	global_load_b128 v[52:55], v[17:18], off offset:528
	;; [unrolled: 1-line block ×4, first 2 shown]
	s_wait_alu 0xfffd
	v_add_co_ci_u32_e64 v69, null, s5, v65, vcc_lo
	v_lshlrev_b64_e32 v[90:91], 3, v[90:91]
	s_clause 0x1
	global_load_b128 v[64:67], v[68:69], off
	global_load_b128 v[68:71], v[68:69], off offset:16
	s_clause 0x3
	global_load_b128 v[72:75], v[17:18], off offset:1040
	global_load_b128 v[76:79], v[17:18], off offset:1024
	;; [unrolled: 1-line block ×4, first 2 shown]
	v_add_co_u32 v98, vcc_lo, s4, v90
	s_wait_alu 0xfffd
	v_add_co_ci_u32_e64 v99, null, s5, v91, vcc_lo
	s_wait_loadcnt 0xb
	v_fma_f64 v[13:14], v[88:89], v[40:41], v[13:14]
	global_load_b128 v[88:91], v[98:99], off
	v_fma_f64 v[15:16], v[92:93], v[40:41], v[15:16]
	v_fma_f64 v[11:12], v[94:95], v[40:41], v[11:12]
	;; [unrolled: 1-line block ×3, first 2 shown]
	v_cvt_f64_f32_e32 v[40:41], v26
	v_cvt_f64_f32_e32 v[92:93], v34
	;; [unrolled: 1-line block ×4, first 2 shown]
	s_wait_loadcnt 0x9
	v_cvt_f64_f32_e32 v[102:103], v52
	v_cvt_f64_f32_e32 v[52:53], v53
	v_fma_f64 v[24:25], v[24:25], v[42:43], v[13:14]
	v_fma_f64 v[15:16], v[28:29], v[42:43], v[15:16]
	v_cvt_f64_f32_e32 v[28:29], v30
	v_fma_f64 v[32:33], v[32:33], v[42:43], v[11:12]
	v_fma_f64 v[6:7], v[36:37], v[42:43], v[6:7]
	v_cvt_f64_f32_e32 v[36:37], v38
	global_load_b128 v[11:14], v[98:99], off offset:16
	v_cvt_f64_f32_e32 v[42:43], v27
	v_fma_f64 v[40:41], v[40:41], v[44:45], v[24:25]
	v_fma_f64 v[15:16], v[28:29], v[44:45], v[15:16]
	;; [unrolled: 1-line block ×4, first 2 shown]
	s_clause 0x3
	global_load_b128 v[24:27], v[17:18], off offset:1536
	global_load_b128 v[28:31], v[17:18], off offset:1552
	;; [unrolled: 1-line block ×4, first 2 shown]
	v_cvt_f64_f32_e32 v[44:45], v48
	v_cvt_f64_f32_e32 v[48:49], v49
	v_add_co_u32 v17, s3, 0x800, v17
	s_wait_alu 0xf1ff
	v_add_co_ci_u32_e64 v18, null, 0, v18, s3
	v_fma_f64 v[98:99], v[42:43], v[46:47], v[40:41]
	v_lshlrev_b32_e32 v40, 2, v1
	v_fma_f64 v[15:16], v[94:95], v[46:47], v[15:16]
	s_wait_loadcnt 0xd
	v_cvt_f64_f32_e32 v[94:95], v56
	v_fma_f64 v[92:93], v[96:97], v[46:47], v[92:93]
	s_wait_loadcnt 0xc
	v_cvt_f64_f32_e32 v[96:97], v60
	v_fma_f64 v[6:7], v[100:101], v[46:47], v[6:7]
	v_ashrrev_i32_e32 v41, 31, v40
	v_cvt_f64_f32_e32 v[56:57], v57
	v_cvt_f64_f32_e32 v[60:61], v61
	s_delay_alu instid0(VALU_DEP_3) | instskip(NEXT) | instid1(VALU_DEP_1)
	v_lshlrev_b64_e32 v[40:41], 3, v[40:41]
	v_add_co_u32 v46, vcc_lo, s4, v40
	s_wait_alu 0xfffd
	s_delay_alu instid0(VALU_DEP_2)
	v_add_co_ci_u32_e64 v47, null, s5, v41, vcc_lo
	v_cmp_ge_i32_e32 vcc_lo, v19, v22
	global_load_b128 v[40:43], v[46:47], off
	s_wait_alu 0xfffe
	s_or_b32 s10, vcc_lo, s10
	s_wait_loadcnt 0xc
	v_fma_f64 v[44:45], v[44:45], v[64:65], v[98:99]
	v_fma_f64 v[15:16], v[102:103], v[64:65], v[15:16]
	;; [unrolled: 1-line block ×4, first 2 shown]
	v_cvt_f64_f32_e32 v[64:65], v50
	v_cvt_f64_f32_e32 v[50:51], v51
	v_fma_f64 v[48:49], v[48:49], v[66:67], v[44:45]
	global_load_b128 v[44:47], v[46:47], off offset:16
	v_fma_f64 v[15:16], v[52:53], v[66:67], v[15:16]
	v_cvt_f64_f32_e32 v[52:53], v54
	v_fma_f64 v[56:57], v[56:57], v[66:67], v[92:93]
	v_cvt_f64_f32_e32 v[92:93], v58
	;; [unrolled: 2-line block ×3, first 2 shown]
	v_cvt_f64_f32_e32 v[54:55], v55
	v_cvt_f64_f32_e32 v[58:59], v59
	;; [unrolled: 1-line block ×3, first 2 shown]
	s_wait_loadcnt 0x9
	v_cvt_f64_f32_e32 v[66:67], v80
	v_fma_f64 v[48:49], v[64:65], v[68:69], v[48:49]
	s_wait_loadcnt 0x8
	v_cvt_f64_f32_e32 v[64:65], v84
	v_fma_f64 v[15:16], v[52:53], v[68:69], v[15:16]
	v_fma_f64 v[52:53], v[92:93], v[68:69], v[56:57]
	v_cvt_f64_f32_e32 v[56:57], v76
	v_fma_f64 v[6:7], v[60:61], v[68:69], v[6:7]
	v_cvt_f64_f32_e32 v[60:61], v72
	v_fma_f64 v[48:49], v[50:51], v[70:71], v[48:49]
	v_fma_f64 v[15:16], v[54:55], v[70:71], v[15:16]
	v_cvt_f64_f32_e32 v[54:55], v73
	v_fma_f64 v[50:51], v[58:59], v[70:71], v[52:53]
	v_cvt_f64_f32_e32 v[52:53], v77
	;; [unrolled: 2-line block ×3, first 2 shown]
	v_cvt_f64_f32_e32 v[62:63], v81
	s_wait_loadcnt 0x7
	v_fma_f64 v[48:49], v[56:57], v[88:89], v[48:49]
	v_fma_f64 v[15:16], v[60:61], v[88:89], v[15:16]
	;; [unrolled: 1-line block ×4, first 2 shown]
	v_cvt_f64_f32_e32 v[56:57], v78
	v_cvt_f64_f32_e32 v[60:61], v74
	;; [unrolled: 1-line block ×4, first 2 shown]
	v_fma_f64 v[48:49], v[52:53], v[90:91], v[48:49]
	v_fma_f64 v[15:16], v[54:55], v[90:91], v[15:16]
	;; [unrolled: 1-line block ×4, first 2 shown]
	v_cvt_f64_f32_e32 v[52:53], v79
	v_cvt_f64_f32_e32 v[54:55], v75
	;; [unrolled: 1-line block ×4, first 2 shown]
	s_wait_loadcnt 0x6
	v_fma_f64 v[48:49], v[56:57], v[11:12], v[48:49]
	v_fma_f64 v[15:16], v[60:61], v[11:12], v[15:16]
	;; [unrolled: 1-line block ×4, first 2 shown]
	s_wait_loadcnt 0x5
	v_cvt_f64_f32_e32 v[11:12], v24
	s_wait_loadcnt 0x4
	v_cvt_f64_f32_e32 v[56:57], v28
	;; [unrolled: 2-line block ×4, first 2 shown]
	v_fma_f64 v[48:49], v[52:53], v[13:14], v[48:49]
	v_fma_f64 v[15:16], v[54:55], v[13:14], v[15:16]
	;; [unrolled: 1-line block ×4, first 2 shown]
	v_cvt_f64_f32_e32 v[13:14], v25
	v_cvt_f64_f32_e32 v[24:25], v29
	;; [unrolled: 1-line block ×5, first 2 shown]
	s_wait_loadcnt 0x1
	v_fma_f64 v[11:12], v[11:12], v[40:41], v[48:49]
	v_fma_f64 v[15:16], v[56:57], v[40:41], v[15:16]
	;; [unrolled: 1-line block ×4, first 2 shown]
	v_cvt_f64_f32_e32 v[40:41], v26
	v_cvt_f64_f32_e32 v[48:49], v30
	;; [unrolled: 1-line block ×3, first 2 shown]
	v_fma_f64 v[11:12], v[13:14], v[42:43], v[11:12]
	v_fma_f64 v[13:14], v[24:25], v[42:43], v[15:16]
	;; [unrolled: 1-line block ×4, first 2 shown]
	v_cvt_f64_f32_e32 v[24:25], v27
	v_cvt_f64_f32_e32 v[26:27], v31
	;; [unrolled: 1-line block ×4, first 2 shown]
	s_wait_loadcnt 0x0
	v_fma_f64 v[11:12], v[40:41], v[44:45], v[11:12]
	v_fma_f64 v[32:33], v[48:49], v[44:45], v[13:14]
	;; [unrolled: 1-line block ×4, first 2 shown]
	s_delay_alu instid0(VALU_DEP_4) | instskip(NEXT) | instid1(VALU_DEP_4)
	v_fma_f64 v[13:14], v[24:25], v[46:47], v[11:12]
	v_fma_f64 v[15:16], v[26:27], v[46:47], v[32:33]
	s_delay_alu instid0(VALU_DEP_4) | instskip(NEXT) | instid1(VALU_DEP_4)
	v_fma_f64 v[11:12], v[28:29], v[46:47], v[34:35]
	v_fma_f64 v[6:7], v[30:31], v[46:47], v[6:7]
	s_wait_alu 0xfffe
	s_and_not1_b32 exec_lo, exec_lo, s10
	s_cbranch_execnz .LBB151_21
; %bb.22:
	s_or_b32 exec_lo, exec_lo, s10
.LBB151_23:
	s_wait_alu 0xfffe
	s_or_b32 exec_lo, exec_lo, s7
.LBB151_24:
	s_wait_alu 0xfffe
	s_or_b32 exec_lo, exec_lo, s6
	s_cbranch_execz .LBB151_26
	s_branch .LBB151_37
.LBB151_25:
                                        ; implicit-def: $vgpr6_vgpr7
                                        ; implicit-def: $vgpr11_vgpr12
                                        ; implicit-def: $vgpr15_vgpr16
                                        ; implicit-def: $vgpr13_vgpr14
.LBB151_26:
	v_dual_mov_b32 v15, 0 :: v_dual_mov_b32 v6, 0
	v_dual_mov_b32 v11, 0 :: v_dual_mov_b32 v16, 0
	v_mov_b32_e32 v13, 0
	v_dual_mov_b32 v7, 0 :: v_dual_mov_b32 v12, 0
	v_mov_b32_e32 v14, 0
	s_and_saveexec_b32 s3, s2
	s_cbranch_execz .LBB151_36
; %bb.27:
	v_add_nc_u32_e32 v1, v23, v21
	v_mov_b32_e32 v13, 0
	v_dual_mov_b32 v14, 0 :: v_dual_mov_b32 v15, 0
	v_not_b32_e32 v6, v23
	s_delay_alu instid0(VALU_DEP_4) | instskip(SKIP_3) | instid1(VALU_DEP_3)
	v_subrev_nc_u32_e32 v1, s12, v1
	v_mov_b32_e32 v11, 0
	s_mov_b32 s2, exec_lo
	v_mov_b32_e32 v16, 0
	v_dual_mov_b32 v12, 0 :: v_dual_add_nc_u32 v1, 8, v1
	s_delay_alu instid0(VALU_DEP_1) | instskip(NEXT) | instid1(VALU_DEP_1)
	v_max_i32_e32 v1, v1, v22
	v_add3_u32 v1, s12, v1, v6
	v_mov_b32_e32 v6, 0
	v_mov_b32_e32 v7, 0
	s_delay_alu instid0(VALU_DEP_3) | instskip(NEXT) | instid1(VALU_DEP_1)
	v_sub_nc_u32_e32 v17, v1, v21
	v_and_b32_e32 v1, 24, v17
	s_delay_alu instid0(VALU_DEP_1)
	v_cmpx_ne_u32_e32 24, v1
	s_cbranch_execz .LBB151_31
; %bb.28:
	v_lshrrev_b32_e32 v1, 3, v17
	v_mov_b32_e32 v11, 0
	v_mov_b32_e32 v15, 0
	;; [unrolled: 1-line block ×3, first 2 shown]
	s_delay_alu instid0(VALU_DEP_4) | instskip(SKIP_3) | instid1(VALU_DEP_3)
	v_dual_mov_b32 v14, 0 :: v_dual_add_nc_u32 v1, 1, v1
	v_mov_b32_e32 v6, 0
	v_dual_mov_b32 v7, 0 :: v_dual_mov_b32 v16, 0
	s_mov_b32 s6, 0
	v_dual_mov_b32 v12, 0 :: v_dual_and_b32 v1, 3, v1
	s_delay_alu instid0(VALU_DEP_1)
	v_sub_nc_u32_e32 v18, 0, v1
.LBB151_29:                             ; =>This Inner Loop Header: Depth=1
	v_ashrrev_i32_e32 v1, 31, v0
	s_delay_alu instid0(VALU_DEP_2) | instskip(SKIP_2) | instid1(VALU_DEP_2)
	v_add_co_u32 v18, s7, v18, 1
	s_wait_alu 0xfffe
	s_or_b32 s6, s7, s6
	v_lshlrev_b64_e32 v[19:20], 2, v[0:1]
	v_add_nc_u32_e32 v0, 8, v0
	s_delay_alu instid0(VALU_DEP_2) | instskip(SKIP_1) | instid1(VALU_DEP_3)
	v_add_co_u32 v19, vcc_lo, s8, v19
	s_wait_alu 0xfffd
	v_add_co_ci_u32_e64 v20, null, s9, v20, vcc_lo
	global_load_b32 v1, v[19:20], off
	s_clause 0x1
	global_load_b128 v[23:26], v[4:5], off
	global_load_b128 v[27:30], v[4:5], off offset:16
	s_wait_loadcnt 0x2
	v_subrev_nc_u32_e32 v1, s12, v1
	s_wait_loadcnt 0x1
	v_cvt_f64_f32_e32 v[47:48], v25
	v_cvt_f64_f32_e32 v[25:26], v26
	s_wait_loadcnt 0x0
	v_cvt_f64_f32_e32 v[49:50], v27
	v_cvt_f64_f32_e32 v[27:28], v28
	v_lshlrev_b32_e32 v19, 2, v1
	v_cvt_f64_f32_e32 v[51:52], v29
	v_cvt_f64_f32_e32 v[29:30], v30
	s_delay_alu instid0(VALU_DEP_3) | instskip(NEXT) | instid1(VALU_DEP_1)
	v_ashrrev_i32_e32 v20, 31, v19
	v_lshlrev_b64_e32 v[19:20], 3, v[19:20]
	s_wait_kmcnt 0x0
	s_delay_alu instid0(VALU_DEP_1) | instskip(SKIP_1) | instid1(VALU_DEP_2)
	v_add_co_u32 v19, vcc_lo, s4, v19
	s_wait_alu 0xfffd
	v_add_co_ci_u32_e64 v20, null, s5, v20, vcc_lo
	s_clause 0x1
	global_load_b128 v[31:34], v[19:20], off
	global_load_b128 v[35:38], v[19:20], off offset:16
	s_clause 0x1
	global_load_b128 v[39:42], v[4:5], off offset:32
	global_load_b128 v[43:46], v[4:5], off offset:48
	v_cvt_f64_f32_e32 v[19:20], v23
	v_cvt_f64_f32_e32 v[23:24], v24
	v_add_co_u32 v4, vcc_lo, 0x200, v4
	s_wait_alu 0xfffd
	v_add_co_ci_u32_e64 v5, null, 0, v5, vcc_lo
	s_wait_loadcnt 0x3
	s_delay_alu instid0(VALU_DEP_4) | instskip(NEXT) | instid1(VALU_DEP_4)
	v_fma_f64 v[13:14], v[19:20], v[31:32], v[13:14]
	v_fma_f64 v[15:16], v[23:24], v[31:32], v[15:16]
	;; [unrolled: 1-line block ×4, first 2 shown]
	s_wait_loadcnt 0x1
	v_cvt_f64_f32_e32 v[19:20], v39
	v_cvt_f64_f32_e32 v[23:24], v40
	;; [unrolled: 1-line block ×4, first 2 shown]
	s_wait_loadcnt 0x0
	v_cvt_f64_f32_e32 v[39:40], v46
	v_fma_f64 v[13:14], v[49:50], v[33:34], v[13:14]
	v_fma_f64 v[15:16], v[27:28], v[33:34], v[15:16]
	v_fma_f64 v[11:12], v[51:52], v[33:34], v[11:12]
	v_fma_f64 v[6:7], v[29:30], v[33:34], v[6:7]
	v_cvt_f64_f32_e32 v[27:28], v43
	v_cvt_f64_f32_e32 v[29:30], v44
	;; [unrolled: 1-line block ×3, first 2 shown]
	v_fma_f64 v[13:14], v[19:20], v[35:36], v[13:14]
	v_fma_f64 v[15:16], v[23:24], v[35:36], v[15:16]
	;; [unrolled: 1-line block ×4, first 2 shown]
	s_delay_alu instid0(VALU_DEP_4) | instskip(NEXT) | instid1(VALU_DEP_4)
	v_fma_f64 v[13:14], v[27:28], v[37:38], v[13:14]
	v_fma_f64 v[15:16], v[29:30], v[37:38], v[15:16]
	s_delay_alu instid0(VALU_DEP_4) | instskip(NEXT) | instid1(VALU_DEP_4)
	v_fma_f64 v[11:12], v[33:34], v[37:38], v[11:12]
	v_fma_f64 v[6:7], v[39:40], v[37:38], v[6:7]
	s_wait_alu 0xfffe
	s_and_not1_b32 exec_lo, exec_lo, s6
	s_cbranch_execnz .LBB151_29
; %bb.30:
	s_or_b32 exec_lo, exec_lo, s6
.LBB151_31:
	s_wait_alu 0xfffe
	s_or_b32 exec_lo, exec_lo, s2
	s_delay_alu instid0(SALU_CYCLE_1)
	s_mov_b32 s6, exec_lo
	v_cmpx_lt_u32_e32 23, v17
	s_cbranch_execz .LBB151_35
; %bb.32:
	s_mov_b32 s7, 0
.LBB151_33:                             ; =>This Inner Loop Header: Depth=1
	v_ashrrev_i32_e32 v1, 31, v0
	s_delay_alu instid0(VALU_DEP_1) | instskip(SKIP_1) | instid1(VALU_DEP_2)
	v_lshlrev_b64_e32 v[17:18], 2, v[0:1]
	v_add_nc_u32_e32 v0, 32, v0
	v_add_co_u32 v23, vcc_lo, s8, v17
	s_wait_alu 0xfffd
	s_delay_alu instid0(VALU_DEP_3)
	v_add_co_ci_u32_e64 v24, null, s9, v18, vcc_lo
	s_clause 0x2
	global_load_b32 v1, v[23:24], off
	global_load_b32 v47, v[23:24], off offset:32
	global_load_b32 v71, v[23:24], off offset:64
	global_load_b128 v[17:20], v[4:5], off
	global_load_b32 v89, v[23:24], off offset:96
	s_wait_loadcnt 0x4
	v_subrev_nc_u32_e32 v1, s12, v1
	s_wait_loadcnt 0x1
	v_cvt_f64_f32_e32 v[75:76], v17
	v_cvt_f64_f32_e32 v[77:78], v18
	s_delay_alu instid0(VALU_DEP_3) | instskip(SKIP_3) | instid1(VALU_DEP_4)
	v_lshlrev_b32_e32 v23, 2, v1
	v_subrev_nc_u32_e32 v1, s12, v47
	v_cvt_f64_f32_e32 v[79:80], v19
	v_cvt_f64_f32_e32 v[81:82], v20
	v_ashrrev_i32_e32 v24, 31, v23
	s_delay_alu instid0(VALU_DEP_4) | instskip(SKIP_1) | instid1(VALU_DEP_3)
	v_lshlrev_b32_e32 v47, 2, v1
	v_subrev_nc_u32_e32 v1, s12, v71
	v_lshlrev_b64_e32 v[23:24], 3, v[23:24]
	s_delay_alu instid0(VALU_DEP_3) | instskip(NEXT) | instid1(VALU_DEP_3)
	v_ashrrev_i32_e32 v48, 31, v47
	v_lshlrev_b32_e32 v17, 2, v1
	s_wait_loadcnt 0x0
	v_subrev_nc_u32_e32 v1, s12, v89
	s_delay_alu instid0(VALU_DEP_3)
	v_lshlrev_b64_e32 v[47:48], 3, v[47:48]
	s_wait_kmcnt 0x0
	v_add_co_u32 v39, vcc_lo, s4, v23
	s_wait_alu 0xfffd
	v_add_co_ci_u32_e64 v40, null, s5, v24, vcc_lo
	v_ashrrev_i32_e32 v18, 31, v17
	global_load_b128 v[23:26], v[4:5], off offset:16
	global_load_b128 v[27:30], v[39:40], off
	s_clause 0x1
	global_load_b128 v[31:34], v[4:5], off offset:32
	global_load_b128 v[35:38], v[4:5], off offset:48
	;; [unrolled: 1-line block ×4, first 2 shown]
	v_add_co_u32 v63, vcc_lo, s4, v47
	s_wait_alu 0xfffd
	v_add_co_ci_u32_e64 v64, null, s5, v48, vcc_lo
	global_load_b128 v[47:50], v[4:5], off offset:528
	global_load_b128 v[51:54], v[63:64], off
	s_clause 0x1
	global_load_b128 v[55:58], v[4:5], off offset:544
	global_load_b128 v[59:62], v[4:5], off offset:560
	;; [unrolled: 1-line block ×4, first 2 shown]
	v_lshlrev_b64_e32 v[17:18], 3, v[17:18]
	s_delay_alu instid0(VALU_DEP_1) | instskip(SKIP_1) | instid1(VALU_DEP_2)
	v_add_co_u32 v83, vcc_lo, s4, v17
	s_wait_alu 0xfffd
	v_add_co_ci_u32_e64 v84, null, s5, v18, vcc_lo
	global_load_b128 v[17:20], v[4:5], off offset:1040
	global_load_b128 v[71:74], v[83:84], off
	s_wait_loadcnt 0xd
	v_cvt_f64_f32_e32 v[85:86], v23
	v_cvt_f64_f32_e32 v[23:24], v24
	;; [unrolled: 1-line block ×4, first 2 shown]
	s_wait_loadcnt 0xc
	v_fma_f64 v[75:76], v[75:76], v[27:28], v[13:14]
	v_fma_f64 v[15:16], v[77:78], v[27:28], v[15:16]
	;; [unrolled: 1-line block ×4, first 2 shown]
	global_load_b128 v[11:14], v[4:5], off offset:1056
	s_wait_loadcnt 0xc
	v_cvt_f64_f32_e32 v[79:80], v31
	v_cvt_f64_f32_e32 v[31:32], v32
	;; [unrolled: 1-line block ×4, first 2 shown]
	v_fma_f64 v[75:76], v[85:86], v[29:30], v[75:76]
	v_fma_f64 v[15:16], v[23:24], v[29:30], v[15:16]
	;; [unrolled: 1-line block ×4, first 2 shown]
	global_load_b128 v[23:26], v[4:5], off offset:1072
	global_load_b128 v[27:30], v[83:84], off offset:16
	s_wait_loadcnt 0xd
	v_cvt_f64_f32_e32 v[83:84], v35
	v_cvt_f64_f32_e32 v[35:36], v36
	;; [unrolled: 1-line block ×4, first 2 shown]
	s_wait_loadcnt 0xa
	v_cvt_f64_f32_e32 v[87:88], v49
	v_cvt_f64_f32_e32 v[49:50], v50
	v_fma_f64 v[75:76], v[79:80], v[39:40], v[75:76]
	v_fma_f64 v[15:16], v[31:32], v[39:40], v[15:16]
	;; [unrolled: 1-line block ×4, first 2 shown]
	global_load_b128 v[31:34], v[4:5], off offset:1536
	v_cvt_f64_f32_e32 v[79:80], v43
	v_cvt_f64_f32_e32 v[43:44], v44
	;; [unrolled: 1-line block ×4, first 2 shown]
	v_lshlrev_b32_e32 v39, 2, v1
	s_delay_alu instid0(VALU_DEP_1)
	v_ashrrev_i32_e32 v40, 31, v39
	v_fma_f64 v[75:76], v[83:84], v[41:42], v[75:76]
	v_fma_f64 v[15:16], v[35:36], v[41:42], v[15:16]
	;; [unrolled: 1-line block ×4, first 2 shown]
	v_lshlrev_b64_e32 v[35:36], 3, v[39:40]
	v_cvt_f64_f32_e32 v[85:86], v47
	v_cvt_f64_f32_e32 v[47:48], v48
	s_delay_alu instid0(VALU_DEP_3) | instskip(SKIP_1) | instid1(VALU_DEP_4)
	v_add_co_u32 v83, vcc_lo, s4, v35
	s_wait_alu 0xfffd
	v_add_co_ci_u32_e64 v84, null, s5, v36, vcc_lo
	global_load_b128 v[35:38], v[4:5], off offset:1552
	global_load_b128 v[39:42], v[83:84], off
	v_cmp_ge_i32_e32 vcc_lo, v0, v22
	s_wait_alu 0xfffe
	s_or_b32 s7, vcc_lo, s7
	s_wait_loadcnt 0xc
	v_fma_f64 v[75:76], v[79:80], v[51:52], v[75:76]
	v_fma_f64 v[15:16], v[43:44], v[51:52], v[15:16]
	;; [unrolled: 1-line block ×4, first 2 shown]
	global_load_b128 v[43:46], v[4:5], off offset:1568
	s_wait_loadcnt 0xc
	v_cvt_f64_f32_e32 v[79:80], v55
	v_cvt_f64_f32_e32 v[55:56], v56
	;; [unrolled: 1-line block ×4, first 2 shown]
	v_fma_f64 v[75:76], v[85:86], v[53:54], v[75:76]
	v_fma_f64 v[15:16], v[47:48], v[53:54], v[15:16]
	;; [unrolled: 1-line block ×4, first 2 shown]
	global_load_b128 v[47:50], v[4:5], off offset:1584
	global_load_b128 v[51:54], v[83:84], off offset:16
	s_wait_loadcnt 0xd
	v_cvt_f64_f32_e32 v[83:84], v59
	v_cvt_f64_f32_e32 v[59:60], v60
	;; [unrolled: 1-line block ×4, first 2 shown]
	v_add_co_u32 v4, s2, 0x800, v4
	s_wait_alu 0xf1ff
	v_add_co_ci_u32_e64 v5, null, 0, v5, s2
	s_wait_loadcnt 0xc
	v_fma_f64 v[75:76], v[79:80], v[63:64], v[75:76]
	v_fma_f64 v[15:16], v[55:56], v[63:64], v[15:16]
	v_fma_f64 v[55:56], v[81:82], v[63:64], v[77:78]
	v_fma_f64 v[6:7], v[57:58], v[63:64], v[6:7]
	s_wait_loadcnt 0xb
	v_cvt_f64_f32_e32 v[57:58], v67
	v_cvt_f64_f32_e32 v[63:64], v68
	v_cvt_f64_f32_e32 v[67:68], v69
	v_cvt_f64_f32_e32 v[69:70], v70
	v_fma_f64 v[75:76], v[83:84], v[65:66], v[75:76]
	v_fma_f64 v[15:16], v[59:60], v[65:66], v[15:16]
	v_fma_f64 v[55:56], v[85:86], v[65:66], v[55:56]
	v_fma_f64 v[6:7], v[61:62], v[65:66], v[6:7]
	s_wait_loadcnt 0xa
	v_cvt_f64_f32_e32 v[59:60], v17
	v_cvt_f64_f32_e32 v[17:18], v18
	v_cvt_f64_f32_e32 v[61:62], v19
	v_cvt_f64_f32_e32 v[19:20], v20
	s_wait_loadcnt 0x9
	v_fma_f64 v[57:58], v[57:58], v[71:72], v[75:76]
	v_fma_f64 v[15:16], v[63:64], v[71:72], v[15:16]
	v_fma_f64 v[55:56], v[67:68], v[71:72], v[55:56]
	v_fma_f64 v[6:7], v[69:70], v[71:72], v[6:7]
	s_wait_loadcnt 0x8
	v_cvt_f64_f32_e32 v[63:64], v11
	v_cvt_f64_f32_e32 v[11:12], v12
	v_cvt_f64_f32_e32 v[65:66], v13
	v_cvt_f64_f32_e32 v[13:14], v14
	v_fma_f64 v[57:58], v[59:60], v[73:74], v[57:58]
	v_fma_f64 v[15:16], v[17:18], v[73:74], v[15:16]
	v_fma_f64 v[17:18], v[61:62], v[73:74], v[55:56]
	v_fma_f64 v[6:7], v[19:20], v[73:74], v[6:7]
	s_wait_loadcnt 0x7
	v_cvt_f64_f32_e32 v[19:20], v23
	v_cvt_f64_f32_e32 v[23:24], v24
	v_cvt_f64_f32_e32 v[55:56], v25
	v_cvt_f64_f32_e32 v[25:26], v26
	;; [unrolled: 19-line block ×4, first 2 shown]
	s_wait_loadcnt 0x0
	v_fma_f64 v[13:14], v[17:18], v[51:52], v[13:14]
	v_fma_f64 v[11:12], v[19:20], v[51:52], v[11:12]
	v_fma_f64 v[17:18], v[27:28], v[51:52], v[15:16]
	v_fma_f64 v[6:7], v[31:32], v[51:52], v[6:7]
	s_delay_alu instid0(VALU_DEP_4) | instskip(NEXT) | instid1(VALU_DEP_4)
	v_fma_f64 v[13:14], v[23:24], v[53:54], v[13:14]
	v_fma_f64 v[15:16], v[25:26], v[53:54], v[11:12]
	s_delay_alu instid0(VALU_DEP_4) | instskip(NEXT) | instid1(VALU_DEP_4)
	v_fma_f64 v[11:12], v[29:30], v[53:54], v[17:18]
	v_fma_f64 v[6:7], v[33:34], v[53:54], v[6:7]
	s_wait_alu 0xfffe
	s_and_not1_b32 exec_lo, exec_lo, s7
	s_cbranch_execnz .LBB151_33
; %bb.34:
	s_or_b32 exec_lo, exec_lo, s7
.LBB151_35:
	s_wait_alu 0xfffe
	s_or_b32 exec_lo, exec_lo, s6
.LBB151_36:
	s_wait_alu 0xfffe
	s_or_b32 exec_lo, exec_lo, s3
.LBB151_37:
	v_mbcnt_lo_u32_b32 v24, -1, 0
	s_delay_alu instid0(VALU_DEP_1) | instskip(NEXT) | instid1(VALU_DEP_1)
	v_xor_b32_e32 v0, 4, v24
	v_cmp_gt_i32_e32 vcc_lo, 32, v0
	s_wait_alu 0xfffd
	v_cndmask_b32_e32 v0, v24, v0, vcc_lo
	s_delay_alu instid0(VALU_DEP_1)
	v_lshlrev_b32_e32 v20, 2, v0
	ds_bpermute_b32 v0, v20, v13
	ds_bpermute_b32 v1, v20, v14
	;; [unrolled: 1-line block ×8, first 2 shown]
	s_wait_dscnt 0x6
	v_add_f64_e32 v[0:1], v[13:14], v[0:1]
	s_wait_dscnt 0x4
	v_add_f64_e32 v[4:5], v[15:16], v[4:5]
	;; [unrolled: 2-line block ×4, first 2 shown]
	v_xor_b32_e32 v6, 2, v24
	s_delay_alu instid0(VALU_DEP_1) | instskip(SKIP_2) | instid1(VALU_DEP_1)
	v_cmp_gt_i32_e32 vcc_lo, 32, v6
	s_wait_alu 0xfffd
	v_cndmask_b32_e32 v6, v24, v6, vcc_lo
	v_lshlrev_b32_e32 v11, 2, v6
	ds_bpermute_b32 v6, v11, v0
	ds_bpermute_b32 v7, v11, v1
	;; [unrolled: 1-line block ×8, first 2 shown]
	s_wait_dscnt 0x6
	v_add_f64_e32 v[11:12], v[0:1], v[6:7]
	s_wait_dscnt 0x4
	v_add_f64_e32 v[6:7], v[4:5], v[17:18]
	;; [unrolled: 2-line block ×3, first 2 shown]
	v_xor_b32_e32 v13, 1, v24
	s_wait_dscnt 0x0
	v_add_f64_e32 v[4:5], v[15:16], v[22:23]
	s_delay_alu instid0(VALU_DEP_2) | instskip(SKIP_3) | instid1(VALU_DEP_2)
	v_cmp_gt_i32_e32 vcc_lo, 32, v13
	s_wait_alu 0xfffd
	v_cndmask_b32_e32 v13, v24, v13, vcc_lo
	v_cmp_eq_u32_e32 vcc_lo, 7, v21
	v_lshlrev_b32_e32 v14, 2, v13
	ds_bpermute_b32 v19, v14, v11
	ds_bpermute_b32 v20, v14, v12
	;; [unrolled: 1-line block ×8, first 2 shown]
	s_and_b32 exec_lo, exec_lo, vcc_lo
	s_cbranch_execz .LBB151_10
; %bb.38:
	s_wait_dscnt 0x6
	v_add_f64_e32 v[11:12], v[11:12], v[19:20]
	s_wait_dscnt 0x4
	v_add_f64_e32 v[6:7], v[6:7], v[17:18]
	;; [unrolled: 2-line block ×4, first 2 shown]
	s_load_b64 s[0:1], s[0:1], 0x50
	v_lshlrev_b32_e32 v10, 2, v10
	s_mov_b32 s2, exec_lo
	v_mul_f64_e32 v[4:5], v[2:3], v[11:12]
	v_mul_f64_e32 v[6:7], v[2:3], v[6:7]
	;; [unrolled: 1-line block ×4, first 2 shown]
	v_cmpx_eq_f64_e32 0, v[8:9]
	s_wait_alu 0xfffe
	s_xor_b32 s2, exec_lo, s2
	s_cbranch_execz .LBB151_40
; %bb.39:
	v_ashrrev_i32_e32 v11, 31, v10
	s_delay_alu instid0(VALU_DEP_1) | instskip(SKIP_1) | instid1(VALU_DEP_1)
	v_lshlrev_b64_e32 v[8:9], 3, v[10:11]
                                        ; implicit-def: $vgpr10
	s_wait_kmcnt 0x0
	v_add_co_u32 v8, vcc_lo, s0, v8
	s_wait_alu 0xfffd
	s_delay_alu instid0(VALU_DEP_2)
	v_add_co_ci_u32_e64 v9, null, s1, v9, vcc_lo
	s_clause 0x1
	global_store_b128 v[8:9], v[4:7], off
	global_store_b128 v[8:9], v[0:3], off offset:16
                                        ; implicit-def: $vgpr8_vgpr9
                                        ; implicit-def: $vgpr4_vgpr5
                                        ; implicit-def: $vgpr0_vgpr1
.LBB151_40:
	s_wait_alu 0xfffe
	s_and_not1_saveexec_b32 s2, s2
	s_cbranch_execz .LBB151_10
; %bb.41:
	v_ashrrev_i32_e32 v11, 31, v10
	s_delay_alu instid0(VALU_DEP_1) | instskip(SKIP_1) | instid1(VALU_DEP_1)
	v_lshlrev_b64_e32 v[10:11], 3, v[10:11]
	s_wait_kmcnt 0x0
	v_add_co_u32 v18, vcc_lo, s0, v10
	s_wait_alu 0xfffd
	s_delay_alu instid0(VALU_DEP_2)
	v_add_co_ci_u32_e64 v19, null, s1, v11, vcc_lo
	s_clause 0x1
	global_load_b128 v[10:13], v[18:19], off
	global_load_b128 v[14:17], v[18:19], off offset:16
	s_wait_loadcnt 0x1
	v_fma_f64 v[4:5], v[8:9], v[10:11], v[4:5]
	v_fma_f64 v[6:7], v[8:9], v[12:13], v[6:7]
	s_wait_loadcnt 0x0
	v_fma_f64 v[0:1], v[8:9], v[14:15], v[0:1]
	v_fma_f64 v[2:3], v[8:9], v[16:17], v[2:3]
	s_clause 0x1
	global_store_b128 v[18:19], v[4:7], off
	global_store_b128 v[18:19], v[0:3], off offset:16
	s_nop 0
	s_sendmsg sendmsg(MSG_DEALLOC_VGPRS)
	s_endpgm
	.section	.rodata,"a",@progbits
	.p2align	6, 0x0
	.amdhsa_kernel _ZN9rocsparseL18bsrxmvn_4x4_kernelILj128ELj8EdiifddEEvT3_20rocsparse_direction_NS_24const_host_device_scalarIT1_EES1_PKS1_PKT2_SA_S7_PKT4_PKT5_S5_PT6_21rocsparse_index_base_b
		.amdhsa_group_segment_fixed_size 0
		.amdhsa_private_segment_fixed_size 0
		.amdhsa_kernarg_size 96
		.amdhsa_user_sgpr_count 2
		.amdhsa_user_sgpr_dispatch_ptr 0
		.amdhsa_user_sgpr_queue_ptr 0
		.amdhsa_user_sgpr_kernarg_segment_ptr 1
		.amdhsa_user_sgpr_dispatch_id 0
		.amdhsa_user_sgpr_private_segment_size 0
		.amdhsa_wavefront_size32 1
		.amdhsa_uses_dynamic_stack 0
		.amdhsa_enable_private_segment 0
		.amdhsa_system_sgpr_workgroup_id_x 1
		.amdhsa_system_sgpr_workgroup_id_y 0
		.amdhsa_system_sgpr_workgroup_id_z 0
		.amdhsa_system_sgpr_workgroup_info 0
		.amdhsa_system_vgpr_workitem_id 0
		.amdhsa_next_free_vgpr 105
		.amdhsa_next_free_sgpr 14
		.amdhsa_reserve_vcc 1
		.amdhsa_float_round_mode_32 0
		.amdhsa_float_round_mode_16_64 0
		.amdhsa_float_denorm_mode_32 3
		.amdhsa_float_denorm_mode_16_64 3
		.amdhsa_fp16_overflow 0
		.amdhsa_workgroup_processor_mode 1
		.amdhsa_memory_ordered 1
		.amdhsa_forward_progress 1
		.amdhsa_inst_pref_size 45
		.amdhsa_round_robin_scheduling 0
		.amdhsa_exception_fp_ieee_invalid_op 0
		.amdhsa_exception_fp_denorm_src 0
		.amdhsa_exception_fp_ieee_div_zero 0
		.amdhsa_exception_fp_ieee_overflow 0
		.amdhsa_exception_fp_ieee_underflow 0
		.amdhsa_exception_fp_ieee_inexact 0
		.amdhsa_exception_int_div_zero 0
	.end_amdhsa_kernel
	.section	.text._ZN9rocsparseL18bsrxmvn_4x4_kernelILj128ELj8EdiifddEEvT3_20rocsparse_direction_NS_24const_host_device_scalarIT1_EES1_PKS1_PKT2_SA_S7_PKT4_PKT5_S5_PT6_21rocsparse_index_base_b,"axG",@progbits,_ZN9rocsparseL18bsrxmvn_4x4_kernelILj128ELj8EdiifddEEvT3_20rocsparse_direction_NS_24const_host_device_scalarIT1_EES1_PKS1_PKT2_SA_S7_PKT4_PKT5_S5_PT6_21rocsparse_index_base_b,comdat
.Lfunc_end151:
	.size	_ZN9rocsparseL18bsrxmvn_4x4_kernelILj128ELj8EdiifddEEvT3_20rocsparse_direction_NS_24const_host_device_scalarIT1_EES1_PKS1_PKT2_SA_S7_PKT4_PKT5_S5_PT6_21rocsparse_index_base_b, .Lfunc_end151-_ZN9rocsparseL18bsrxmvn_4x4_kernelILj128ELj8EdiifddEEvT3_20rocsparse_direction_NS_24const_host_device_scalarIT1_EES1_PKS1_PKT2_SA_S7_PKT4_PKT5_S5_PT6_21rocsparse_index_base_b
                                        ; -- End function
	.set _ZN9rocsparseL18bsrxmvn_4x4_kernelILj128ELj8EdiifddEEvT3_20rocsparse_direction_NS_24const_host_device_scalarIT1_EES1_PKS1_PKT2_SA_S7_PKT4_PKT5_S5_PT6_21rocsparse_index_base_b.num_vgpr, 105
	.set _ZN9rocsparseL18bsrxmvn_4x4_kernelILj128ELj8EdiifddEEvT3_20rocsparse_direction_NS_24const_host_device_scalarIT1_EES1_PKS1_PKT2_SA_S7_PKT4_PKT5_S5_PT6_21rocsparse_index_base_b.num_agpr, 0
	.set _ZN9rocsparseL18bsrxmvn_4x4_kernelILj128ELj8EdiifddEEvT3_20rocsparse_direction_NS_24const_host_device_scalarIT1_EES1_PKS1_PKT2_SA_S7_PKT4_PKT5_S5_PT6_21rocsparse_index_base_b.numbered_sgpr, 14
	.set _ZN9rocsparseL18bsrxmvn_4x4_kernelILj128ELj8EdiifddEEvT3_20rocsparse_direction_NS_24const_host_device_scalarIT1_EES1_PKS1_PKT2_SA_S7_PKT4_PKT5_S5_PT6_21rocsparse_index_base_b.num_named_barrier, 0
	.set _ZN9rocsparseL18bsrxmvn_4x4_kernelILj128ELj8EdiifddEEvT3_20rocsparse_direction_NS_24const_host_device_scalarIT1_EES1_PKS1_PKT2_SA_S7_PKT4_PKT5_S5_PT6_21rocsparse_index_base_b.private_seg_size, 0
	.set _ZN9rocsparseL18bsrxmvn_4x4_kernelILj128ELj8EdiifddEEvT3_20rocsparse_direction_NS_24const_host_device_scalarIT1_EES1_PKS1_PKT2_SA_S7_PKT4_PKT5_S5_PT6_21rocsparse_index_base_b.uses_vcc, 1
	.set _ZN9rocsparseL18bsrxmvn_4x4_kernelILj128ELj8EdiifddEEvT3_20rocsparse_direction_NS_24const_host_device_scalarIT1_EES1_PKS1_PKT2_SA_S7_PKT4_PKT5_S5_PT6_21rocsparse_index_base_b.uses_flat_scratch, 0
	.set _ZN9rocsparseL18bsrxmvn_4x4_kernelILj128ELj8EdiifddEEvT3_20rocsparse_direction_NS_24const_host_device_scalarIT1_EES1_PKS1_PKT2_SA_S7_PKT4_PKT5_S5_PT6_21rocsparse_index_base_b.has_dyn_sized_stack, 0
	.set _ZN9rocsparseL18bsrxmvn_4x4_kernelILj128ELj8EdiifddEEvT3_20rocsparse_direction_NS_24const_host_device_scalarIT1_EES1_PKS1_PKT2_SA_S7_PKT4_PKT5_S5_PT6_21rocsparse_index_base_b.has_recursion, 0
	.set _ZN9rocsparseL18bsrxmvn_4x4_kernelILj128ELj8EdiifddEEvT3_20rocsparse_direction_NS_24const_host_device_scalarIT1_EES1_PKS1_PKT2_SA_S7_PKT4_PKT5_S5_PT6_21rocsparse_index_base_b.has_indirect_call, 0
	.section	.AMDGPU.csdata,"",@progbits
; Kernel info:
; codeLenInByte = 5676
; TotalNumSgprs: 16
; NumVgprs: 105
; ScratchSize: 0
; MemoryBound: 0
; FloatMode: 240
; IeeeMode: 1
; LDSByteSize: 0 bytes/workgroup (compile time only)
; SGPRBlocks: 0
; VGPRBlocks: 13
; NumSGPRsForWavesPerEU: 16
; NumVGPRsForWavesPerEU: 105
; Occupancy: 12
; WaveLimiterHint : 1
; COMPUTE_PGM_RSRC2:SCRATCH_EN: 0
; COMPUTE_PGM_RSRC2:USER_SGPR: 2
; COMPUTE_PGM_RSRC2:TRAP_HANDLER: 0
; COMPUTE_PGM_RSRC2:TGID_X_EN: 1
; COMPUTE_PGM_RSRC2:TGID_Y_EN: 0
; COMPUTE_PGM_RSRC2:TGID_Z_EN: 0
; COMPUTE_PGM_RSRC2:TIDIG_COMP_CNT: 0
	.section	.text._ZN9rocsparseL18bsrxmvn_4x4_kernelILj128ELj16EdiifddEEvT3_20rocsparse_direction_NS_24const_host_device_scalarIT1_EES1_PKS1_PKT2_SA_S7_PKT4_PKT5_S5_PT6_21rocsparse_index_base_b,"axG",@progbits,_ZN9rocsparseL18bsrxmvn_4x4_kernelILj128ELj16EdiifddEEvT3_20rocsparse_direction_NS_24const_host_device_scalarIT1_EES1_PKS1_PKT2_SA_S7_PKT4_PKT5_S5_PT6_21rocsparse_index_base_b,comdat
	.globl	_ZN9rocsparseL18bsrxmvn_4x4_kernelILj128ELj16EdiifddEEvT3_20rocsparse_direction_NS_24const_host_device_scalarIT1_EES1_PKS1_PKT2_SA_S7_PKT4_PKT5_S5_PT6_21rocsparse_index_base_b ; -- Begin function _ZN9rocsparseL18bsrxmvn_4x4_kernelILj128ELj16EdiifddEEvT3_20rocsparse_direction_NS_24const_host_device_scalarIT1_EES1_PKS1_PKT2_SA_S7_PKT4_PKT5_S5_PT6_21rocsparse_index_base_b
	.p2align	8
	.type	_ZN9rocsparseL18bsrxmvn_4x4_kernelILj128ELj16EdiifddEEvT3_20rocsparse_direction_NS_24const_host_device_scalarIT1_EES1_PKS1_PKT2_SA_S7_PKT4_PKT5_S5_PT6_21rocsparse_index_base_b,@function
_ZN9rocsparseL18bsrxmvn_4x4_kernelILj128ELj16EdiifddEEvT3_20rocsparse_direction_NS_24const_host_device_scalarIT1_EES1_PKS1_PKT2_SA_S7_PKT4_PKT5_S5_PT6_21rocsparse_index_base_b: ; @_ZN9rocsparseL18bsrxmvn_4x4_kernelILj128ELj16EdiifddEEvT3_20rocsparse_direction_NS_24const_host_device_scalarIT1_EES1_PKS1_PKT2_SA_S7_PKT4_PKT5_S5_PT6_21rocsparse_index_base_b
; %bb.0:
	s_clause 0x2
	s_load_b64 s[12:13], s[0:1], 0x58
	s_load_b64 s[4:5], s[0:1], 0x8
	;; [unrolled: 1-line block ×3, first 2 shown]
	s_wait_kmcnt 0x0
	s_bitcmp1_b32 s13, 0
	v_dual_mov_b32 v2, s4 :: v_dual_mov_b32 v3, s5
	s_cselect_b32 s6, -1, 0
	s_delay_alu instid0(SALU_CYCLE_1)
	s_and_b32 vcc_lo, exec_lo, s6
	s_xor_b32 s6, s6, -1
	s_cbranch_vccnz .LBB152_2
; %bb.1:
	v_dual_mov_b32 v1, s4 :: v_dual_mov_b32 v2, s5
	flat_load_b64 v[2:3], v[1:2]
.LBB152_2:
	v_dual_mov_b32 v9, s3 :: v_dual_mov_b32 v8, s2
	s_and_not1_b32 vcc_lo, exec_lo, s6
	s_cbranch_vccnz .LBB152_4
; %bb.3:
	v_dual_mov_b32 v5, s3 :: v_dual_mov_b32 v4, s2
	flat_load_b64 v[8:9], v[4:5]
.LBB152_4:
	s_wait_loadcnt_dscnt 0x0
	v_cmp_neq_f64_e32 vcc_lo, 0, v[2:3]
	v_cmp_neq_f64_e64 s2, 1.0, v[8:9]
	s_or_b32 s2, vcc_lo, s2
	s_wait_alu 0xfffe
	s_and_saveexec_b32 s3, s2
	s_cbranch_execz .LBB152_10
; %bb.5:
	s_clause 0x1
	s_load_b64 s[4:5], s[0:1], 0x18
	s_load_b64 s[2:3], s[0:1], 0x0
	v_lshrrev_b32_e32 v1, 4, v0
	s_delay_alu instid0(VALU_DEP_1)
	v_lshl_or_b32 v10, ttmp9, 3, v1
	s_wait_kmcnt 0x0
	s_cmp_lg_u64 s[4:5], 0
	s_cbranch_scc0 .LBB152_11
; %bb.6:
	s_load_b32 s6, s[0:1], 0x10
	s_mov_b32 s7, 0
                                        ; implicit-def: $vgpr1
	s_wait_kmcnt 0x0
	v_cmp_gt_i32_e32 vcc_lo, s6, v10
	s_mov_b32 s6, 0
	s_and_saveexec_b32 s8, vcc_lo
	s_delay_alu instid0(SALU_CYCLE_1)
	s_xor_b32 s8, exec_lo, s8
	s_cbranch_execz .LBB152_8
; %bb.7:
	v_ashrrev_i32_e32 v11, 31, v10
	s_mov_b32 s6, exec_lo
	s_delay_alu instid0(VALU_DEP_1) | instskip(NEXT) | instid1(VALU_DEP_1)
	v_lshlrev_b64_e32 v[4:5], 2, v[10:11]
	v_add_co_u32 v4, vcc_lo, s4, v4
	s_delay_alu instid0(VALU_DEP_1)
	v_add_co_ci_u32_e64 v5, null, s5, v5, vcc_lo
	global_load_b32 v1, v[4:5], off
	s_wait_loadcnt 0x0
	v_subrev_nc_u32_e32 v1, s12, v1
.LBB152_8:
	s_or_b32 exec_lo, exec_lo, s8
	s_delay_alu instid0(SALU_CYCLE_1)
	s_and_b32 vcc_lo, exec_lo, s7
	s_wait_alu 0xfffe
	s_cbranch_vccz .LBB152_12
.LBB152_9:
	v_cmp_gt_i32_e32 vcc_lo, s2, v10
	s_and_not1_b32 s2, s6, exec_lo
	s_and_b32 s4, vcc_lo, exec_lo
	s_wait_alu 0xfffe
	s_or_b32 s6, s2, s4
	s_wait_alu 0xfffe
	s_and_b32 exec_lo, exec_lo, s6
	s_cbranch_execnz .LBB152_13
.LBB152_10:
	s_nop 0
	s_sendmsg sendmsg(MSG_DEALLOC_VGPRS)
	s_endpgm
.LBB152_11:
	s_mov_b32 s6, 0
                                        ; implicit-def: $vgpr1
	s_cbranch_execnz .LBB152_9
.LBB152_12:
	v_mov_b32_e32 v10, v1
	s_and_b32 exec_lo, exec_lo, s6
	s_cbranch_execz .LBB152_10
.LBB152_13:
	s_load_b256 s[4:11], s[0:1], 0x20
	s_delay_alu instid0(VALU_DEP_1) | instskip(SKIP_1) | instid1(VALU_DEP_2)
	v_ashrrev_i32_e32 v11, 31, v10
	v_and_b32_e32 v21, 15, v0
	v_lshlrev_b64_e32 v[4:5], 2, v[10:11]
	s_wait_kmcnt 0x0
	s_delay_alu instid0(VALU_DEP_1) | instskip(SKIP_1) | instid1(VALU_DEP_2)
	v_add_co_u32 v6, vcc_lo, s4, v4
	s_wait_alu 0xfffd
	v_add_co_ci_u32_e64 v7, null, s5, v5, vcc_lo
	v_add_co_u32 v1, vcc_lo, s6, v4
	s_wait_alu 0xfffd
	v_add_co_ci_u32_e64 v4, null, s7, v5, vcc_lo
	global_load_b32 v23, v[6:7], off
	v_add_co_u32 v6, vcc_lo, v6, 4
	s_wait_alu 0xfffd
	v_add_co_ci_u32_e64 v5, null, 0, v7, vcc_lo
	s_cmp_eq_u64 s[6:7], 0
	s_load_b64 s[4:5], s[0:1], 0x40
	s_cselect_b32 vcc_lo, -1, 0
	s_cmp_eq_u32 s3, 1
	s_wait_alu 0xfffe
	v_dual_cndmask_b32 v5, v4, v5 :: v_dual_cndmask_b32 v4, v1, v6
	global_load_b32 v6, v[4:5], off
	s_wait_loadcnt 0x1
	v_subrev_nc_u32_e32 v0, s12, v23
	s_delay_alu instid0(VALU_DEP_1) | instskip(NEXT) | instid1(VALU_DEP_1)
	v_add_nc_u32_e32 v0, v0, v21
	v_ashrrev_i32_e32 v1, 31, v0
	s_wait_loadcnt 0x0
	v_subrev_nc_u32_e32 v22, s12, v6
	s_delay_alu instid0(VALU_DEP_2) | instskip(NEXT) | instid1(VALU_DEP_2)
	v_lshlrev_b64_e32 v[4:5], 6, v[0:1]
	v_cmp_lt_i32_e64 s2, v0, v22
	s_delay_alu instid0(VALU_DEP_2) | instskip(SKIP_1) | instid1(VALU_DEP_3)
	v_add_co_u32 v4, vcc_lo, s10, v4
	s_wait_alu 0xfffd
	v_add_co_ci_u32_e64 v5, null, s11, v5, vcc_lo
	s_cbranch_scc1 .LBB152_25
; %bb.14:
	v_dual_mov_b32 v15, 0 :: v_dual_mov_b32 v6, 0
	v_dual_mov_b32 v11, 0 :: v_dual_mov_b32 v16, 0
	v_mov_b32_e32 v13, 0
	v_dual_mov_b32 v7, 0 :: v_dual_mov_b32 v12, 0
	v_mov_b32_e32 v14, 0
	s_and_saveexec_b32 s6, s2
	s_cbranch_execz .LBB152_24
; %bb.15:
	v_add_nc_u32_e32 v1, v23, v21
	v_mov_b32_e32 v13, 0
	v_dual_mov_b32 v14, 0 :: v_dual_mov_b32 v15, 0
	v_not_b32_e32 v6, v23
	s_delay_alu instid0(VALU_DEP_4) | instskip(SKIP_2) | instid1(VALU_DEP_3)
	v_subrev_nc_u32_e32 v1, s12, v1
	v_mov_b32_e32 v11, 0
	v_dual_mov_b32 v12, 0 :: v_dual_mov_b32 v19, v0
	v_dual_mov_b32 v16, 0 :: v_dual_add_nc_u32 v1, 16, v1
	s_delay_alu instid0(VALU_DEP_1) | instskip(NEXT) | instid1(VALU_DEP_1)
	v_max_i32_e32 v1, v1, v22
	v_add3_u32 v1, s12, v1, v6
	v_mov_b32_e32 v6, 0
	v_mov_b32_e32 v7, 0
	s_delay_alu instid0(VALU_DEP_3) | instskip(NEXT) | instid1(VALU_DEP_1)
	v_sub_nc_u32_e32 v1, v1, v21
	v_and_b32_e32 v17, 48, v1
	s_delay_alu instid0(VALU_DEP_1)
	v_cmp_ne_u32_e32 vcc_lo, 48, v17
	v_dual_mov_b32 v18, v5 :: v_dual_mov_b32 v17, v4
	s_and_saveexec_b32 s3, vcc_lo
	s_cbranch_execz .LBB152_19
; %bb.16:
	v_lshrrev_b32_e32 v6, 4, v1
	v_mov_b32_e32 v15, 0
	v_mov_b32_e32 v13, 0
	s_mov_b32 s7, 0
	s_delay_alu instid0(VALU_DEP_3) | instskip(SKIP_3) | instid1(VALU_DEP_4)
	v_dual_mov_b32 v18, v5 :: v_dual_add_nc_u32 v11, 1, v6
	v_mov_b32_e32 v6, 0
	v_mov_b32_e32 v7, 0
	v_dual_mov_b32 v17, v4 :: v_dual_mov_b32 v16, 0
	v_and_b32_e32 v19, 3, v11
	v_dual_mov_b32 v11, 0 :: v_dual_mov_b32 v14, 0
	v_mov_b32_e32 v12, 0
	s_delay_alu instid0(VALU_DEP_3)
	v_sub_nc_u32_e32 v24, 0, v19
	v_mov_b32_e32 v19, v0
.LBB152_17:                             ; =>This Inner Loop Header: Depth=1
	s_delay_alu instid0(VALU_DEP_1) | instskip(NEXT) | instid1(VALU_DEP_3)
	v_ashrrev_i32_e32 v20, 31, v19
	v_add_co_u32 v24, s10, v24, 1
	s_wait_alu 0xfffe
	s_or_b32 s7, s10, s7
	s_delay_alu instid0(VALU_DEP_2) | instskip(SKIP_1) | instid1(VALU_DEP_2)
	v_lshlrev_b64_e32 v[25:26], 2, v[19:20]
	v_add_nc_u32_e32 v19, 16, v19
	v_add_co_u32 v25, vcc_lo, s8, v25
	s_wait_alu 0xfffd
	s_delay_alu instid0(VALU_DEP_3)
	v_add_co_ci_u32_e64 v26, null, s9, v26, vcc_lo
	global_load_b32 v20, v[25:26], off
	s_clause 0x3
	global_load_b128 v[25:28], v[17:18], off
	global_load_b128 v[29:32], v[17:18], off offset:16
	global_load_b128 v[33:36], v[17:18], off offset:32
	;; [unrolled: 1-line block ×3, first 2 shown]
	s_wait_loadcnt 0x4
	v_subrev_nc_u32_e32 v20, s12, v20
	s_wait_loadcnt 0x3
	v_cvt_f64_f32_e32 v[49:50], v25
	s_wait_loadcnt 0x2
	v_cvt_f64_f32_e32 v[51:52], v29
	;; [unrolled: 2-line block ×4, first 2 shown]
	v_lshlrev_b32_e32 v41, 2, v20
	v_cvt_f64_f32_e32 v[25:26], v26
	v_cvt_f64_f32_e32 v[29:30], v30
	;; [unrolled: 1-line block ×4, first 2 shown]
	v_ashrrev_i32_e32 v42, 31, v41
	s_delay_alu instid0(VALU_DEP_1) | instskip(SKIP_1) | instid1(VALU_DEP_1)
	v_lshlrev_b64_e32 v[41:42], 3, v[41:42]
	s_wait_kmcnt 0x0
	v_add_co_u32 v45, vcc_lo, s4, v41
	s_wait_alu 0xfffd
	s_delay_alu instid0(VALU_DEP_2)
	v_add_co_ci_u32_e64 v46, null, s5, v42, vcc_lo
	v_add_co_u32 v17, vcc_lo, 0x400, v17
	s_wait_alu 0xfffd
	v_add_co_ci_u32_e64 v18, null, 0, v18, vcc_lo
	s_clause 0x1
	global_load_b128 v[41:44], v[45:46], off
	global_load_b128 v[45:48], v[45:46], off offset:16
	s_wait_loadcnt 0x1
	v_fma_f64 v[13:14], v[49:50], v[41:42], v[13:14]
	v_fma_f64 v[15:16], v[51:52], v[41:42], v[15:16]
	v_fma_f64 v[11:12], v[53:54], v[41:42], v[11:12]
	v_fma_f64 v[6:7], v[55:56], v[41:42], v[6:7]
	v_cvt_f64_f32_e32 v[41:42], v27
	v_cvt_f64_f32_e32 v[49:50], v31
	;; [unrolled: 1-line block ×4, first 2 shown]
	v_fma_f64 v[13:14], v[25:26], v[43:44], v[13:14]
	v_fma_f64 v[15:16], v[29:30], v[43:44], v[15:16]
	v_fma_f64 v[11:12], v[33:34], v[43:44], v[11:12]
	v_fma_f64 v[6:7], v[37:38], v[43:44], v[6:7]
	v_cvt_f64_f32_e32 v[25:26], v28
	v_cvt_f64_f32_e32 v[27:28], v32
	;; [unrolled: 1-line block ×4, first 2 shown]
	s_wait_loadcnt 0x0
	v_fma_f64 v[13:14], v[41:42], v[45:46], v[13:14]
	v_fma_f64 v[15:16], v[49:50], v[45:46], v[15:16]
	;; [unrolled: 1-line block ×4, first 2 shown]
	s_delay_alu instid0(VALU_DEP_4) | instskip(NEXT) | instid1(VALU_DEP_4)
	v_fma_f64 v[13:14], v[25:26], v[47:48], v[13:14]
	v_fma_f64 v[15:16], v[27:28], v[47:48], v[15:16]
	s_delay_alu instid0(VALU_DEP_4) | instskip(NEXT) | instid1(VALU_DEP_4)
	v_fma_f64 v[11:12], v[29:30], v[47:48], v[11:12]
	v_fma_f64 v[6:7], v[31:32], v[47:48], v[6:7]
	s_wait_alu 0xfffe
	s_and_not1_b32 exec_lo, exec_lo, s7
	s_cbranch_execnz .LBB152_17
; %bb.18:
	s_or_b32 exec_lo, exec_lo, s7
.LBB152_19:
	s_wait_alu 0xfffe
	s_or_b32 exec_lo, exec_lo, s3
	s_delay_alu instid0(SALU_CYCLE_1)
	s_mov_b32 s7, exec_lo
	v_cmpx_lt_u32_e32 47, v1
	s_cbranch_execz .LBB152_23
; %bb.20:
	s_mov_b32 s10, 0
.LBB152_21:                             ; =>This Inner Loop Header: Depth=1
	v_ashrrev_i32_e32 v20, 31, v19
	s_delay_alu instid0(VALU_DEP_1) | instskip(SKIP_1) | instid1(VALU_DEP_2)
	v_lshlrev_b64_e32 v[24:25], 2, v[19:20]
	v_add_nc_u32_e32 v19, 64, v19
	v_add_co_u32 v40, vcc_lo, s8, v24
	s_wait_alu 0xfffd
	s_delay_alu instid0(VALU_DEP_3)
	v_add_co_ci_u32_e64 v41, null, s9, v25, vcc_lo
	s_clause 0x1
	global_load_b32 v1, v[40:41], off
	global_load_b32 v20, v[40:41], off offset:64
	s_clause 0x3
	global_load_b128 v[24:27], v[17:18], off
	global_load_b128 v[28:31], v[17:18], off offset:16
	global_load_b128 v[32:35], v[17:18], off offset:32
	;; [unrolled: 1-line block ×3, first 2 shown]
	s_clause 0x1
	global_load_b32 v90, v[40:41], off offset:128
	global_load_b32 v104, v[40:41], off offset:192
	s_wait_loadcnt 0x7
	v_subrev_nc_u32_e32 v1, s12, v1
	s_wait_loadcnt 0x5
	v_cvt_f64_f32_e32 v[88:89], v24
	s_wait_loadcnt 0x4
	v_cvt_f64_f32_e32 v[92:93], v28
	s_wait_loadcnt 0x3
	v_cvt_f64_f32_e32 v[94:95], v32
	v_lshlrev_b32_e32 v40, 2, v1
	v_subrev_nc_u32_e32 v1, s12, v20
	s_wait_loadcnt 0x2
	v_cvt_f64_f32_e32 v[96:97], v36
	v_cvt_f64_f32_e32 v[24:25], v25
	;; [unrolled: 1-line block ×3, first 2 shown]
	v_ashrrev_i32_e32 v41, 31, v40
	v_lshlrev_b32_e32 v64, 2, v1
	s_wait_loadcnt 0x1
	v_subrev_nc_u32_e32 v1, s12, v90
	v_cvt_f64_f32_e32 v[32:33], v33
	v_cvt_f64_f32_e32 v[36:37], v37
	v_lshlrev_b64_e32 v[40:41], 3, v[40:41]
	v_ashrrev_i32_e32 v65, 31, v64
	v_lshlrev_b32_e32 v90, 2, v1
	v_cvt_f64_f32_e32 v[100:101], v39
	s_wait_loadcnt 0x0
	v_subrev_nc_u32_e32 v1, s12, v104
	v_lshlrev_b64_e32 v[64:65], 3, v[64:65]
	s_wait_kmcnt 0x0
	v_add_co_u32 v44, vcc_lo, s4, v40
	s_wait_alu 0xfffd
	v_add_co_ci_u32_e64 v45, null, s5, v41, vcc_lo
	v_ashrrev_i32_e32 v91, 31, v90
	v_add_co_u32 v68, vcc_lo, s4, v64
	s_clause 0x1
	global_load_b128 v[40:43], v[44:45], off
	global_load_b128 v[44:47], v[44:45], off offset:16
	s_clause 0x3
	global_load_b128 v[48:51], v[17:18], off offset:1024
	global_load_b128 v[52:55], v[17:18], off offset:1040
	;; [unrolled: 1-line block ×4, first 2 shown]
	s_wait_alu 0xfffd
	v_add_co_ci_u32_e64 v69, null, s5, v65, vcc_lo
	v_lshlrev_b64_e32 v[90:91], 3, v[90:91]
	s_clause 0x1
	global_load_b128 v[64:67], v[68:69], off
	global_load_b128 v[68:71], v[68:69], off offset:16
	s_clause 0x3
	global_load_b128 v[72:75], v[17:18], off offset:2064
	global_load_b128 v[76:79], v[17:18], off offset:2048
	global_load_b128 v[80:83], v[17:18], off offset:2096
	global_load_b128 v[84:87], v[17:18], off offset:2080
	v_add_co_u32 v98, vcc_lo, s4, v90
	s_wait_alu 0xfffd
	v_add_co_ci_u32_e64 v99, null, s5, v91, vcc_lo
	s_wait_loadcnt 0xb
	v_fma_f64 v[13:14], v[88:89], v[40:41], v[13:14]
	global_load_b128 v[88:91], v[98:99], off
	v_fma_f64 v[15:16], v[92:93], v[40:41], v[15:16]
	v_fma_f64 v[11:12], v[94:95], v[40:41], v[11:12]
	;; [unrolled: 1-line block ×3, first 2 shown]
	v_cvt_f64_f32_e32 v[40:41], v26
	v_cvt_f64_f32_e32 v[92:93], v34
	;; [unrolled: 1-line block ×4, first 2 shown]
	s_wait_loadcnt 0x9
	v_cvt_f64_f32_e32 v[102:103], v52
	v_cvt_f64_f32_e32 v[52:53], v53
	v_fma_f64 v[24:25], v[24:25], v[42:43], v[13:14]
	v_fma_f64 v[15:16], v[28:29], v[42:43], v[15:16]
	v_cvt_f64_f32_e32 v[28:29], v30
	v_fma_f64 v[32:33], v[32:33], v[42:43], v[11:12]
	v_fma_f64 v[6:7], v[36:37], v[42:43], v[6:7]
	v_cvt_f64_f32_e32 v[36:37], v38
	global_load_b128 v[11:14], v[98:99], off offset:16
	v_cvt_f64_f32_e32 v[42:43], v27
	v_fma_f64 v[40:41], v[40:41], v[44:45], v[24:25]
	v_fma_f64 v[15:16], v[28:29], v[44:45], v[15:16]
	;; [unrolled: 1-line block ×4, first 2 shown]
	s_clause 0x3
	global_load_b128 v[24:27], v[17:18], off offset:3072
	global_load_b128 v[28:31], v[17:18], off offset:3088
	;; [unrolled: 1-line block ×4, first 2 shown]
	v_cvt_f64_f32_e32 v[44:45], v48
	v_cvt_f64_f32_e32 v[48:49], v49
	v_add_co_u32 v17, s3, 0x1000, v17
	s_wait_alu 0xf1ff
	v_add_co_ci_u32_e64 v18, null, 0, v18, s3
	v_fma_f64 v[98:99], v[42:43], v[46:47], v[40:41]
	v_lshlrev_b32_e32 v40, 2, v1
	v_fma_f64 v[15:16], v[94:95], v[46:47], v[15:16]
	s_wait_loadcnt 0xd
	v_cvt_f64_f32_e32 v[94:95], v56
	v_fma_f64 v[92:93], v[96:97], v[46:47], v[92:93]
	s_wait_loadcnt 0xc
	v_cvt_f64_f32_e32 v[96:97], v60
	v_fma_f64 v[6:7], v[100:101], v[46:47], v[6:7]
	v_ashrrev_i32_e32 v41, 31, v40
	v_cvt_f64_f32_e32 v[56:57], v57
	v_cvt_f64_f32_e32 v[60:61], v61
	s_delay_alu instid0(VALU_DEP_3) | instskip(NEXT) | instid1(VALU_DEP_1)
	v_lshlrev_b64_e32 v[40:41], 3, v[40:41]
	v_add_co_u32 v46, vcc_lo, s4, v40
	s_wait_alu 0xfffd
	s_delay_alu instid0(VALU_DEP_2)
	v_add_co_ci_u32_e64 v47, null, s5, v41, vcc_lo
	v_cmp_ge_i32_e32 vcc_lo, v19, v22
	global_load_b128 v[40:43], v[46:47], off
	s_wait_alu 0xfffe
	s_or_b32 s10, vcc_lo, s10
	s_wait_loadcnt 0xc
	v_fma_f64 v[44:45], v[44:45], v[64:65], v[98:99]
	v_fma_f64 v[15:16], v[102:103], v[64:65], v[15:16]
	;; [unrolled: 1-line block ×4, first 2 shown]
	v_cvt_f64_f32_e32 v[64:65], v50
	v_cvt_f64_f32_e32 v[50:51], v51
	v_fma_f64 v[48:49], v[48:49], v[66:67], v[44:45]
	global_load_b128 v[44:47], v[46:47], off offset:16
	v_fma_f64 v[15:16], v[52:53], v[66:67], v[15:16]
	v_cvt_f64_f32_e32 v[52:53], v54
	v_fma_f64 v[56:57], v[56:57], v[66:67], v[92:93]
	v_cvt_f64_f32_e32 v[92:93], v58
	;; [unrolled: 2-line block ×3, first 2 shown]
	v_cvt_f64_f32_e32 v[54:55], v55
	v_cvt_f64_f32_e32 v[58:59], v59
	;; [unrolled: 1-line block ×3, first 2 shown]
	s_wait_loadcnt 0x9
	v_cvt_f64_f32_e32 v[66:67], v80
	v_fma_f64 v[48:49], v[64:65], v[68:69], v[48:49]
	s_wait_loadcnt 0x8
	v_cvt_f64_f32_e32 v[64:65], v84
	v_fma_f64 v[15:16], v[52:53], v[68:69], v[15:16]
	v_fma_f64 v[52:53], v[92:93], v[68:69], v[56:57]
	v_cvt_f64_f32_e32 v[56:57], v76
	v_fma_f64 v[6:7], v[60:61], v[68:69], v[6:7]
	v_cvt_f64_f32_e32 v[60:61], v72
	v_fma_f64 v[48:49], v[50:51], v[70:71], v[48:49]
	v_fma_f64 v[15:16], v[54:55], v[70:71], v[15:16]
	v_cvt_f64_f32_e32 v[54:55], v73
	v_fma_f64 v[50:51], v[58:59], v[70:71], v[52:53]
	v_cvt_f64_f32_e32 v[52:53], v77
	;; [unrolled: 2-line block ×3, first 2 shown]
	v_cvt_f64_f32_e32 v[62:63], v81
	s_wait_loadcnt 0x7
	v_fma_f64 v[48:49], v[56:57], v[88:89], v[48:49]
	v_fma_f64 v[15:16], v[60:61], v[88:89], v[15:16]
	;; [unrolled: 1-line block ×4, first 2 shown]
	v_cvt_f64_f32_e32 v[56:57], v78
	v_cvt_f64_f32_e32 v[60:61], v74
	;; [unrolled: 1-line block ×4, first 2 shown]
	v_fma_f64 v[48:49], v[52:53], v[90:91], v[48:49]
	v_fma_f64 v[15:16], v[54:55], v[90:91], v[15:16]
	;; [unrolled: 1-line block ×4, first 2 shown]
	v_cvt_f64_f32_e32 v[52:53], v79
	v_cvt_f64_f32_e32 v[54:55], v75
	;; [unrolled: 1-line block ×4, first 2 shown]
	s_wait_loadcnt 0x6
	v_fma_f64 v[48:49], v[56:57], v[11:12], v[48:49]
	v_fma_f64 v[15:16], v[60:61], v[11:12], v[15:16]
	v_fma_f64 v[50:51], v[64:65], v[11:12], v[50:51]
	v_fma_f64 v[6:7], v[66:67], v[11:12], v[6:7]
	s_wait_loadcnt 0x5
	v_cvt_f64_f32_e32 v[11:12], v24
	s_wait_loadcnt 0x4
	v_cvt_f64_f32_e32 v[56:57], v28
	;; [unrolled: 2-line block ×4, first 2 shown]
	v_fma_f64 v[48:49], v[52:53], v[13:14], v[48:49]
	v_fma_f64 v[15:16], v[54:55], v[13:14], v[15:16]
	v_fma_f64 v[50:51], v[58:59], v[13:14], v[50:51]
	v_fma_f64 v[6:7], v[62:63], v[13:14], v[6:7]
	v_cvt_f64_f32_e32 v[13:14], v25
	v_cvt_f64_f32_e32 v[24:25], v29
	;; [unrolled: 1-line block ×5, first 2 shown]
	s_wait_loadcnt 0x1
	v_fma_f64 v[11:12], v[11:12], v[40:41], v[48:49]
	v_fma_f64 v[15:16], v[56:57], v[40:41], v[15:16]
	;; [unrolled: 1-line block ×4, first 2 shown]
	v_cvt_f64_f32_e32 v[40:41], v26
	v_cvt_f64_f32_e32 v[48:49], v30
	;; [unrolled: 1-line block ×3, first 2 shown]
	v_fma_f64 v[11:12], v[13:14], v[42:43], v[11:12]
	v_fma_f64 v[13:14], v[24:25], v[42:43], v[15:16]
	;; [unrolled: 1-line block ×4, first 2 shown]
	v_cvt_f64_f32_e32 v[24:25], v27
	v_cvt_f64_f32_e32 v[26:27], v31
	;; [unrolled: 1-line block ×4, first 2 shown]
	s_wait_loadcnt 0x0
	v_fma_f64 v[11:12], v[40:41], v[44:45], v[11:12]
	v_fma_f64 v[32:33], v[48:49], v[44:45], v[13:14]
	;; [unrolled: 1-line block ×4, first 2 shown]
	s_delay_alu instid0(VALU_DEP_4) | instskip(NEXT) | instid1(VALU_DEP_4)
	v_fma_f64 v[13:14], v[24:25], v[46:47], v[11:12]
	v_fma_f64 v[15:16], v[26:27], v[46:47], v[32:33]
	s_delay_alu instid0(VALU_DEP_4) | instskip(NEXT) | instid1(VALU_DEP_4)
	v_fma_f64 v[11:12], v[28:29], v[46:47], v[34:35]
	v_fma_f64 v[6:7], v[30:31], v[46:47], v[6:7]
	s_wait_alu 0xfffe
	s_and_not1_b32 exec_lo, exec_lo, s10
	s_cbranch_execnz .LBB152_21
; %bb.22:
	s_or_b32 exec_lo, exec_lo, s10
.LBB152_23:
	s_wait_alu 0xfffe
	s_or_b32 exec_lo, exec_lo, s7
.LBB152_24:
	s_wait_alu 0xfffe
	s_or_b32 exec_lo, exec_lo, s6
	s_cbranch_execz .LBB152_26
	s_branch .LBB152_37
.LBB152_25:
                                        ; implicit-def: $vgpr6_vgpr7
                                        ; implicit-def: $vgpr11_vgpr12
                                        ; implicit-def: $vgpr15_vgpr16
                                        ; implicit-def: $vgpr13_vgpr14
.LBB152_26:
	v_dual_mov_b32 v15, 0 :: v_dual_mov_b32 v6, 0
	v_dual_mov_b32 v11, 0 :: v_dual_mov_b32 v16, 0
	v_mov_b32_e32 v13, 0
	v_dual_mov_b32 v7, 0 :: v_dual_mov_b32 v12, 0
	v_mov_b32_e32 v14, 0
	s_and_saveexec_b32 s3, s2
	s_cbranch_execz .LBB152_36
; %bb.27:
	v_add_nc_u32_e32 v1, v23, v21
	v_mov_b32_e32 v13, 0
	v_dual_mov_b32 v14, 0 :: v_dual_mov_b32 v15, 0
	v_not_b32_e32 v6, v23
	s_delay_alu instid0(VALU_DEP_4) | instskip(SKIP_3) | instid1(VALU_DEP_3)
	v_subrev_nc_u32_e32 v1, s12, v1
	v_mov_b32_e32 v11, 0
	s_mov_b32 s2, exec_lo
	v_mov_b32_e32 v16, 0
	v_dual_mov_b32 v12, 0 :: v_dual_add_nc_u32 v1, 16, v1
	s_delay_alu instid0(VALU_DEP_1) | instskip(NEXT) | instid1(VALU_DEP_1)
	v_max_i32_e32 v1, v1, v22
	v_add3_u32 v1, s12, v1, v6
	v_mov_b32_e32 v6, 0
	v_mov_b32_e32 v7, 0
	s_delay_alu instid0(VALU_DEP_3) | instskip(NEXT) | instid1(VALU_DEP_1)
	v_sub_nc_u32_e32 v17, v1, v21
	v_and_b32_e32 v1, 48, v17
	s_delay_alu instid0(VALU_DEP_1)
	v_cmpx_ne_u32_e32 48, v1
	s_cbranch_execz .LBB152_31
; %bb.28:
	v_lshrrev_b32_e32 v1, 4, v17
	v_mov_b32_e32 v11, 0
	v_mov_b32_e32 v15, 0
	;; [unrolled: 1-line block ×3, first 2 shown]
	s_delay_alu instid0(VALU_DEP_4) | instskip(SKIP_3) | instid1(VALU_DEP_3)
	v_dual_mov_b32 v14, 0 :: v_dual_add_nc_u32 v1, 1, v1
	v_mov_b32_e32 v6, 0
	v_dual_mov_b32 v7, 0 :: v_dual_mov_b32 v16, 0
	s_mov_b32 s6, 0
	v_dual_mov_b32 v12, 0 :: v_dual_and_b32 v1, 3, v1
	s_delay_alu instid0(VALU_DEP_1)
	v_sub_nc_u32_e32 v18, 0, v1
.LBB152_29:                             ; =>This Inner Loop Header: Depth=1
	v_ashrrev_i32_e32 v1, 31, v0
	s_delay_alu instid0(VALU_DEP_2) | instskip(SKIP_2) | instid1(VALU_DEP_2)
	v_add_co_u32 v18, s7, v18, 1
	s_wait_alu 0xfffe
	s_or_b32 s6, s7, s6
	v_lshlrev_b64_e32 v[19:20], 2, v[0:1]
	v_add_nc_u32_e32 v0, 16, v0
	s_delay_alu instid0(VALU_DEP_2) | instskip(SKIP_1) | instid1(VALU_DEP_3)
	v_add_co_u32 v19, vcc_lo, s8, v19
	s_wait_alu 0xfffd
	v_add_co_ci_u32_e64 v20, null, s9, v20, vcc_lo
	global_load_b32 v1, v[19:20], off
	s_clause 0x1
	global_load_b128 v[23:26], v[4:5], off
	global_load_b128 v[27:30], v[4:5], off offset:16
	s_wait_loadcnt 0x2
	v_subrev_nc_u32_e32 v1, s12, v1
	s_wait_loadcnt 0x1
	v_cvt_f64_f32_e32 v[47:48], v25
	v_cvt_f64_f32_e32 v[25:26], v26
	s_wait_loadcnt 0x0
	v_cvt_f64_f32_e32 v[49:50], v27
	v_cvt_f64_f32_e32 v[27:28], v28
	v_lshlrev_b32_e32 v19, 2, v1
	v_cvt_f64_f32_e32 v[51:52], v29
	v_cvt_f64_f32_e32 v[29:30], v30
	s_delay_alu instid0(VALU_DEP_3) | instskip(NEXT) | instid1(VALU_DEP_1)
	v_ashrrev_i32_e32 v20, 31, v19
	v_lshlrev_b64_e32 v[19:20], 3, v[19:20]
	s_wait_kmcnt 0x0
	s_delay_alu instid0(VALU_DEP_1) | instskip(SKIP_1) | instid1(VALU_DEP_2)
	v_add_co_u32 v19, vcc_lo, s4, v19
	s_wait_alu 0xfffd
	v_add_co_ci_u32_e64 v20, null, s5, v20, vcc_lo
	s_clause 0x1
	global_load_b128 v[31:34], v[19:20], off
	global_load_b128 v[35:38], v[19:20], off offset:16
	s_clause 0x1
	global_load_b128 v[39:42], v[4:5], off offset:32
	global_load_b128 v[43:46], v[4:5], off offset:48
	v_cvt_f64_f32_e32 v[19:20], v23
	v_cvt_f64_f32_e32 v[23:24], v24
	v_add_co_u32 v4, vcc_lo, 0x400, v4
	s_wait_alu 0xfffd
	v_add_co_ci_u32_e64 v5, null, 0, v5, vcc_lo
	s_wait_loadcnt 0x3
	s_delay_alu instid0(VALU_DEP_4) | instskip(NEXT) | instid1(VALU_DEP_4)
	v_fma_f64 v[13:14], v[19:20], v[31:32], v[13:14]
	v_fma_f64 v[15:16], v[23:24], v[31:32], v[15:16]
	;; [unrolled: 1-line block ×4, first 2 shown]
	s_wait_loadcnt 0x1
	v_cvt_f64_f32_e32 v[19:20], v39
	v_cvt_f64_f32_e32 v[23:24], v40
	;; [unrolled: 1-line block ×4, first 2 shown]
	s_wait_loadcnt 0x0
	v_cvt_f64_f32_e32 v[39:40], v46
	v_fma_f64 v[13:14], v[49:50], v[33:34], v[13:14]
	v_fma_f64 v[15:16], v[27:28], v[33:34], v[15:16]
	;; [unrolled: 1-line block ×4, first 2 shown]
	v_cvt_f64_f32_e32 v[27:28], v43
	v_cvt_f64_f32_e32 v[29:30], v44
	;; [unrolled: 1-line block ×3, first 2 shown]
	v_fma_f64 v[13:14], v[19:20], v[35:36], v[13:14]
	v_fma_f64 v[15:16], v[23:24], v[35:36], v[15:16]
	;; [unrolled: 1-line block ×4, first 2 shown]
	s_delay_alu instid0(VALU_DEP_4) | instskip(NEXT) | instid1(VALU_DEP_4)
	v_fma_f64 v[13:14], v[27:28], v[37:38], v[13:14]
	v_fma_f64 v[15:16], v[29:30], v[37:38], v[15:16]
	s_delay_alu instid0(VALU_DEP_4) | instskip(NEXT) | instid1(VALU_DEP_4)
	v_fma_f64 v[11:12], v[33:34], v[37:38], v[11:12]
	v_fma_f64 v[6:7], v[39:40], v[37:38], v[6:7]
	s_wait_alu 0xfffe
	s_and_not1_b32 exec_lo, exec_lo, s6
	s_cbranch_execnz .LBB152_29
; %bb.30:
	s_or_b32 exec_lo, exec_lo, s6
.LBB152_31:
	s_wait_alu 0xfffe
	s_or_b32 exec_lo, exec_lo, s2
	s_delay_alu instid0(SALU_CYCLE_1)
	s_mov_b32 s6, exec_lo
	v_cmpx_lt_u32_e32 47, v17
	s_cbranch_execz .LBB152_35
; %bb.32:
	s_mov_b32 s7, 0
.LBB152_33:                             ; =>This Inner Loop Header: Depth=1
	v_ashrrev_i32_e32 v1, 31, v0
	s_delay_alu instid0(VALU_DEP_1) | instskip(SKIP_1) | instid1(VALU_DEP_2)
	v_lshlrev_b64_e32 v[17:18], 2, v[0:1]
	v_add_nc_u32_e32 v0, 64, v0
	v_add_co_u32 v23, vcc_lo, s8, v17
	s_wait_alu 0xfffd
	s_delay_alu instid0(VALU_DEP_3)
	v_add_co_ci_u32_e64 v24, null, s9, v18, vcc_lo
	s_clause 0x2
	global_load_b32 v1, v[23:24], off
	global_load_b32 v47, v[23:24], off offset:64
	global_load_b32 v71, v[23:24], off offset:128
	global_load_b128 v[17:20], v[4:5], off
	global_load_b32 v89, v[23:24], off offset:192
	s_wait_loadcnt 0x4
	v_subrev_nc_u32_e32 v1, s12, v1
	s_wait_loadcnt 0x1
	v_cvt_f64_f32_e32 v[75:76], v17
	v_cvt_f64_f32_e32 v[77:78], v18
	s_delay_alu instid0(VALU_DEP_3) | instskip(SKIP_3) | instid1(VALU_DEP_4)
	v_lshlrev_b32_e32 v23, 2, v1
	v_subrev_nc_u32_e32 v1, s12, v47
	v_cvt_f64_f32_e32 v[79:80], v19
	v_cvt_f64_f32_e32 v[81:82], v20
	v_ashrrev_i32_e32 v24, 31, v23
	s_delay_alu instid0(VALU_DEP_4) | instskip(SKIP_1) | instid1(VALU_DEP_3)
	v_lshlrev_b32_e32 v47, 2, v1
	v_subrev_nc_u32_e32 v1, s12, v71
	v_lshlrev_b64_e32 v[23:24], 3, v[23:24]
	s_delay_alu instid0(VALU_DEP_3) | instskip(NEXT) | instid1(VALU_DEP_3)
	v_ashrrev_i32_e32 v48, 31, v47
	v_lshlrev_b32_e32 v17, 2, v1
	s_wait_loadcnt 0x0
	v_subrev_nc_u32_e32 v1, s12, v89
	s_delay_alu instid0(VALU_DEP_3)
	v_lshlrev_b64_e32 v[47:48], 3, v[47:48]
	s_wait_kmcnt 0x0
	v_add_co_u32 v39, vcc_lo, s4, v23
	s_wait_alu 0xfffd
	v_add_co_ci_u32_e64 v40, null, s5, v24, vcc_lo
	v_ashrrev_i32_e32 v18, 31, v17
	global_load_b128 v[23:26], v[4:5], off offset:16
	global_load_b128 v[27:30], v[39:40], off
	s_clause 0x1
	global_load_b128 v[31:34], v[4:5], off offset:32
	global_load_b128 v[35:38], v[4:5], off offset:48
	global_load_b128 v[39:42], v[39:40], off offset:16
	global_load_b128 v[43:46], v[4:5], off offset:1024
	v_add_co_u32 v63, vcc_lo, s4, v47
	s_wait_alu 0xfffd
	v_add_co_ci_u32_e64 v64, null, s5, v48, vcc_lo
	global_load_b128 v[47:50], v[4:5], off offset:1040
	global_load_b128 v[51:54], v[63:64], off
	s_clause 0x1
	global_load_b128 v[55:58], v[4:5], off offset:1056
	global_load_b128 v[59:62], v[4:5], off offset:1072
	;; [unrolled: 1-line block ×4, first 2 shown]
	v_lshlrev_b64_e32 v[17:18], 3, v[17:18]
	s_delay_alu instid0(VALU_DEP_1) | instskip(SKIP_1) | instid1(VALU_DEP_2)
	v_add_co_u32 v83, vcc_lo, s4, v17
	s_wait_alu 0xfffd
	v_add_co_ci_u32_e64 v84, null, s5, v18, vcc_lo
	global_load_b128 v[17:20], v[4:5], off offset:2064
	global_load_b128 v[71:74], v[83:84], off
	s_wait_loadcnt 0xd
	v_cvt_f64_f32_e32 v[85:86], v23
	v_cvt_f64_f32_e32 v[23:24], v24
	;; [unrolled: 1-line block ×4, first 2 shown]
	s_wait_loadcnt 0xc
	v_fma_f64 v[75:76], v[75:76], v[27:28], v[13:14]
	v_fma_f64 v[15:16], v[77:78], v[27:28], v[15:16]
	;; [unrolled: 1-line block ×4, first 2 shown]
	global_load_b128 v[11:14], v[4:5], off offset:2080
	s_wait_loadcnt 0xc
	v_cvt_f64_f32_e32 v[79:80], v31
	v_cvt_f64_f32_e32 v[31:32], v32
	;; [unrolled: 1-line block ×4, first 2 shown]
	v_fma_f64 v[75:76], v[85:86], v[29:30], v[75:76]
	v_fma_f64 v[15:16], v[23:24], v[29:30], v[15:16]
	;; [unrolled: 1-line block ×4, first 2 shown]
	global_load_b128 v[23:26], v[4:5], off offset:2096
	global_load_b128 v[27:30], v[83:84], off offset:16
	s_wait_loadcnt 0xd
	v_cvt_f64_f32_e32 v[83:84], v35
	v_cvt_f64_f32_e32 v[35:36], v36
	;; [unrolled: 1-line block ×4, first 2 shown]
	s_wait_loadcnt 0xa
	v_cvt_f64_f32_e32 v[87:88], v49
	v_cvt_f64_f32_e32 v[49:50], v50
	v_fma_f64 v[75:76], v[79:80], v[39:40], v[75:76]
	v_fma_f64 v[15:16], v[31:32], v[39:40], v[15:16]
	;; [unrolled: 1-line block ×4, first 2 shown]
	global_load_b128 v[31:34], v[4:5], off offset:3072
	v_cvt_f64_f32_e32 v[79:80], v43
	v_cvt_f64_f32_e32 v[43:44], v44
	;; [unrolled: 1-line block ×4, first 2 shown]
	v_lshlrev_b32_e32 v39, 2, v1
	s_delay_alu instid0(VALU_DEP_1)
	v_ashrrev_i32_e32 v40, 31, v39
	v_fma_f64 v[75:76], v[83:84], v[41:42], v[75:76]
	v_fma_f64 v[15:16], v[35:36], v[41:42], v[15:16]
	;; [unrolled: 1-line block ×4, first 2 shown]
	v_lshlrev_b64_e32 v[35:36], 3, v[39:40]
	v_cvt_f64_f32_e32 v[85:86], v47
	v_cvt_f64_f32_e32 v[47:48], v48
	s_delay_alu instid0(VALU_DEP_3) | instskip(SKIP_1) | instid1(VALU_DEP_4)
	v_add_co_u32 v83, vcc_lo, s4, v35
	s_wait_alu 0xfffd
	v_add_co_ci_u32_e64 v84, null, s5, v36, vcc_lo
	global_load_b128 v[35:38], v[4:5], off offset:3088
	global_load_b128 v[39:42], v[83:84], off
	v_cmp_ge_i32_e32 vcc_lo, v0, v22
	s_wait_alu 0xfffe
	s_or_b32 s7, vcc_lo, s7
	s_wait_loadcnt 0xc
	v_fma_f64 v[75:76], v[79:80], v[51:52], v[75:76]
	v_fma_f64 v[15:16], v[43:44], v[51:52], v[15:16]
	;; [unrolled: 1-line block ×4, first 2 shown]
	global_load_b128 v[43:46], v[4:5], off offset:3104
	s_wait_loadcnt 0xc
	v_cvt_f64_f32_e32 v[79:80], v55
	v_cvt_f64_f32_e32 v[55:56], v56
	;; [unrolled: 1-line block ×4, first 2 shown]
	v_fma_f64 v[75:76], v[85:86], v[53:54], v[75:76]
	v_fma_f64 v[15:16], v[47:48], v[53:54], v[15:16]
	;; [unrolled: 1-line block ×4, first 2 shown]
	global_load_b128 v[47:50], v[4:5], off offset:3120
	global_load_b128 v[51:54], v[83:84], off offset:16
	s_wait_loadcnt 0xd
	v_cvt_f64_f32_e32 v[83:84], v59
	v_cvt_f64_f32_e32 v[59:60], v60
	;; [unrolled: 1-line block ×4, first 2 shown]
	v_add_co_u32 v4, s2, 0x1000, v4
	s_wait_alu 0xf1ff
	v_add_co_ci_u32_e64 v5, null, 0, v5, s2
	s_wait_loadcnt 0xc
	v_fma_f64 v[75:76], v[79:80], v[63:64], v[75:76]
	v_fma_f64 v[15:16], v[55:56], v[63:64], v[15:16]
	v_fma_f64 v[55:56], v[81:82], v[63:64], v[77:78]
	v_fma_f64 v[6:7], v[57:58], v[63:64], v[6:7]
	s_wait_loadcnt 0xb
	v_cvt_f64_f32_e32 v[57:58], v67
	v_cvt_f64_f32_e32 v[63:64], v68
	v_cvt_f64_f32_e32 v[67:68], v69
	v_cvt_f64_f32_e32 v[69:70], v70
	v_fma_f64 v[75:76], v[83:84], v[65:66], v[75:76]
	v_fma_f64 v[15:16], v[59:60], v[65:66], v[15:16]
	v_fma_f64 v[55:56], v[85:86], v[65:66], v[55:56]
	v_fma_f64 v[6:7], v[61:62], v[65:66], v[6:7]
	s_wait_loadcnt 0xa
	v_cvt_f64_f32_e32 v[59:60], v17
	v_cvt_f64_f32_e32 v[17:18], v18
	v_cvt_f64_f32_e32 v[61:62], v19
	v_cvt_f64_f32_e32 v[19:20], v20
	s_wait_loadcnt 0x9
	v_fma_f64 v[57:58], v[57:58], v[71:72], v[75:76]
	v_fma_f64 v[15:16], v[63:64], v[71:72], v[15:16]
	v_fma_f64 v[55:56], v[67:68], v[71:72], v[55:56]
	v_fma_f64 v[6:7], v[69:70], v[71:72], v[6:7]
	s_wait_loadcnt 0x8
	v_cvt_f64_f32_e32 v[63:64], v11
	v_cvt_f64_f32_e32 v[11:12], v12
	v_cvt_f64_f32_e32 v[65:66], v13
	v_cvt_f64_f32_e32 v[13:14], v14
	v_fma_f64 v[57:58], v[59:60], v[73:74], v[57:58]
	v_fma_f64 v[15:16], v[17:18], v[73:74], v[15:16]
	v_fma_f64 v[17:18], v[61:62], v[73:74], v[55:56]
	v_fma_f64 v[6:7], v[19:20], v[73:74], v[6:7]
	s_wait_loadcnt 0x7
	v_cvt_f64_f32_e32 v[19:20], v23
	v_cvt_f64_f32_e32 v[23:24], v24
	v_cvt_f64_f32_e32 v[55:56], v25
	v_cvt_f64_f32_e32 v[25:26], v26
	s_wait_loadcnt 0x6
	v_fma_f64 v[57:58], v[63:64], v[27:28], v[57:58]
	v_fma_f64 v[11:12], v[11:12], v[27:28], v[15:16]
	v_fma_f64 v[15:16], v[65:66], v[27:28], v[17:18]
	v_fma_f64 v[6:7], v[13:14], v[27:28], v[6:7]
	s_wait_loadcnt 0x5
	v_cvt_f64_f32_e32 v[13:14], v31
	v_cvt_f64_f32_e32 v[17:18], v32
	v_cvt_f64_f32_e32 v[27:28], v33
	v_cvt_f64_f32_e32 v[31:32], v34
	v_fma_f64 v[19:20], v[19:20], v[29:30], v[57:58]
	v_fma_f64 v[11:12], v[23:24], v[29:30], v[11:12]
	v_fma_f64 v[15:16], v[55:56], v[29:30], v[15:16]
	v_fma_f64 v[6:7], v[25:26], v[29:30], v[6:7]
	s_wait_loadcnt 0x4
	v_cvt_f64_f32_e32 v[23:24], v35
	v_cvt_f64_f32_e32 v[25:26], v36
	v_cvt_f64_f32_e32 v[29:30], v37
	v_cvt_f64_f32_e32 v[33:34], v38
	s_wait_loadcnt 0x3
	v_fma_f64 v[13:14], v[13:14], v[39:40], v[19:20]
	v_fma_f64 v[11:12], v[17:18], v[39:40], v[11:12]
	v_fma_f64 v[15:16], v[27:28], v[39:40], v[15:16]
	v_fma_f64 v[6:7], v[31:32], v[39:40], v[6:7]
	s_wait_loadcnt 0x2
	v_cvt_f64_f32_e32 v[17:18], v43
	v_cvt_f64_f32_e32 v[19:20], v44
	v_cvt_f64_f32_e32 v[27:28], v45
	v_cvt_f64_f32_e32 v[31:32], v46
	v_fma_f64 v[13:14], v[23:24], v[41:42], v[13:14]
	v_fma_f64 v[11:12], v[25:26], v[41:42], v[11:12]
	v_fma_f64 v[15:16], v[29:30], v[41:42], v[15:16]
	v_fma_f64 v[6:7], v[33:34], v[41:42], v[6:7]
	s_wait_loadcnt 0x1
	v_cvt_f64_f32_e32 v[23:24], v47
	v_cvt_f64_f32_e32 v[25:26], v48
	v_cvt_f64_f32_e32 v[29:30], v49
	v_cvt_f64_f32_e32 v[33:34], v50
	s_wait_loadcnt 0x0
	v_fma_f64 v[13:14], v[17:18], v[51:52], v[13:14]
	v_fma_f64 v[11:12], v[19:20], v[51:52], v[11:12]
	;; [unrolled: 1-line block ×4, first 2 shown]
	s_delay_alu instid0(VALU_DEP_4) | instskip(NEXT) | instid1(VALU_DEP_4)
	v_fma_f64 v[13:14], v[23:24], v[53:54], v[13:14]
	v_fma_f64 v[15:16], v[25:26], v[53:54], v[11:12]
	s_delay_alu instid0(VALU_DEP_4) | instskip(NEXT) | instid1(VALU_DEP_4)
	v_fma_f64 v[11:12], v[29:30], v[53:54], v[17:18]
	v_fma_f64 v[6:7], v[33:34], v[53:54], v[6:7]
	s_wait_alu 0xfffe
	s_and_not1_b32 exec_lo, exec_lo, s7
	s_cbranch_execnz .LBB152_33
; %bb.34:
	s_or_b32 exec_lo, exec_lo, s7
.LBB152_35:
	s_wait_alu 0xfffe
	s_or_b32 exec_lo, exec_lo, s6
.LBB152_36:
	s_wait_alu 0xfffe
	s_or_b32 exec_lo, exec_lo, s3
.LBB152_37:
	v_mbcnt_lo_u32_b32 v24, -1, 0
	s_delay_alu instid0(VALU_DEP_1) | instskip(NEXT) | instid1(VALU_DEP_1)
	v_xor_b32_e32 v0, 8, v24
	v_cmp_gt_i32_e32 vcc_lo, 32, v0
	s_wait_alu 0xfffd
	v_cndmask_b32_e32 v0, v24, v0, vcc_lo
	s_delay_alu instid0(VALU_DEP_1)
	v_lshlrev_b32_e32 v20, 2, v0
	ds_bpermute_b32 v0, v20, v13
	ds_bpermute_b32 v1, v20, v14
	s_wait_dscnt 0x0
	v_add_f64_e32 v[0:1], v[13:14], v[0:1]
	v_xor_b32_e32 v13, 4, v24
	s_delay_alu instid0(VALU_DEP_1)
	v_cmp_gt_i32_e32 vcc_lo, 32, v13
	s_wait_alu 0xfffd
	v_cndmask_b32_e32 v13, v24, v13, vcc_lo
	ds_bpermute_b32 v4, v20, v15
	ds_bpermute_b32 v5, v20, v16
	;; [unrolled: 1-line block ×6, first 2 shown]
	s_wait_dscnt 0x4
	v_add_f64_e32 v[4:5], v[15:16], v[4:5]
	s_wait_dscnt 0x2
	v_add_f64_e32 v[11:12], v[11:12], v[17:18]
	;; [unrolled: 2-line block ×3, first 2 shown]
	v_lshlrev_b32_e32 v20, 2, v13
	ds_bpermute_b32 v13, v20, v0
	ds_bpermute_b32 v14, v20, v1
	s_wait_dscnt 0x0
	v_add_f64_e32 v[0:1], v[0:1], v[13:14]
	ds_bpermute_b32 v15, v20, v4
	ds_bpermute_b32 v16, v20, v5
	;; [unrolled: 1-line block ×6, first 2 shown]
	s_wait_dscnt 0x4
	v_add_f64_e32 v[4:5], v[4:5], v[15:16]
	s_wait_dscnt 0x2
	v_add_f64_e32 v[13:14], v[11:12], v[17:18]
	;; [unrolled: 2-line block ×3, first 2 shown]
	v_xor_b32_e32 v6, 2, v24
	s_delay_alu instid0(VALU_DEP_1) | instskip(SKIP_2) | instid1(VALU_DEP_1)
	v_cmp_gt_i32_e32 vcc_lo, 32, v6
	s_wait_alu 0xfffd
	v_cndmask_b32_e32 v6, v24, v6, vcc_lo
	v_lshlrev_b32_e32 v11, 2, v6
	ds_bpermute_b32 v6, v11, v0
	ds_bpermute_b32 v7, v11, v1
	;; [unrolled: 1-line block ×8, first 2 shown]
	s_wait_dscnt 0x6
	v_add_f64_e32 v[11:12], v[0:1], v[6:7]
	s_wait_dscnt 0x4
	v_add_f64_e32 v[6:7], v[4:5], v[17:18]
	;; [unrolled: 2-line block ×3, first 2 shown]
	v_xor_b32_e32 v13, 1, v24
	s_wait_dscnt 0x0
	v_add_f64_e32 v[4:5], v[15:16], v[22:23]
	s_delay_alu instid0(VALU_DEP_2) | instskip(SKIP_3) | instid1(VALU_DEP_2)
	v_cmp_gt_i32_e32 vcc_lo, 32, v13
	s_wait_alu 0xfffd
	v_cndmask_b32_e32 v13, v24, v13, vcc_lo
	v_cmp_eq_u32_e32 vcc_lo, 15, v21
	v_lshlrev_b32_e32 v14, 2, v13
	ds_bpermute_b32 v19, v14, v11
	ds_bpermute_b32 v20, v14, v12
	;; [unrolled: 1-line block ×8, first 2 shown]
	s_and_b32 exec_lo, exec_lo, vcc_lo
	s_cbranch_execz .LBB152_10
; %bb.38:
	s_wait_dscnt 0x6
	v_add_f64_e32 v[11:12], v[11:12], v[19:20]
	s_wait_dscnt 0x4
	v_add_f64_e32 v[6:7], v[6:7], v[17:18]
	;; [unrolled: 2-line block ×4, first 2 shown]
	s_load_b64 s[0:1], s[0:1], 0x50
	v_lshlrev_b32_e32 v10, 2, v10
	s_mov_b32 s2, exec_lo
	v_mul_f64_e32 v[4:5], v[2:3], v[11:12]
	v_mul_f64_e32 v[6:7], v[2:3], v[6:7]
	;; [unrolled: 1-line block ×4, first 2 shown]
	v_cmpx_eq_f64_e32 0, v[8:9]
	s_wait_alu 0xfffe
	s_xor_b32 s2, exec_lo, s2
	s_cbranch_execz .LBB152_40
; %bb.39:
	v_ashrrev_i32_e32 v11, 31, v10
	s_delay_alu instid0(VALU_DEP_1) | instskip(SKIP_1) | instid1(VALU_DEP_1)
	v_lshlrev_b64_e32 v[8:9], 3, v[10:11]
                                        ; implicit-def: $vgpr10
	s_wait_kmcnt 0x0
	v_add_co_u32 v8, vcc_lo, s0, v8
	s_wait_alu 0xfffd
	s_delay_alu instid0(VALU_DEP_2)
	v_add_co_ci_u32_e64 v9, null, s1, v9, vcc_lo
	s_clause 0x1
	global_store_b128 v[8:9], v[4:7], off
	global_store_b128 v[8:9], v[0:3], off offset:16
                                        ; implicit-def: $vgpr8_vgpr9
                                        ; implicit-def: $vgpr4_vgpr5
                                        ; implicit-def: $vgpr0_vgpr1
.LBB152_40:
	s_wait_alu 0xfffe
	s_and_not1_saveexec_b32 s2, s2
	s_cbranch_execz .LBB152_10
; %bb.41:
	v_ashrrev_i32_e32 v11, 31, v10
	s_delay_alu instid0(VALU_DEP_1) | instskip(SKIP_1) | instid1(VALU_DEP_1)
	v_lshlrev_b64_e32 v[10:11], 3, v[10:11]
	s_wait_kmcnt 0x0
	v_add_co_u32 v18, vcc_lo, s0, v10
	s_wait_alu 0xfffd
	s_delay_alu instid0(VALU_DEP_2)
	v_add_co_ci_u32_e64 v19, null, s1, v11, vcc_lo
	s_clause 0x1
	global_load_b128 v[10:13], v[18:19], off
	global_load_b128 v[14:17], v[18:19], off offset:16
	s_wait_loadcnt 0x1
	v_fma_f64 v[4:5], v[8:9], v[10:11], v[4:5]
	v_fma_f64 v[6:7], v[8:9], v[12:13], v[6:7]
	s_wait_loadcnt 0x0
	v_fma_f64 v[0:1], v[8:9], v[14:15], v[0:1]
	v_fma_f64 v[2:3], v[8:9], v[16:17], v[2:3]
	s_clause 0x1
	global_store_b128 v[18:19], v[4:7], off
	global_store_b128 v[18:19], v[0:3], off offset:16
	s_nop 0
	s_sendmsg sendmsg(MSG_DEALLOC_VGPRS)
	s_endpgm
	.section	.rodata,"a",@progbits
	.p2align	6, 0x0
	.amdhsa_kernel _ZN9rocsparseL18bsrxmvn_4x4_kernelILj128ELj16EdiifddEEvT3_20rocsparse_direction_NS_24const_host_device_scalarIT1_EES1_PKS1_PKT2_SA_S7_PKT4_PKT5_S5_PT6_21rocsparse_index_base_b
		.amdhsa_group_segment_fixed_size 0
		.amdhsa_private_segment_fixed_size 0
		.amdhsa_kernarg_size 96
		.amdhsa_user_sgpr_count 2
		.amdhsa_user_sgpr_dispatch_ptr 0
		.amdhsa_user_sgpr_queue_ptr 0
		.amdhsa_user_sgpr_kernarg_segment_ptr 1
		.amdhsa_user_sgpr_dispatch_id 0
		.amdhsa_user_sgpr_private_segment_size 0
		.amdhsa_wavefront_size32 1
		.amdhsa_uses_dynamic_stack 0
		.amdhsa_enable_private_segment 0
		.amdhsa_system_sgpr_workgroup_id_x 1
		.amdhsa_system_sgpr_workgroup_id_y 0
		.amdhsa_system_sgpr_workgroup_id_z 0
		.amdhsa_system_sgpr_workgroup_info 0
		.amdhsa_system_vgpr_workitem_id 0
		.amdhsa_next_free_vgpr 105
		.amdhsa_next_free_sgpr 14
		.amdhsa_reserve_vcc 1
		.amdhsa_float_round_mode_32 0
		.amdhsa_float_round_mode_16_64 0
		.amdhsa_float_denorm_mode_32 3
		.amdhsa_float_denorm_mode_16_64 3
		.amdhsa_fp16_overflow 0
		.amdhsa_workgroup_processor_mode 1
		.amdhsa_memory_ordered 1
		.amdhsa_forward_progress 1
		.amdhsa_inst_pref_size 46
		.amdhsa_round_robin_scheduling 0
		.amdhsa_exception_fp_ieee_invalid_op 0
		.amdhsa_exception_fp_denorm_src 0
		.amdhsa_exception_fp_ieee_div_zero 0
		.amdhsa_exception_fp_ieee_overflow 0
		.amdhsa_exception_fp_ieee_underflow 0
		.amdhsa_exception_fp_ieee_inexact 0
		.amdhsa_exception_int_div_zero 0
	.end_amdhsa_kernel
	.section	.text._ZN9rocsparseL18bsrxmvn_4x4_kernelILj128ELj16EdiifddEEvT3_20rocsparse_direction_NS_24const_host_device_scalarIT1_EES1_PKS1_PKT2_SA_S7_PKT4_PKT5_S5_PT6_21rocsparse_index_base_b,"axG",@progbits,_ZN9rocsparseL18bsrxmvn_4x4_kernelILj128ELj16EdiifddEEvT3_20rocsparse_direction_NS_24const_host_device_scalarIT1_EES1_PKS1_PKT2_SA_S7_PKT4_PKT5_S5_PT6_21rocsparse_index_base_b,comdat
.Lfunc_end152:
	.size	_ZN9rocsparseL18bsrxmvn_4x4_kernelILj128ELj16EdiifddEEvT3_20rocsparse_direction_NS_24const_host_device_scalarIT1_EES1_PKS1_PKT2_SA_S7_PKT4_PKT5_S5_PT6_21rocsparse_index_base_b, .Lfunc_end152-_ZN9rocsparseL18bsrxmvn_4x4_kernelILj128ELj16EdiifddEEvT3_20rocsparse_direction_NS_24const_host_device_scalarIT1_EES1_PKS1_PKT2_SA_S7_PKT4_PKT5_S5_PT6_21rocsparse_index_base_b
                                        ; -- End function
	.set _ZN9rocsparseL18bsrxmvn_4x4_kernelILj128ELj16EdiifddEEvT3_20rocsparse_direction_NS_24const_host_device_scalarIT1_EES1_PKS1_PKT2_SA_S7_PKT4_PKT5_S5_PT6_21rocsparse_index_base_b.num_vgpr, 105
	.set _ZN9rocsparseL18bsrxmvn_4x4_kernelILj128ELj16EdiifddEEvT3_20rocsparse_direction_NS_24const_host_device_scalarIT1_EES1_PKS1_PKT2_SA_S7_PKT4_PKT5_S5_PT6_21rocsparse_index_base_b.num_agpr, 0
	.set _ZN9rocsparseL18bsrxmvn_4x4_kernelILj128ELj16EdiifddEEvT3_20rocsparse_direction_NS_24const_host_device_scalarIT1_EES1_PKS1_PKT2_SA_S7_PKT4_PKT5_S5_PT6_21rocsparse_index_base_b.numbered_sgpr, 14
	.set _ZN9rocsparseL18bsrxmvn_4x4_kernelILj128ELj16EdiifddEEvT3_20rocsparse_direction_NS_24const_host_device_scalarIT1_EES1_PKS1_PKT2_SA_S7_PKT4_PKT5_S5_PT6_21rocsparse_index_base_b.num_named_barrier, 0
	.set _ZN9rocsparseL18bsrxmvn_4x4_kernelILj128ELj16EdiifddEEvT3_20rocsparse_direction_NS_24const_host_device_scalarIT1_EES1_PKS1_PKT2_SA_S7_PKT4_PKT5_S5_PT6_21rocsparse_index_base_b.private_seg_size, 0
	.set _ZN9rocsparseL18bsrxmvn_4x4_kernelILj128ELj16EdiifddEEvT3_20rocsparse_direction_NS_24const_host_device_scalarIT1_EES1_PKS1_PKT2_SA_S7_PKT4_PKT5_S5_PT6_21rocsparse_index_base_b.uses_vcc, 1
	.set _ZN9rocsparseL18bsrxmvn_4x4_kernelILj128ELj16EdiifddEEvT3_20rocsparse_direction_NS_24const_host_device_scalarIT1_EES1_PKS1_PKT2_SA_S7_PKT4_PKT5_S5_PT6_21rocsparse_index_base_b.uses_flat_scratch, 0
	.set _ZN9rocsparseL18bsrxmvn_4x4_kernelILj128ELj16EdiifddEEvT3_20rocsparse_direction_NS_24const_host_device_scalarIT1_EES1_PKS1_PKT2_SA_S7_PKT4_PKT5_S5_PT6_21rocsparse_index_base_b.has_dyn_sized_stack, 0
	.set _ZN9rocsparseL18bsrxmvn_4x4_kernelILj128ELj16EdiifddEEvT3_20rocsparse_direction_NS_24const_host_device_scalarIT1_EES1_PKS1_PKT2_SA_S7_PKT4_PKT5_S5_PT6_21rocsparse_index_base_b.has_recursion, 0
	.set _ZN9rocsparseL18bsrxmvn_4x4_kernelILj128ELj16EdiifddEEvT3_20rocsparse_direction_NS_24const_host_device_scalarIT1_EES1_PKS1_PKT2_SA_S7_PKT4_PKT5_S5_PT6_21rocsparse_index_base_b.has_indirect_call, 0
	.section	.AMDGPU.csdata,"",@progbits
; Kernel info:
; codeLenInByte = 5796
; TotalNumSgprs: 16
; NumVgprs: 105
; ScratchSize: 0
; MemoryBound: 0
; FloatMode: 240
; IeeeMode: 1
; LDSByteSize: 0 bytes/workgroup (compile time only)
; SGPRBlocks: 0
; VGPRBlocks: 13
; NumSGPRsForWavesPerEU: 16
; NumVGPRsForWavesPerEU: 105
; Occupancy: 12
; WaveLimiterHint : 1
; COMPUTE_PGM_RSRC2:SCRATCH_EN: 0
; COMPUTE_PGM_RSRC2:USER_SGPR: 2
; COMPUTE_PGM_RSRC2:TRAP_HANDLER: 0
; COMPUTE_PGM_RSRC2:TGID_X_EN: 1
; COMPUTE_PGM_RSRC2:TGID_Y_EN: 0
; COMPUTE_PGM_RSRC2:TGID_Z_EN: 0
; COMPUTE_PGM_RSRC2:TIDIG_COMP_CNT: 0
	.section	.text._ZN9rocsparseL18bsrxmvn_4x4_kernelILj128ELj32EdiifddEEvT3_20rocsparse_direction_NS_24const_host_device_scalarIT1_EES1_PKS1_PKT2_SA_S7_PKT4_PKT5_S5_PT6_21rocsparse_index_base_b,"axG",@progbits,_ZN9rocsparseL18bsrxmvn_4x4_kernelILj128ELj32EdiifddEEvT3_20rocsparse_direction_NS_24const_host_device_scalarIT1_EES1_PKS1_PKT2_SA_S7_PKT4_PKT5_S5_PT6_21rocsparse_index_base_b,comdat
	.globl	_ZN9rocsparseL18bsrxmvn_4x4_kernelILj128ELj32EdiifddEEvT3_20rocsparse_direction_NS_24const_host_device_scalarIT1_EES1_PKS1_PKT2_SA_S7_PKT4_PKT5_S5_PT6_21rocsparse_index_base_b ; -- Begin function _ZN9rocsparseL18bsrxmvn_4x4_kernelILj128ELj32EdiifddEEvT3_20rocsparse_direction_NS_24const_host_device_scalarIT1_EES1_PKS1_PKT2_SA_S7_PKT4_PKT5_S5_PT6_21rocsparse_index_base_b
	.p2align	8
	.type	_ZN9rocsparseL18bsrxmvn_4x4_kernelILj128ELj32EdiifddEEvT3_20rocsparse_direction_NS_24const_host_device_scalarIT1_EES1_PKS1_PKT2_SA_S7_PKT4_PKT5_S5_PT6_21rocsparse_index_base_b,@function
_ZN9rocsparseL18bsrxmvn_4x4_kernelILj128ELj32EdiifddEEvT3_20rocsparse_direction_NS_24const_host_device_scalarIT1_EES1_PKS1_PKT2_SA_S7_PKT4_PKT5_S5_PT6_21rocsparse_index_base_b: ; @_ZN9rocsparseL18bsrxmvn_4x4_kernelILj128ELj32EdiifddEEvT3_20rocsparse_direction_NS_24const_host_device_scalarIT1_EES1_PKS1_PKT2_SA_S7_PKT4_PKT5_S5_PT6_21rocsparse_index_base_b
; %bb.0:
	s_clause 0x2
	s_load_b64 s[12:13], s[0:1], 0x58
	s_load_b64 s[4:5], s[0:1], 0x8
	s_load_b64 s[2:3], s[0:1], 0x48
	s_wait_kmcnt 0x0
	s_bitcmp1_b32 s13, 0
	v_dual_mov_b32 v2, s4 :: v_dual_mov_b32 v3, s5
	s_cselect_b32 s6, -1, 0
	s_delay_alu instid0(SALU_CYCLE_1)
	s_and_b32 vcc_lo, exec_lo, s6
	s_xor_b32 s6, s6, -1
	s_cbranch_vccnz .LBB153_2
; %bb.1:
	v_dual_mov_b32 v1, s4 :: v_dual_mov_b32 v2, s5
	flat_load_b64 v[2:3], v[1:2]
.LBB153_2:
	v_dual_mov_b32 v9, s3 :: v_dual_mov_b32 v8, s2
	s_and_not1_b32 vcc_lo, exec_lo, s6
	s_cbranch_vccnz .LBB153_4
; %bb.3:
	v_dual_mov_b32 v5, s3 :: v_dual_mov_b32 v4, s2
	flat_load_b64 v[8:9], v[4:5]
.LBB153_4:
	s_wait_loadcnt_dscnt 0x0
	v_cmp_neq_f64_e32 vcc_lo, 0, v[2:3]
	v_cmp_neq_f64_e64 s2, 1.0, v[8:9]
	s_or_b32 s2, vcc_lo, s2
	s_wait_alu 0xfffe
	s_and_saveexec_b32 s3, s2
	s_cbranch_execz .LBB153_10
; %bb.5:
	s_clause 0x1
	s_load_b64 s[4:5], s[0:1], 0x18
	s_load_b64 s[2:3], s[0:1], 0x0
	v_lshrrev_b32_e32 v1, 5, v0
	s_delay_alu instid0(VALU_DEP_1)
	v_lshl_or_b32 v10, ttmp9, 2, v1
	s_wait_kmcnt 0x0
	s_cmp_lg_u64 s[4:5], 0
	s_cbranch_scc0 .LBB153_11
; %bb.6:
	s_load_b32 s6, s[0:1], 0x10
	s_mov_b32 s7, 0
                                        ; implicit-def: $vgpr1
	s_wait_kmcnt 0x0
	v_cmp_gt_i32_e32 vcc_lo, s6, v10
	s_mov_b32 s6, 0
	s_and_saveexec_b32 s8, vcc_lo
	s_delay_alu instid0(SALU_CYCLE_1)
	s_xor_b32 s8, exec_lo, s8
	s_cbranch_execz .LBB153_8
; %bb.7:
	v_ashrrev_i32_e32 v11, 31, v10
	s_mov_b32 s6, exec_lo
	s_delay_alu instid0(VALU_DEP_1) | instskip(NEXT) | instid1(VALU_DEP_1)
	v_lshlrev_b64_e32 v[4:5], 2, v[10:11]
	v_add_co_u32 v4, vcc_lo, s4, v4
	s_delay_alu instid0(VALU_DEP_1)
	v_add_co_ci_u32_e64 v5, null, s5, v5, vcc_lo
	global_load_b32 v1, v[4:5], off
	s_wait_loadcnt 0x0
	v_subrev_nc_u32_e32 v1, s12, v1
.LBB153_8:
	s_or_b32 exec_lo, exec_lo, s8
	s_delay_alu instid0(SALU_CYCLE_1)
	s_and_b32 vcc_lo, exec_lo, s7
	s_wait_alu 0xfffe
	s_cbranch_vccz .LBB153_12
.LBB153_9:
	v_cmp_gt_i32_e32 vcc_lo, s2, v10
	s_and_not1_b32 s2, s6, exec_lo
	s_and_b32 s4, vcc_lo, exec_lo
	s_wait_alu 0xfffe
	s_or_b32 s6, s2, s4
	s_wait_alu 0xfffe
	s_and_b32 exec_lo, exec_lo, s6
	s_cbranch_execnz .LBB153_13
.LBB153_10:
	s_nop 0
	s_sendmsg sendmsg(MSG_DEALLOC_VGPRS)
	s_endpgm
.LBB153_11:
	s_mov_b32 s6, 0
                                        ; implicit-def: $vgpr1
	s_cbranch_execnz .LBB153_9
.LBB153_12:
	v_mov_b32_e32 v10, v1
	s_and_b32 exec_lo, exec_lo, s6
	s_cbranch_execz .LBB153_10
.LBB153_13:
	s_load_b256 s[4:11], s[0:1], 0x20
	s_delay_alu instid0(VALU_DEP_1) | instskip(SKIP_1) | instid1(VALU_DEP_2)
	v_ashrrev_i32_e32 v11, 31, v10
	v_and_b32_e32 v21, 31, v0
	v_lshlrev_b64_e32 v[4:5], 2, v[10:11]
	s_wait_kmcnt 0x0
	s_delay_alu instid0(VALU_DEP_1) | instskip(SKIP_1) | instid1(VALU_DEP_2)
	v_add_co_u32 v6, vcc_lo, s4, v4
	s_wait_alu 0xfffd
	v_add_co_ci_u32_e64 v7, null, s5, v5, vcc_lo
	v_add_co_u32 v1, vcc_lo, s6, v4
	s_wait_alu 0xfffd
	v_add_co_ci_u32_e64 v4, null, s7, v5, vcc_lo
	global_load_b32 v23, v[6:7], off
	v_add_co_u32 v6, vcc_lo, v6, 4
	s_wait_alu 0xfffd
	v_add_co_ci_u32_e64 v5, null, 0, v7, vcc_lo
	s_cmp_eq_u64 s[6:7], 0
	s_load_b64 s[4:5], s[0:1], 0x40
	s_cselect_b32 vcc_lo, -1, 0
	s_cmp_eq_u32 s3, 1
	s_wait_alu 0xfffe
	v_dual_cndmask_b32 v5, v4, v5 :: v_dual_cndmask_b32 v4, v1, v6
	global_load_b32 v6, v[4:5], off
	s_wait_loadcnt 0x1
	v_subrev_nc_u32_e32 v0, s12, v23
	s_delay_alu instid0(VALU_DEP_1) | instskip(NEXT) | instid1(VALU_DEP_1)
	v_add_nc_u32_e32 v0, v0, v21
	v_ashrrev_i32_e32 v1, 31, v0
	s_wait_loadcnt 0x0
	v_subrev_nc_u32_e32 v22, s12, v6
	s_delay_alu instid0(VALU_DEP_2) | instskip(NEXT) | instid1(VALU_DEP_2)
	v_lshlrev_b64_e32 v[4:5], 6, v[0:1]
	v_cmp_lt_i32_e64 s2, v0, v22
	s_delay_alu instid0(VALU_DEP_2) | instskip(SKIP_1) | instid1(VALU_DEP_3)
	v_add_co_u32 v4, vcc_lo, s10, v4
	s_wait_alu 0xfffd
	v_add_co_ci_u32_e64 v5, null, s11, v5, vcc_lo
	s_cbranch_scc1 .LBB153_25
; %bb.14:
	v_dual_mov_b32 v15, 0 :: v_dual_mov_b32 v6, 0
	v_dual_mov_b32 v11, 0 :: v_dual_mov_b32 v16, 0
	v_mov_b32_e32 v13, 0
	v_dual_mov_b32 v7, 0 :: v_dual_mov_b32 v12, 0
	v_mov_b32_e32 v14, 0
	s_and_saveexec_b32 s6, s2
	s_cbranch_execz .LBB153_24
; %bb.15:
	v_add_nc_u32_e32 v1, v23, v21
	v_mov_b32_e32 v13, 0
	v_dual_mov_b32 v14, 0 :: v_dual_mov_b32 v15, 0
	v_not_b32_e32 v6, v23
	s_delay_alu instid0(VALU_DEP_4) | instskip(SKIP_2) | instid1(VALU_DEP_3)
	v_subrev_nc_u32_e32 v1, s12, v1
	v_mov_b32_e32 v11, 0
	v_dual_mov_b32 v12, 0 :: v_dual_mov_b32 v19, v0
	v_dual_mov_b32 v16, 0 :: v_dual_add_nc_u32 v1, 32, v1
	s_delay_alu instid0(VALU_DEP_1) | instskip(NEXT) | instid1(VALU_DEP_1)
	v_max_i32_e32 v1, v1, v22
	v_add3_u32 v1, s12, v1, v6
	v_mov_b32_e32 v6, 0
	v_mov_b32_e32 v7, 0
	s_delay_alu instid0(VALU_DEP_3) | instskip(NEXT) | instid1(VALU_DEP_1)
	v_sub_nc_u32_e32 v1, v1, v21
	v_and_b32_e32 v17, 0x60, v1
	s_delay_alu instid0(VALU_DEP_1)
	v_cmp_ne_u32_e32 vcc_lo, 0x60, v17
	v_dual_mov_b32 v18, v5 :: v_dual_mov_b32 v17, v4
	s_and_saveexec_b32 s3, vcc_lo
	s_cbranch_execz .LBB153_19
; %bb.16:
	v_lshrrev_b32_e32 v6, 5, v1
	v_mov_b32_e32 v15, 0
	v_mov_b32_e32 v13, 0
	s_mov_b32 s7, 0
	s_delay_alu instid0(VALU_DEP_3) | instskip(SKIP_3) | instid1(VALU_DEP_4)
	v_dual_mov_b32 v18, v5 :: v_dual_add_nc_u32 v11, 1, v6
	v_mov_b32_e32 v6, 0
	v_mov_b32_e32 v7, 0
	v_dual_mov_b32 v17, v4 :: v_dual_mov_b32 v16, 0
	v_and_b32_e32 v19, 3, v11
	v_dual_mov_b32 v11, 0 :: v_dual_mov_b32 v14, 0
	v_mov_b32_e32 v12, 0
	s_delay_alu instid0(VALU_DEP_3)
	v_sub_nc_u32_e32 v24, 0, v19
	v_mov_b32_e32 v19, v0
.LBB153_17:                             ; =>This Inner Loop Header: Depth=1
	s_delay_alu instid0(VALU_DEP_1) | instskip(NEXT) | instid1(VALU_DEP_3)
	v_ashrrev_i32_e32 v20, 31, v19
	v_add_co_u32 v24, s10, v24, 1
	s_wait_alu 0xfffe
	s_or_b32 s7, s10, s7
	s_delay_alu instid0(VALU_DEP_2) | instskip(SKIP_1) | instid1(VALU_DEP_2)
	v_lshlrev_b64_e32 v[25:26], 2, v[19:20]
	v_add_nc_u32_e32 v19, 32, v19
	v_add_co_u32 v25, vcc_lo, s8, v25
	s_wait_alu 0xfffd
	s_delay_alu instid0(VALU_DEP_3)
	v_add_co_ci_u32_e64 v26, null, s9, v26, vcc_lo
	global_load_b32 v20, v[25:26], off
	s_clause 0x3
	global_load_b128 v[25:28], v[17:18], off
	global_load_b128 v[29:32], v[17:18], off offset:16
	global_load_b128 v[33:36], v[17:18], off offset:32
	;; [unrolled: 1-line block ×3, first 2 shown]
	s_wait_loadcnt 0x4
	v_subrev_nc_u32_e32 v20, s12, v20
	s_wait_loadcnt 0x3
	v_cvt_f64_f32_e32 v[49:50], v25
	s_wait_loadcnt 0x2
	v_cvt_f64_f32_e32 v[51:52], v29
	;; [unrolled: 2-line block ×4, first 2 shown]
	v_lshlrev_b32_e32 v41, 2, v20
	v_cvt_f64_f32_e32 v[25:26], v26
	v_cvt_f64_f32_e32 v[29:30], v30
	;; [unrolled: 1-line block ×4, first 2 shown]
	v_ashrrev_i32_e32 v42, 31, v41
	s_delay_alu instid0(VALU_DEP_1) | instskip(SKIP_1) | instid1(VALU_DEP_1)
	v_lshlrev_b64_e32 v[41:42], 3, v[41:42]
	s_wait_kmcnt 0x0
	v_add_co_u32 v45, vcc_lo, s4, v41
	s_wait_alu 0xfffd
	s_delay_alu instid0(VALU_DEP_2)
	v_add_co_ci_u32_e64 v46, null, s5, v42, vcc_lo
	v_add_co_u32 v17, vcc_lo, 0x800, v17
	s_wait_alu 0xfffd
	v_add_co_ci_u32_e64 v18, null, 0, v18, vcc_lo
	s_clause 0x1
	global_load_b128 v[41:44], v[45:46], off
	global_load_b128 v[45:48], v[45:46], off offset:16
	s_wait_loadcnt 0x1
	v_fma_f64 v[13:14], v[49:50], v[41:42], v[13:14]
	v_fma_f64 v[15:16], v[51:52], v[41:42], v[15:16]
	;; [unrolled: 1-line block ×4, first 2 shown]
	v_cvt_f64_f32_e32 v[41:42], v27
	v_cvt_f64_f32_e32 v[49:50], v31
	;; [unrolled: 1-line block ×4, first 2 shown]
	v_fma_f64 v[13:14], v[25:26], v[43:44], v[13:14]
	v_fma_f64 v[15:16], v[29:30], v[43:44], v[15:16]
	;; [unrolled: 1-line block ×4, first 2 shown]
	v_cvt_f64_f32_e32 v[25:26], v28
	v_cvt_f64_f32_e32 v[27:28], v32
	;; [unrolled: 1-line block ×4, first 2 shown]
	s_wait_loadcnt 0x0
	v_fma_f64 v[13:14], v[41:42], v[45:46], v[13:14]
	v_fma_f64 v[15:16], v[49:50], v[45:46], v[15:16]
	;; [unrolled: 1-line block ×4, first 2 shown]
	s_delay_alu instid0(VALU_DEP_4) | instskip(NEXT) | instid1(VALU_DEP_4)
	v_fma_f64 v[13:14], v[25:26], v[47:48], v[13:14]
	v_fma_f64 v[15:16], v[27:28], v[47:48], v[15:16]
	s_delay_alu instid0(VALU_DEP_4) | instskip(NEXT) | instid1(VALU_DEP_4)
	v_fma_f64 v[11:12], v[29:30], v[47:48], v[11:12]
	v_fma_f64 v[6:7], v[31:32], v[47:48], v[6:7]
	s_wait_alu 0xfffe
	s_and_not1_b32 exec_lo, exec_lo, s7
	s_cbranch_execnz .LBB153_17
; %bb.18:
	s_or_b32 exec_lo, exec_lo, s7
.LBB153_19:
	s_wait_alu 0xfffe
	s_or_b32 exec_lo, exec_lo, s3
	s_delay_alu instid0(SALU_CYCLE_1)
	s_mov_b32 s7, exec_lo
	v_cmpx_lt_u32_e32 0x5f, v1
	s_cbranch_execz .LBB153_23
; %bb.20:
	s_mov_b32 s10, 0
.LBB153_21:                             ; =>This Inner Loop Header: Depth=1
	v_ashrrev_i32_e32 v20, 31, v19
	s_delay_alu instid0(VALU_DEP_1) | instskip(SKIP_1) | instid1(VALU_DEP_2)
	v_lshlrev_b64_e32 v[24:25], 2, v[19:20]
	v_add_nc_u32_e32 v19, 0x80, v19
	v_add_co_u32 v40, vcc_lo, s8, v24
	s_wait_alu 0xfffd
	s_delay_alu instid0(VALU_DEP_3)
	v_add_co_ci_u32_e64 v41, null, s9, v25, vcc_lo
	s_clause 0x1
	global_load_b32 v1, v[40:41], off
	global_load_b32 v20, v[40:41], off offset:128
	s_clause 0x3
	global_load_b128 v[24:27], v[17:18], off
	global_load_b128 v[28:31], v[17:18], off offset:16
	global_load_b128 v[32:35], v[17:18], off offset:32
	;; [unrolled: 1-line block ×3, first 2 shown]
	s_clause 0x1
	global_load_b32 v90, v[40:41], off offset:256
	global_load_b32 v104, v[40:41], off offset:384
	s_wait_loadcnt 0x7
	v_subrev_nc_u32_e32 v1, s12, v1
	s_wait_loadcnt 0x5
	v_cvt_f64_f32_e32 v[88:89], v24
	s_wait_loadcnt 0x4
	v_cvt_f64_f32_e32 v[92:93], v28
	;; [unrolled: 2-line block ×3, first 2 shown]
	v_lshlrev_b32_e32 v40, 2, v1
	v_subrev_nc_u32_e32 v1, s12, v20
	s_wait_loadcnt 0x2
	v_cvt_f64_f32_e32 v[96:97], v36
	v_cvt_f64_f32_e32 v[24:25], v25
	;; [unrolled: 1-line block ×3, first 2 shown]
	v_ashrrev_i32_e32 v41, 31, v40
	v_lshlrev_b32_e32 v64, 2, v1
	s_wait_loadcnt 0x1
	v_subrev_nc_u32_e32 v1, s12, v90
	v_cvt_f64_f32_e32 v[32:33], v33
	v_cvt_f64_f32_e32 v[36:37], v37
	v_lshlrev_b64_e32 v[40:41], 3, v[40:41]
	v_ashrrev_i32_e32 v65, 31, v64
	v_lshlrev_b32_e32 v90, 2, v1
	v_cvt_f64_f32_e32 v[100:101], v39
	s_wait_loadcnt 0x0
	v_subrev_nc_u32_e32 v1, s12, v104
	v_lshlrev_b64_e32 v[64:65], 3, v[64:65]
	s_wait_kmcnt 0x0
	v_add_co_u32 v44, vcc_lo, s4, v40
	s_wait_alu 0xfffd
	v_add_co_ci_u32_e64 v45, null, s5, v41, vcc_lo
	v_ashrrev_i32_e32 v91, 31, v90
	v_add_co_u32 v68, vcc_lo, s4, v64
	s_clause 0x1
	global_load_b128 v[40:43], v[44:45], off
	global_load_b128 v[44:47], v[44:45], off offset:16
	s_clause 0x3
	global_load_b128 v[48:51], v[17:18], off offset:2048
	global_load_b128 v[52:55], v[17:18], off offset:2064
	;; [unrolled: 1-line block ×4, first 2 shown]
	s_wait_alu 0xfffd
	v_add_co_ci_u32_e64 v69, null, s5, v65, vcc_lo
	v_lshlrev_b64_e32 v[90:91], 3, v[90:91]
	s_clause 0x1
	global_load_b128 v[64:67], v[68:69], off
	global_load_b128 v[68:71], v[68:69], off offset:16
	s_clause 0x3
	global_load_b128 v[72:75], v[17:18], off offset:4112
	global_load_b128 v[76:79], v[17:18], off offset:4096
	;; [unrolled: 1-line block ×4, first 2 shown]
	v_add_co_u32 v98, vcc_lo, s4, v90
	s_wait_alu 0xfffd
	v_add_co_ci_u32_e64 v99, null, s5, v91, vcc_lo
	s_wait_loadcnt 0xb
	v_fma_f64 v[13:14], v[88:89], v[40:41], v[13:14]
	global_load_b128 v[88:91], v[98:99], off
	v_fma_f64 v[15:16], v[92:93], v[40:41], v[15:16]
	v_fma_f64 v[11:12], v[94:95], v[40:41], v[11:12]
	;; [unrolled: 1-line block ×3, first 2 shown]
	v_cvt_f64_f32_e32 v[40:41], v26
	v_cvt_f64_f32_e32 v[92:93], v34
	v_cvt_f64_f32_e32 v[94:95], v31
	v_cvt_f64_f32_e32 v[96:97], v35
	s_wait_loadcnt 0x9
	v_cvt_f64_f32_e32 v[102:103], v52
	v_cvt_f64_f32_e32 v[52:53], v53
	v_fma_f64 v[24:25], v[24:25], v[42:43], v[13:14]
	v_fma_f64 v[15:16], v[28:29], v[42:43], v[15:16]
	v_cvt_f64_f32_e32 v[28:29], v30
	v_fma_f64 v[32:33], v[32:33], v[42:43], v[11:12]
	v_fma_f64 v[6:7], v[36:37], v[42:43], v[6:7]
	v_cvt_f64_f32_e32 v[36:37], v38
	global_load_b128 v[11:14], v[98:99], off offset:16
	v_cvt_f64_f32_e32 v[42:43], v27
	v_fma_f64 v[40:41], v[40:41], v[44:45], v[24:25]
	v_fma_f64 v[15:16], v[28:29], v[44:45], v[15:16]
	;; [unrolled: 1-line block ×4, first 2 shown]
	s_clause 0x3
	global_load_b128 v[24:27], v[17:18], off offset:6144
	global_load_b128 v[28:31], v[17:18], off offset:6160
	;; [unrolled: 1-line block ×4, first 2 shown]
	v_cvt_f64_f32_e32 v[44:45], v48
	v_cvt_f64_f32_e32 v[48:49], v49
	v_add_co_u32 v17, s3, 0x2000, v17
	s_wait_alu 0xf1ff
	v_add_co_ci_u32_e64 v18, null, 0, v18, s3
	v_fma_f64 v[98:99], v[42:43], v[46:47], v[40:41]
	v_lshlrev_b32_e32 v40, 2, v1
	v_fma_f64 v[15:16], v[94:95], v[46:47], v[15:16]
	s_wait_loadcnt 0xd
	v_cvt_f64_f32_e32 v[94:95], v56
	v_fma_f64 v[92:93], v[96:97], v[46:47], v[92:93]
	s_wait_loadcnt 0xc
	v_cvt_f64_f32_e32 v[96:97], v60
	v_fma_f64 v[6:7], v[100:101], v[46:47], v[6:7]
	v_ashrrev_i32_e32 v41, 31, v40
	v_cvt_f64_f32_e32 v[56:57], v57
	v_cvt_f64_f32_e32 v[60:61], v61
	s_delay_alu instid0(VALU_DEP_3) | instskip(NEXT) | instid1(VALU_DEP_1)
	v_lshlrev_b64_e32 v[40:41], 3, v[40:41]
	v_add_co_u32 v46, vcc_lo, s4, v40
	s_wait_alu 0xfffd
	s_delay_alu instid0(VALU_DEP_2)
	v_add_co_ci_u32_e64 v47, null, s5, v41, vcc_lo
	v_cmp_ge_i32_e32 vcc_lo, v19, v22
	global_load_b128 v[40:43], v[46:47], off
	s_wait_alu 0xfffe
	s_or_b32 s10, vcc_lo, s10
	s_wait_loadcnt 0xc
	v_fma_f64 v[44:45], v[44:45], v[64:65], v[98:99]
	v_fma_f64 v[15:16], v[102:103], v[64:65], v[15:16]
	v_fma_f64 v[92:93], v[94:95], v[64:65], v[92:93]
	v_fma_f64 v[6:7], v[96:97], v[64:65], v[6:7]
	v_cvt_f64_f32_e32 v[64:65], v50
	v_cvt_f64_f32_e32 v[50:51], v51
	v_fma_f64 v[48:49], v[48:49], v[66:67], v[44:45]
	global_load_b128 v[44:47], v[46:47], off offset:16
	v_fma_f64 v[15:16], v[52:53], v[66:67], v[15:16]
	v_cvt_f64_f32_e32 v[52:53], v54
	v_fma_f64 v[56:57], v[56:57], v[66:67], v[92:93]
	v_cvt_f64_f32_e32 v[92:93], v58
	;; [unrolled: 2-line block ×3, first 2 shown]
	v_cvt_f64_f32_e32 v[54:55], v55
	v_cvt_f64_f32_e32 v[58:59], v59
	;; [unrolled: 1-line block ×3, first 2 shown]
	s_wait_loadcnt 0x9
	v_cvt_f64_f32_e32 v[66:67], v80
	v_fma_f64 v[48:49], v[64:65], v[68:69], v[48:49]
	s_wait_loadcnt 0x8
	v_cvt_f64_f32_e32 v[64:65], v84
	v_fma_f64 v[15:16], v[52:53], v[68:69], v[15:16]
	v_fma_f64 v[52:53], v[92:93], v[68:69], v[56:57]
	v_cvt_f64_f32_e32 v[56:57], v76
	v_fma_f64 v[6:7], v[60:61], v[68:69], v[6:7]
	v_cvt_f64_f32_e32 v[60:61], v72
	v_fma_f64 v[48:49], v[50:51], v[70:71], v[48:49]
	v_fma_f64 v[15:16], v[54:55], v[70:71], v[15:16]
	v_cvt_f64_f32_e32 v[54:55], v73
	v_fma_f64 v[50:51], v[58:59], v[70:71], v[52:53]
	v_cvt_f64_f32_e32 v[52:53], v77
	;; [unrolled: 2-line block ×3, first 2 shown]
	v_cvt_f64_f32_e32 v[62:63], v81
	s_wait_loadcnt 0x7
	v_fma_f64 v[48:49], v[56:57], v[88:89], v[48:49]
	v_fma_f64 v[15:16], v[60:61], v[88:89], v[15:16]
	;; [unrolled: 1-line block ×4, first 2 shown]
	v_cvt_f64_f32_e32 v[56:57], v78
	v_cvt_f64_f32_e32 v[60:61], v74
	;; [unrolled: 1-line block ×4, first 2 shown]
	v_fma_f64 v[48:49], v[52:53], v[90:91], v[48:49]
	v_fma_f64 v[15:16], v[54:55], v[90:91], v[15:16]
	;; [unrolled: 1-line block ×4, first 2 shown]
	v_cvt_f64_f32_e32 v[52:53], v79
	v_cvt_f64_f32_e32 v[54:55], v75
	;; [unrolled: 1-line block ×4, first 2 shown]
	s_wait_loadcnt 0x6
	v_fma_f64 v[48:49], v[56:57], v[11:12], v[48:49]
	v_fma_f64 v[15:16], v[60:61], v[11:12], v[15:16]
	;; [unrolled: 1-line block ×4, first 2 shown]
	s_wait_loadcnt 0x5
	v_cvt_f64_f32_e32 v[11:12], v24
	s_wait_loadcnt 0x4
	v_cvt_f64_f32_e32 v[56:57], v28
	;; [unrolled: 2-line block ×4, first 2 shown]
	v_fma_f64 v[48:49], v[52:53], v[13:14], v[48:49]
	v_fma_f64 v[15:16], v[54:55], v[13:14], v[15:16]
	;; [unrolled: 1-line block ×4, first 2 shown]
	v_cvt_f64_f32_e32 v[13:14], v25
	v_cvt_f64_f32_e32 v[24:25], v29
	;; [unrolled: 1-line block ×5, first 2 shown]
	s_wait_loadcnt 0x1
	v_fma_f64 v[11:12], v[11:12], v[40:41], v[48:49]
	v_fma_f64 v[15:16], v[56:57], v[40:41], v[15:16]
	;; [unrolled: 1-line block ×4, first 2 shown]
	v_cvt_f64_f32_e32 v[40:41], v26
	v_cvt_f64_f32_e32 v[48:49], v30
	;; [unrolled: 1-line block ×3, first 2 shown]
	v_fma_f64 v[11:12], v[13:14], v[42:43], v[11:12]
	v_fma_f64 v[13:14], v[24:25], v[42:43], v[15:16]
	v_fma_f64 v[15:16], v[28:29], v[42:43], v[36:37]
	v_fma_f64 v[6:7], v[32:33], v[42:43], v[6:7]
	v_cvt_f64_f32_e32 v[24:25], v27
	v_cvt_f64_f32_e32 v[26:27], v31
	;; [unrolled: 1-line block ×4, first 2 shown]
	s_wait_loadcnt 0x0
	v_fma_f64 v[11:12], v[40:41], v[44:45], v[11:12]
	v_fma_f64 v[32:33], v[48:49], v[44:45], v[13:14]
	;; [unrolled: 1-line block ×4, first 2 shown]
	s_delay_alu instid0(VALU_DEP_4) | instskip(NEXT) | instid1(VALU_DEP_4)
	v_fma_f64 v[13:14], v[24:25], v[46:47], v[11:12]
	v_fma_f64 v[15:16], v[26:27], v[46:47], v[32:33]
	s_delay_alu instid0(VALU_DEP_4) | instskip(NEXT) | instid1(VALU_DEP_4)
	v_fma_f64 v[11:12], v[28:29], v[46:47], v[34:35]
	v_fma_f64 v[6:7], v[30:31], v[46:47], v[6:7]
	s_wait_alu 0xfffe
	s_and_not1_b32 exec_lo, exec_lo, s10
	s_cbranch_execnz .LBB153_21
; %bb.22:
	s_or_b32 exec_lo, exec_lo, s10
.LBB153_23:
	s_wait_alu 0xfffe
	s_or_b32 exec_lo, exec_lo, s7
.LBB153_24:
	s_wait_alu 0xfffe
	s_or_b32 exec_lo, exec_lo, s6
	s_cbranch_execz .LBB153_26
	s_branch .LBB153_37
.LBB153_25:
                                        ; implicit-def: $vgpr6_vgpr7
                                        ; implicit-def: $vgpr11_vgpr12
                                        ; implicit-def: $vgpr15_vgpr16
                                        ; implicit-def: $vgpr13_vgpr14
.LBB153_26:
	v_dual_mov_b32 v15, 0 :: v_dual_mov_b32 v6, 0
	v_dual_mov_b32 v11, 0 :: v_dual_mov_b32 v16, 0
	v_mov_b32_e32 v13, 0
	v_dual_mov_b32 v7, 0 :: v_dual_mov_b32 v12, 0
	v_mov_b32_e32 v14, 0
	s_and_saveexec_b32 s3, s2
	s_cbranch_execz .LBB153_36
; %bb.27:
	v_add_nc_u32_e32 v1, v23, v21
	v_mov_b32_e32 v13, 0
	v_dual_mov_b32 v14, 0 :: v_dual_mov_b32 v15, 0
	v_not_b32_e32 v6, v23
	s_delay_alu instid0(VALU_DEP_4) | instskip(SKIP_3) | instid1(VALU_DEP_3)
	v_subrev_nc_u32_e32 v1, s12, v1
	v_mov_b32_e32 v11, 0
	s_mov_b32 s2, exec_lo
	v_mov_b32_e32 v16, 0
	v_dual_mov_b32 v12, 0 :: v_dual_add_nc_u32 v1, 32, v1
	s_delay_alu instid0(VALU_DEP_1) | instskip(NEXT) | instid1(VALU_DEP_1)
	v_max_i32_e32 v1, v1, v22
	v_add3_u32 v1, s12, v1, v6
	v_mov_b32_e32 v6, 0
	v_mov_b32_e32 v7, 0
	s_delay_alu instid0(VALU_DEP_3) | instskip(NEXT) | instid1(VALU_DEP_1)
	v_sub_nc_u32_e32 v17, v1, v21
	v_and_b32_e32 v1, 0x60, v17
	s_delay_alu instid0(VALU_DEP_1)
	v_cmpx_ne_u32_e32 0x60, v1
	s_cbranch_execz .LBB153_31
; %bb.28:
	v_lshrrev_b32_e32 v1, 5, v17
	v_mov_b32_e32 v11, 0
	v_mov_b32_e32 v15, 0
	;; [unrolled: 1-line block ×3, first 2 shown]
	s_delay_alu instid0(VALU_DEP_4) | instskip(SKIP_3) | instid1(VALU_DEP_3)
	v_dual_mov_b32 v14, 0 :: v_dual_add_nc_u32 v1, 1, v1
	v_mov_b32_e32 v6, 0
	v_dual_mov_b32 v7, 0 :: v_dual_mov_b32 v16, 0
	s_mov_b32 s6, 0
	v_dual_mov_b32 v12, 0 :: v_dual_and_b32 v1, 3, v1
	s_delay_alu instid0(VALU_DEP_1)
	v_sub_nc_u32_e32 v18, 0, v1
.LBB153_29:                             ; =>This Inner Loop Header: Depth=1
	v_ashrrev_i32_e32 v1, 31, v0
	s_delay_alu instid0(VALU_DEP_2) | instskip(SKIP_2) | instid1(VALU_DEP_2)
	v_add_co_u32 v18, s7, v18, 1
	s_wait_alu 0xfffe
	s_or_b32 s6, s7, s6
	v_lshlrev_b64_e32 v[19:20], 2, v[0:1]
	v_add_nc_u32_e32 v0, 32, v0
	s_delay_alu instid0(VALU_DEP_2) | instskip(SKIP_1) | instid1(VALU_DEP_3)
	v_add_co_u32 v19, vcc_lo, s8, v19
	s_wait_alu 0xfffd
	v_add_co_ci_u32_e64 v20, null, s9, v20, vcc_lo
	global_load_b32 v1, v[19:20], off
	s_clause 0x1
	global_load_b128 v[23:26], v[4:5], off
	global_load_b128 v[27:30], v[4:5], off offset:16
	s_wait_loadcnt 0x2
	v_subrev_nc_u32_e32 v1, s12, v1
	s_wait_loadcnt 0x1
	v_cvt_f64_f32_e32 v[47:48], v25
	v_cvt_f64_f32_e32 v[25:26], v26
	s_wait_loadcnt 0x0
	v_cvt_f64_f32_e32 v[49:50], v27
	v_cvt_f64_f32_e32 v[27:28], v28
	v_lshlrev_b32_e32 v19, 2, v1
	v_cvt_f64_f32_e32 v[51:52], v29
	v_cvt_f64_f32_e32 v[29:30], v30
	s_delay_alu instid0(VALU_DEP_3) | instskip(NEXT) | instid1(VALU_DEP_1)
	v_ashrrev_i32_e32 v20, 31, v19
	v_lshlrev_b64_e32 v[19:20], 3, v[19:20]
	s_wait_kmcnt 0x0
	s_delay_alu instid0(VALU_DEP_1) | instskip(SKIP_1) | instid1(VALU_DEP_2)
	v_add_co_u32 v19, vcc_lo, s4, v19
	s_wait_alu 0xfffd
	v_add_co_ci_u32_e64 v20, null, s5, v20, vcc_lo
	s_clause 0x1
	global_load_b128 v[31:34], v[19:20], off
	global_load_b128 v[35:38], v[19:20], off offset:16
	s_clause 0x1
	global_load_b128 v[39:42], v[4:5], off offset:32
	global_load_b128 v[43:46], v[4:5], off offset:48
	v_cvt_f64_f32_e32 v[19:20], v23
	v_cvt_f64_f32_e32 v[23:24], v24
	v_add_co_u32 v4, vcc_lo, 0x800, v4
	s_wait_alu 0xfffd
	v_add_co_ci_u32_e64 v5, null, 0, v5, vcc_lo
	s_wait_loadcnt 0x3
	s_delay_alu instid0(VALU_DEP_4) | instskip(NEXT) | instid1(VALU_DEP_4)
	v_fma_f64 v[13:14], v[19:20], v[31:32], v[13:14]
	v_fma_f64 v[15:16], v[23:24], v[31:32], v[15:16]
	v_fma_f64 v[11:12], v[47:48], v[31:32], v[11:12]
	v_fma_f64 v[6:7], v[25:26], v[31:32], v[6:7]
	s_wait_loadcnt 0x1
	v_cvt_f64_f32_e32 v[19:20], v39
	v_cvt_f64_f32_e32 v[23:24], v40
	;; [unrolled: 1-line block ×4, first 2 shown]
	s_wait_loadcnt 0x0
	v_cvt_f64_f32_e32 v[39:40], v46
	v_fma_f64 v[13:14], v[49:50], v[33:34], v[13:14]
	v_fma_f64 v[15:16], v[27:28], v[33:34], v[15:16]
	v_fma_f64 v[11:12], v[51:52], v[33:34], v[11:12]
	v_fma_f64 v[6:7], v[29:30], v[33:34], v[6:7]
	v_cvt_f64_f32_e32 v[27:28], v43
	v_cvt_f64_f32_e32 v[29:30], v44
	;; [unrolled: 1-line block ×3, first 2 shown]
	v_fma_f64 v[13:14], v[19:20], v[35:36], v[13:14]
	v_fma_f64 v[15:16], v[23:24], v[35:36], v[15:16]
	;; [unrolled: 1-line block ×4, first 2 shown]
	s_delay_alu instid0(VALU_DEP_4) | instskip(NEXT) | instid1(VALU_DEP_4)
	v_fma_f64 v[13:14], v[27:28], v[37:38], v[13:14]
	v_fma_f64 v[15:16], v[29:30], v[37:38], v[15:16]
	s_delay_alu instid0(VALU_DEP_4) | instskip(NEXT) | instid1(VALU_DEP_4)
	v_fma_f64 v[11:12], v[33:34], v[37:38], v[11:12]
	v_fma_f64 v[6:7], v[39:40], v[37:38], v[6:7]
	s_wait_alu 0xfffe
	s_and_not1_b32 exec_lo, exec_lo, s6
	s_cbranch_execnz .LBB153_29
; %bb.30:
	s_or_b32 exec_lo, exec_lo, s6
.LBB153_31:
	s_wait_alu 0xfffe
	s_or_b32 exec_lo, exec_lo, s2
	s_delay_alu instid0(SALU_CYCLE_1)
	s_mov_b32 s6, exec_lo
	v_cmpx_lt_u32_e32 0x5f, v17
	s_cbranch_execz .LBB153_35
; %bb.32:
	s_mov_b32 s7, 0
.LBB153_33:                             ; =>This Inner Loop Header: Depth=1
	v_ashrrev_i32_e32 v1, 31, v0
	s_delay_alu instid0(VALU_DEP_1) | instskip(SKIP_1) | instid1(VALU_DEP_2)
	v_lshlrev_b64_e32 v[17:18], 2, v[0:1]
	v_add_nc_u32_e32 v0, 0x80, v0
	v_add_co_u32 v23, vcc_lo, s8, v17
	s_wait_alu 0xfffd
	s_delay_alu instid0(VALU_DEP_3)
	v_add_co_ci_u32_e64 v24, null, s9, v18, vcc_lo
	s_clause 0x2
	global_load_b32 v1, v[23:24], off
	global_load_b32 v47, v[23:24], off offset:128
	global_load_b32 v71, v[23:24], off offset:256
	global_load_b128 v[17:20], v[4:5], off
	global_load_b32 v89, v[23:24], off offset:384
	s_wait_loadcnt 0x4
	v_subrev_nc_u32_e32 v1, s12, v1
	s_wait_loadcnt 0x1
	v_cvt_f64_f32_e32 v[75:76], v17
	v_cvt_f64_f32_e32 v[77:78], v18
	s_delay_alu instid0(VALU_DEP_3) | instskip(SKIP_3) | instid1(VALU_DEP_4)
	v_lshlrev_b32_e32 v23, 2, v1
	v_subrev_nc_u32_e32 v1, s12, v47
	v_cvt_f64_f32_e32 v[79:80], v19
	v_cvt_f64_f32_e32 v[81:82], v20
	v_ashrrev_i32_e32 v24, 31, v23
	s_delay_alu instid0(VALU_DEP_4) | instskip(SKIP_1) | instid1(VALU_DEP_3)
	v_lshlrev_b32_e32 v47, 2, v1
	v_subrev_nc_u32_e32 v1, s12, v71
	v_lshlrev_b64_e32 v[23:24], 3, v[23:24]
	s_delay_alu instid0(VALU_DEP_3) | instskip(NEXT) | instid1(VALU_DEP_3)
	v_ashrrev_i32_e32 v48, 31, v47
	v_lshlrev_b32_e32 v17, 2, v1
	s_wait_loadcnt 0x0
	v_subrev_nc_u32_e32 v1, s12, v89
	s_delay_alu instid0(VALU_DEP_3)
	v_lshlrev_b64_e32 v[47:48], 3, v[47:48]
	s_wait_kmcnt 0x0
	v_add_co_u32 v39, vcc_lo, s4, v23
	s_wait_alu 0xfffd
	v_add_co_ci_u32_e64 v40, null, s5, v24, vcc_lo
	v_ashrrev_i32_e32 v18, 31, v17
	global_load_b128 v[23:26], v[4:5], off offset:16
	global_load_b128 v[27:30], v[39:40], off
	s_clause 0x1
	global_load_b128 v[31:34], v[4:5], off offset:32
	global_load_b128 v[35:38], v[4:5], off offset:48
	;; [unrolled: 1-line block ×4, first 2 shown]
	v_add_co_u32 v63, vcc_lo, s4, v47
	s_wait_alu 0xfffd
	v_add_co_ci_u32_e64 v64, null, s5, v48, vcc_lo
	global_load_b128 v[47:50], v[4:5], off offset:2064
	global_load_b128 v[51:54], v[63:64], off
	s_clause 0x1
	global_load_b128 v[55:58], v[4:5], off offset:2080
	global_load_b128 v[59:62], v[4:5], off offset:2096
	;; [unrolled: 1-line block ×4, first 2 shown]
	v_lshlrev_b64_e32 v[17:18], 3, v[17:18]
	s_delay_alu instid0(VALU_DEP_1) | instskip(SKIP_1) | instid1(VALU_DEP_2)
	v_add_co_u32 v83, vcc_lo, s4, v17
	s_wait_alu 0xfffd
	v_add_co_ci_u32_e64 v84, null, s5, v18, vcc_lo
	global_load_b128 v[17:20], v[4:5], off offset:4112
	global_load_b128 v[71:74], v[83:84], off
	s_wait_loadcnt 0xd
	v_cvt_f64_f32_e32 v[85:86], v23
	v_cvt_f64_f32_e32 v[23:24], v24
	;; [unrolled: 1-line block ×4, first 2 shown]
	s_wait_loadcnt 0xc
	v_fma_f64 v[75:76], v[75:76], v[27:28], v[13:14]
	v_fma_f64 v[15:16], v[77:78], v[27:28], v[15:16]
	;; [unrolled: 1-line block ×4, first 2 shown]
	global_load_b128 v[11:14], v[4:5], off offset:4128
	s_wait_loadcnt 0xc
	v_cvt_f64_f32_e32 v[79:80], v31
	v_cvt_f64_f32_e32 v[31:32], v32
	;; [unrolled: 1-line block ×4, first 2 shown]
	v_fma_f64 v[75:76], v[85:86], v[29:30], v[75:76]
	v_fma_f64 v[15:16], v[23:24], v[29:30], v[15:16]
	;; [unrolled: 1-line block ×4, first 2 shown]
	global_load_b128 v[23:26], v[4:5], off offset:4144
	global_load_b128 v[27:30], v[83:84], off offset:16
	s_wait_loadcnt 0xd
	v_cvt_f64_f32_e32 v[83:84], v35
	v_cvt_f64_f32_e32 v[35:36], v36
	;; [unrolled: 1-line block ×4, first 2 shown]
	s_wait_loadcnt 0xa
	v_cvt_f64_f32_e32 v[87:88], v49
	v_cvt_f64_f32_e32 v[49:50], v50
	v_fma_f64 v[75:76], v[79:80], v[39:40], v[75:76]
	v_fma_f64 v[15:16], v[31:32], v[39:40], v[15:16]
	v_fma_f64 v[77:78], v[81:82], v[39:40], v[77:78]
	v_fma_f64 v[6:7], v[33:34], v[39:40], v[6:7]
	global_load_b128 v[31:34], v[4:5], off offset:6144
	v_cvt_f64_f32_e32 v[79:80], v43
	v_cvt_f64_f32_e32 v[43:44], v44
	;; [unrolled: 1-line block ×4, first 2 shown]
	v_lshlrev_b32_e32 v39, 2, v1
	s_delay_alu instid0(VALU_DEP_1)
	v_ashrrev_i32_e32 v40, 31, v39
	v_fma_f64 v[75:76], v[83:84], v[41:42], v[75:76]
	v_fma_f64 v[15:16], v[35:36], v[41:42], v[15:16]
	v_fma_f64 v[77:78], v[85:86], v[41:42], v[77:78]
	v_fma_f64 v[6:7], v[37:38], v[41:42], v[6:7]
	v_lshlrev_b64_e32 v[35:36], 3, v[39:40]
	v_cvt_f64_f32_e32 v[85:86], v47
	v_cvt_f64_f32_e32 v[47:48], v48
	s_delay_alu instid0(VALU_DEP_3) | instskip(SKIP_1) | instid1(VALU_DEP_4)
	v_add_co_u32 v83, vcc_lo, s4, v35
	s_wait_alu 0xfffd
	v_add_co_ci_u32_e64 v84, null, s5, v36, vcc_lo
	global_load_b128 v[35:38], v[4:5], off offset:6160
	global_load_b128 v[39:42], v[83:84], off
	v_cmp_ge_i32_e32 vcc_lo, v0, v22
	s_wait_alu 0xfffe
	s_or_b32 s7, vcc_lo, s7
	s_wait_loadcnt 0xc
	v_fma_f64 v[75:76], v[79:80], v[51:52], v[75:76]
	v_fma_f64 v[15:16], v[43:44], v[51:52], v[15:16]
	;; [unrolled: 1-line block ×4, first 2 shown]
	global_load_b128 v[43:46], v[4:5], off offset:6176
	s_wait_loadcnt 0xc
	v_cvt_f64_f32_e32 v[79:80], v55
	v_cvt_f64_f32_e32 v[55:56], v56
	;; [unrolled: 1-line block ×4, first 2 shown]
	v_fma_f64 v[75:76], v[85:86], v[53:54], v[75:76]
	v_fma_f64 v[15:16], v[47:48], v[53:54], v[15:16]
	;; [unrolled: 1-line block ×4, first 2 shown]
	global_load_b128 v[47:50], v[4:5], off offset:6192
	global_load_b128 v[51:54], v[83:84], off offset:16
	s_wait_loadcnt 0xd
	v_cvt_f64_f32_e32 v[83:84], v59
	v_cvt_f64_f32_e32 v[59:60], v60
	;; [unrolled: 1-line block ×4, first 2 shown]
	v_add_co_u32 v4, s2, 0x2000, v4
	s_wait_alu 0xf1ff
	v_add_co_ci_u32_e64 v5, null, 0, v5, s2
	s_wait_loadcnt 0xc
	v_fma_f64 v[75:76], v[79:80], v[63:64], v[75:76]
	v_fma_f64 v[15:16], v[55:56], v[63:64], v[15:16]
	v_fma_f64 v[55:56], v[81:82], v[63:64], v[77:78]
	v_fma_f64 v[6:7], v[57:58], v[63:64], v[6:7]
	s_wait_loadcnt 0xb
	v_cvt_f64_f32_e32 v[57:58], v67
	v_cvt_f64_f32_e32 v[63:64], v68
	v_cvt_f64_f32_e32 v[67:68], v69
	v_cvt_f64_f32_e32 v[69:70], v70
	v_fma_f64 v[75:76], v[83:84], v[65:66], v[75:76]
	v_fma_f64 v[15:16], v[59:60], v[65:66], v[15:16]
	v_fma_f64 v[55:56], v[85:86], v[65:66], v[55:56]
	v_fma_f64 v[6:7], v[61:62], v[65:66], v[6:7]
	s_wait_loadcnt 0xa
	v_cvt_f64_f32_e32 v[59:60], v17
	v_cvt_f64_f32_e32 v[17:18], v18
	v_cvt_f64_f32_e32 v[61:62], v19
	v_cvt_f64_f32_e32 v[19:20], v20
	s_wait_loadcnt 0x9
	v_fma_f64 v[57:58], v[57:58], v[71:72], v[75:76]
	v_fma_f64 v[15:16], v[63:64], v[71:72], v[15:16]
	v_fma_f64 v[55:56], v[67:68], v[71:72], v[55:56]
	v_fma_f64 v[6:7], v[69:70], v[71:72], v[6:7]
	s_wait_loadcnt 0x8
	v_cvt_f64_f32_e32 v[63:64], v11
	v_cvt_f64_f32_e32 v[11:12], v12
	v_cvt_f64_f32_e32 v[65:66], v13
	v_cvt_f64_f32_e32 v[13:14], v14
	v_fma_f64 v[57:58], v[59:60], v[73:74], v[57:58]
	v_fma_f64 v[15:16], v[17:18], v[73:74], v[15:16]
	v_fma_f64 v[17:18], v[61:62], v[73:74], v[55:56]
	v_fma_f64 v[6:7], v[19:20], v[73:74], v[6:7]
	s_wait_loadcnt 0x7
	v_cvt_f64_f32_e32 v[19:20], v23
	v_cvt_f64_f32_e32 v[23:24], v24
	v_cvt_f64_f32_e32 v[55:56], v25
	v_cvt_f64_f32_e32 v[25:26], v26
	;; [unrolled: 19-line block ×4, first 2 shown]
	s_wait_loadcnt 0x0
	v_fma_f64 v[13:14], v[17:18], v[51:52], v[13:14]
	v_fma_f64 v[11:12], v[19:20], v[51:52], v[11:12]
	;; [unrolled: 1-line block ×4, first 2 shown]
	s_delay_alu instid0(VALU_DEP_4) | instskip(NEXT) | instid1(VALU_DEP_4)
	v_fma_f64 v[13:14], v[23:24], v[53:54], v[13:14]
	v_fma_f64 v[15:16], v[25:26], v[53:54], v[11:12]
	s_delay_alu instid0(VALU_DEP_4) | instskip(NEXT) | instid1(VALU_DEP_4)
	v_fma_f64 v[11:12], v[29:30], v[53:54], v[17:18]
	v_fma_f64 v[6:7], v[33:34], v[53:54], v[6:7]
	s_wait_alu 0xfffe
	s_and_not1_b32 exec_lo, exec_lo, s7
	s_cbranch_execnz .LBB153_33
; %bb.34:
	s_or_b32 exec_lo, exec_lo, s7
.LBB153_35:
	s_wait_alu 0xfffe
	s_or_b32 exec_lo, exec_lo, s6
.LBB153_36:
	s_wait_alu 0xfffe
	s_or_b32 exec_lo, exec_lo, s3
.LBB153_37:
	v_mbcnt_lo_u32_b32 v24, -1, 0
	s_delay_alu instid0(VALU_DEP_1) | instskip(NEXT) | instid1(VALU_DEP_1)
	v_xor_b32_e32 v0, 16, v24
	v_cmp_gt_i32_e32 vcc_lo, 32, v0
	s_wait_alu 0xfffd
	v_cndmask_b32_e32 v0, v24, v0, vcc_lo
	s_delay_alu instid0(VALU_DEP_1)
	v_lshlrev_b32_e32 v20, 2, v0
	ds_bpermute_b32 v0, v20, v13
	ds_bpermute_b32 v1, v20, v14
	s_wait_dscnt 0x0
	v_add_f64_e32 v[0:1], v[13:14], v[0:1]
	v_xor_b32_e32 v13, 8, v24
	s_delay_alu instid0(VALU_DEP_1)
	v_cmp_gt_i32_e32 vcc_lo, 32, v13
	s_wait_alu 0xfffd
	v_cndmask_b32_e32 v13, v24, v13, vcc_lo
	ds_bpermute_b32 v4, v20, v15
	ds_bpermute_b32 v5, v20, v16
	;; [unrolled: 1-line block ×6, first 2 shown]
	s_wait_dscnt 0x4
	v_add_f64_e32 v[4:5], v[15:16], v[4:5]
	s_wait_dscnt 0x2
	v_add_f64_e32 v[11:12], v[11:12], v[17:18]
	;; [unrolled: 2-line block ×3, first 2 shown]
	v_lshlrev_b32_e32 v20, 2, v13
	ds_bpermute_b32 v13, v20, v0
	ds_bpermute_b32 v14, v20, v1
	s_wait_dscnt 0x0
	v_add_f64_e32 v[0:1], v[0:1], v[13:14]
	v_xor_b32_e32 v13, 4, v24
	s_delay_alu instid0(VALU_DEP_1)
	v_cmp_gt_i32_e32 vcc_lo, 32, v13
	ds_bpermute_b32 v15, v20, v4
	ds_bpermute_b32 v16, v20, v5
	;; [unrolled: 1-line block ×6, first 2 shown]
	s_wait_alu 0xfffd
	v_cndmask_b32_e32 v13, v24, v13, vcc_lo
	s_wait_dscnt 0x4
	v_add_f64_e32 v[4:5], v[4:5], v[15:16]
	s_wait_dscnt 0x2
	v_add_f64_e32 v[11:12], v[11:12], v[17:18]
	;; [unrolled: 2-line block ×3, first 2 shown]
	v_lshlrev_b32_e32 v20, 2, v13
	ds_bpermute_b32 v13, v20, v0
	ds_bpermute_b32 v14, v20, v1
	s_wait_dscnt 0x0
	v_add_f64_e32 v[0:1], v[0:1], v[13:14]
	ds_bpermute_b32 v15, v20, v4
	ds_bpermute_b32 v16, v20, v5
	;; [unrolled: 1-line block ×6, first 2 shown]
	s_wait_dscnt 0x4
	v_add_f64_e32 v[4:5], v[4:5], v[15:16]
	s_wait_dscnt 0x2
	v_add_f64_e32 v[13:14], v[11:12], v[17:18]
	;; [unrolled: 2-line block ×3, first 2 shown]
	v_xor_b32_e32 v6, 2, v24
	s_delay_alu instid0(VALU_DEP_1) | instskip(SKIP_2) | instid1(VALU_DEP_1)
	v_cmp_gt_i32_e32 vcc_lo, 32, v6
	s_wait_alu 0xfffd
	v_cndmask_b32_e32 v6, v24, v6, vcc_lo
	v_lshlrev_b32_e32 v11, 2, v6
	ds_bpermute_b32 v6, v11, v0
	ds_bpermute_b32 v7, v11, v1
	;; [unrolled: 1-line block ×8, first 2 shown]
	s_wait_dscnt 0x6
	v_add_f64_e32 v[11:12], v[0:1], v[6:7]
	s_wait_dscnt 0x4
	v_add_f64_e32 v[6:7], v[4:5], v[17:18]
	;; [unrolled: 2-line block ×3, first 2 shown]
	v_xor_b32_e32 v13, 1, v24
	s_wait_dscnt 0x0
	v_add_f64_e32 v[4:5], v[15:16], v[22:23]
	s_delay_alu instid0(VALU_DEP_2) | instskip(SKIP_3) | instid1(VALU_DEP_2)
	v_cmp_gt_i32_e32 vcc_lo, 32, v13
	s_wait_alu 0xfffd
	v_cndmask_b32_e32 v13, v24, v13, vcc_lo
	v_cmp_eq_u32_e32 vcc_lo, 31, v21
	v_lshlrev_b32_e32 v14, 2, v13
	ds_bpermute_b32 v19, v14, v11
	ds_bpermute_b32 v20, v14, v12
	;; [unrolled: 1-line block ×8, first 2 shown]
	s_and_b32 exec_lo, exec_lo, vcc_lo
	s_cbranch_execz .LBB153_10
; %bb.38:
	s_wait_dscnt 0x6
	v_add_f64_e32 v[11:12], v[11:12], v[19:20]
	s_wait_dscnt 0x4
	v_add_f64_e32 v[6:7], v[6:7], v[17:18]
	;; [unrolled: 2-line block ×4, first 2 shown]
	s_load_b64 s[0:1], s[0:1], 0x50
	v_lshlrev_b32_e32 v10, 2, v10
	s_mov_b32 s2, exec_lo
	v_mul_f64_e32 v[4:5], v[2:3], v[11:12]
	v_mul_f64_e32 v[6:7], v[2:3], v[6:7]
	;; [unrolled: 1-line block ×4, first 2 shown]
	v_cmpx_eq_f64_e32 0, v[8:9]
	s_wait_alu 0xfffe
	s_xor_b32 s2, exec_lo, s2
	s_cbranch_execz .LBB153_40
; %bb.39:
	v_ashrrev_i32_e32 v11, 31, v10
	s_delay_alu instid0(VALU_DEP_1) | instskip(SKIP_1) | instid1(VALU_DEP_1)
	v_lshlrev_b64_e32 v[8:9], 3, v[10:11]
                                        ; implicit-def: $vgpr10
	s_wait_kmcnt 0x0
	v_add_co_u32 v8, vcc_lo, s0, v8
	s_wait_alu 0xfffd
	s_delay_alu instid0(VALU_DEP_2)
	v_add_co_ci_u32_e64 v9, null, s1, v9, vcc_lo
	s_clause 0x1
	global_store_b128 v[8:9], v[4:7], off
	global_store_b128 v[8:9], v[0:3], off offset:16
                                        ; implicit-def: $vgpr8_vgpr9
                                        ; implicit-def: $vgpr4_vgpr5
                                        ; implicit-def: $vgpr0_vgpr1
.LBB153_40:
	s_wait_alu 0xfffe
	s_and_not1_saveexec_b32 s2, s2
	s_cbranch_execz .LBB153_10
; %bb.41:
	v_ashrrev_i32_e32 v11, 31, v10
	s_delay_alu instid0(VALU_DEP_1) | instskip(SKIP_1) | instid1(VALU_DEP_1)
	v_lshlrev_b64_e32 v[10:11], 3, v[10:11]
	s_wait_kmcnt 0x0
	v_add_co_u32 v18, vcc_lo, s0, v10
	s_wait_alu 0xfffd
	s_delay_alu instid0(VALU_DEP_2)
	v_add_co_ci_u32_e64 v19, null, s1, v11, vcc_lo
	s_clause 0x1
	global_load_b128 v[10:13], v[18:19], off
	global_load_b128 v[14:17], v[18:19], off offset:16
	s_wait_loadcnt 0x1
	v_fma_f64 v[4:5], v[8:9], v[10:11], v[4:5]
	v_fma_f64 v[6:7], v[8:9], v[12:13], v[6:7]
	s_wait_loadcnt 0x0
	v_fma_f64 v[0:1], v[8:9], v[14:15], v[0:1]
	v_fma_f64 v[2:3], v[8:9], v[16:17], v[2:3]
	s_clause 0x1
	global_store_b128 v[18:19], v[4:7], off
	global_store_b128 v[18:19], v[0:3], off offset:16
	s_nop 0
	s_sendmsg sendmsg(MSG_DEALLOC_VGPRS)
	s_endpgm
	.section	.rodata,"a",@progbits
	.p2align	6, 0x0
	.amdhsa_kernel _ZN9rocsparseL18bsrxmvn_4x4_kernelILj128ELj32EdiifddEEvT3_20rocsparse_direction_NS_24const_host_device_scalarIT1_EES1_PKS1_PKT2_SA_S7_PKT4_PKT5_S5_PT6_21rocsparse_index_base_b
		.amdhsa_group_segment_fixed_size 0
		.amdhsa_private_segment_fixed_size 0
		.amdhsa_kernarg_size 96
		.amdhsa_user_sgpr_count 2
		.amdhsa_user_sgpr_dispatch_ptr 0
		.amdhsa_user_sgpr_queue_ptr 0
		.amdhsa_user_sgpr_kernarg_segment_ptr 1
		.amdhsa_user_sgpr_dispatch_id 0
		.amdhsa_user_sgpr_private_segment_size 0
		.amdhsa_wavefront_size32 1
		.amdhsa_uses_dynamic_stack 0
		.amdhsa_enable_private_segment 0
		.amdhsa_system_sgpr_workgroup_id_x 1
		.amdhsa_system_sgpr_workgroup_id_y 0
		.amdhsa_system_sgpr_workgroup_id_z 0
		.amdhsa_system_sgpr_workgroup_info 0
		.amdhsa_system_vgpr_workitem_id 0
		.amdhsa_next_free_vgpr 105
		.amdhsa_next_free_sgpr 14
		.amdhsa_reserve_vcc 1
		.amdhsa_float_round_mode_32 0
		.amdhsa_float_round_mode_16_64 0
		.amdhsa_float_denorm_mode_32 3
		.amdhsa_float_denorm_mode_16_64 3
		.amdhsa_fp16_overflow 0
		.amdhsa_workgroup_processor_mode 1
		.amdhsa_memory_ordered 1
		.amdhsa_forward_progress 1
		.amdhsa_inst_pref_size 47
		.amdhsa_round_robin_scheduling 0
		.amdhsa_exception_fp_ieee_invalid_op 0
		.amdhsa_exception_fp_denorm_src 0
		.amdhsa_exception_fp_ieee_div_zero 0
		.amdhsa_exception_fp_ieee_overflow 0
		.amdhsa_exception_fp_ieee_underflow 0
		.amdhsa_exception_fp_ieee_inexact 0
		.amdhsa_exception_int_div_zero 0
	.end_amdhsa_kernel
	.section	.text._ZN9rocsparseL18bsrxmvn_4x4_kernelILj128ELj32EdiifddEEvT3_20rocsparse_direction_NS_24const_host_device_scalarIT1_EES1_PKS1_PKT2_SA_S7_PKT4_PKT5_S5_PT6_21rocsparse_index_base_b,"axG",@progbits,_ZN9rocsparseL18bsrxmvn_4x4_kernelILj128ELj32EdiifddEEvT3_20rocsparse_direction_NS_24const_host_device_scalarIT1_EES1_PKS1_PKT2_SA_S7_PKT4_PKT5_S5_PT6_21rocsparse_index_base_b,comdat
.Lfunc_end153:
	.size	_ZN9rocsparseL18bsrxmvn_4x4_kernelILj128ELj32EdiifddEEvT3_20rocsparse_direction_NS_24const_host_device_scalarIT1_EES1_PKS1_PKT2_SA_S7_PKT4_PKT5_S5_PT6_21rocsparse_index_base_b, .Lfunc_end153-_ZN9rocsparseL18bsrxmvn_4x4_kernelILj128ELj32EdiifddEEvT3_20rocsparse_direction_NS_24const_host_device_scalarIT1_EES1_PKS1_PKT2_SA_S7_PKT4_PKT5_S5_PT6_21rocsparse_index_base_b
                                        ; -- End function
	.set _ZN9rocsparseL18bsrxmvn_4x4_kernelILj128ELj32EdiifddEEvT3_20rocsparse_direction_NS_24const_host_device_scalarIT1_EES1_PKS1_PKT2_SA_S7_PKT4_PKT5_S5_PT6_21rocsparse_index_base_b.num_vgpr, 105
	.set _ZN9rocsparseL18bsrxmvn_4x4_kernelILj128ELj32EdiifddEEvT3_20rocsparse_direction_NS_24const_host_device_scalarIT1_EES1_PKS1_PKT2_SA_S7_PKT4_PKT5_S5_PT6_21rocsparse_index_base_b.num_agpr, 0
	.set _ZN9rocsparseL18bsrxmvn_4x4_kernelILj128ELj32EdiifddEEvT3_20rocsparse_direction_NS_24const_host_device_scalarIT1_EES1_PKS1_PKT2_SA_S7_PKT4_PKT5_S5_PT6_21rocsparse_index_base_b.numbered_sgpr, 14
	.set _ZN9rocsparseL18bsrxmvn_4x4_kernelILj128ELj32EdiifddEEvT3_20rocsparse_direction_NS_24const_host_device_scalarIT1_EES1_PKS1_PKT2_SA_S7_PKT4_PKT5_S5_PT6_21rocsparse_index_base_b.num_named_barrier, 0
	.set _ZN9rocsparseL18bsrxmvn_4x4_kernelILj128ELj32EdiifddEEvT3_20rocsparse_direction_NS_24const_host_device_scalarIT1_EES1_PKS1_PKT2_SA_S7_PKT4_PKT5_S5_PT6_21rocsparse_index_base_b.private_seg_size, 0
	.set _ZN9rocsparseL18bsrxmvn_4x4_kernelILj128ELj32EdiifddEEvT3_20rocsparse_direction_NS_24const_host_device_scalarIT1_EES1_PKS1_PKT2_SA_S7_PKT4_PKT5_S5_PT6_21rocsparse_index_base_b.uses_vcc, 1
	.set _ZN9rocsparseL18bsrxmvn_4x4_kernelILj128ELj32EdiifddEEvT3_20rocsparse_direction_NS_24const_host_device_scalarIT1_EES1_PKS1_PKT2_SA_S7_PKT4_PKT5_S5_PT6_21rocsparse_index_base_b.uses_flat_scratch, 0
	.set _ZN9rocsparseL18bsrxmvn_4x4_kernelILj128ELj32EdiifddEEvT3_20rocsparse_direction_NS_24const_host_device_scalarIT1_EES1_PKS1_PKT2_SA_S7_PKT4_PKT5_S5_PT6_21rocsparse_index_base_b.has_dyn_sized_stack, 0
	.set _ZN9rocsparseL18bsrxmvn_4x4_kernelILj128ELj32EdiifddEEvT3_20rocsparse_direction_NS_24const_host_device_scalarIT1_EES1_PKS1_PKT2_SA_S7_PKT4_PKT5_S5_PT6_21rocsparse_index_base_b.has_recursion, 0
	.set _ZN9rocsparseL18bsrxmvn_4x4_kernelILj128ELj32EdiifddEEvT3_20rocsparse_direction_NS_24const_host_device_scalarIT1_EES1_PKS1_PKT2_SA_S7_PKT4_PKT5_S5_PT6_21rocsparse_index_base_b.has_indirect_call, 0
	.section	.AMDGPU.csdata,"",@progbits
; Kernel info:
; codeLenInByte = 5948
; TotalNumSgprs: 16
; NumVgprs: 105
; ScratchSize: 0
; MemoryBound: 0
; FloatMode: 240
; IeeeMode: 1
; LDSByteSize: 0 bytes/workgroup (compile time only)
; SGPRBlocks: 0
; VGPRBlocks: 13
; NumSGPRsForWavesPerEU: 16
; NumVGPRsForWavesPerEU: 105
; Occupancy: 12
; WaveLimiterHint : 1
; COMPUTE_PGM_RSRC2:SCRATCH_EN: 0
; COMPUTE_PGM_RSRC2:USER_SGPR: 2
; COMPUTE_PGM_RSRC2:TRAP_HANDLER: 0
; COMPUTE_PGM_RSRC2:TGID_X_EN: 1
; COMPUTE_PGM_RSRC2:TGID_Y_EN: 0
; COMPUTE_PGM_RSRC2:TGID_Z_EN: 0
; COMPUTE_PGM_RSRC2:TIDIG_COMP_CNT: 0
	.section	.text._ZN9rocsparseL18bsrxmvn_4x4_kernelILj128ELj64EdiifddEEvT3_20rocsparse_direction_NS_24const_host_device_scalarIT1_EES1_PKS1_PKT2_SA_S7_PKT4_PKT5_S5_PT6_21rocsparse_index_base_b,"axG",@progbits,_ZN9rocsparseL18bsrxmvn_4x4_kernelILj128ELj64EdiifddEEvT3_20rocsparse_direction_NS_24const_host_device_scalarIT1_EES1_PKS1_PKT2_SA_S7_PKT4_PKT5_S5_PT6_21rocsparse_index_base_b,comdat
	.globl	_ZN9rocsparseL18bsrxmvn_4x4_kernelILj128ELj64EdiifddEEvT3_20rocsparse_direction_NS_24const_host_device_scalarIT1_EES1_PKS1_PKT2_SA_S7_PKT4_PKT5_S5_PT6_21rocsparse_index_base_b ; -- Begin function _ZN9rocsparseL18bsrxmvn_4x4_kernelILj128ELj64EdiifddEEvT3_20rocsparse_direction_NS_24const_host_device_scalarIT1_EES1_PKS1_PKT2_SA_S7_PKT4_PKT5_S5_PT6_21rocsparse_index_base_b
	.p2align	8
	.type	_ZN9rocsparseL18bsrxmvn_4x4_kernelILj128ELj64EdiifddEEvT3_20rocsparse_direction_NS_24const_host_device_scalarIT1_EES1_PKS1_PKT2_SA_S7_PKT4_PKT5_S5_PT6_21rocsparse_index_base_b,@function
_ZN9rocsparseL18bsrxmvn_4x4_kernelILj128ELj64EdiifddEEvT3_20rocsparse_direction_NS_24const_host_device_scalarIT1_EES1_PKS1_PKT2_SA_S7_PKT4_PKT5_S5_PT6_21rocsparse_index_base_b: ; @_ZN9rocsparseL18bsrxmvn_4x4_kernelILj128ELj64EdiifddEEvT3_20rocsparse_direction_NS_24const_host_device_scalarIT1_EES1_PKS1_PKT2_SA_S7_PKT4_PKT5_S5_PT6_21rocsparse_index_base_b
; %bb.0:
	s_clause 0x2
	s_load_b64 s[12:13], s[0:1], 0x58
	s_load_b64 s[4:5], s[0:1], 0x8
	;; [unrolled: 1-line block ×3, first 2 shown]
	s_wait_kmcnt 0x0
	s_bitcmp1_b32 s13, 0
	v_dual_mov_b32 v2, s4 :: v_dual_mov_b32 v3, s5
	s_cselect_b32 s6, -1, 0
	s_delay_alu instid0(SALU_CYCLE_1)
	s_and_b32 vcc_lo, exec_lo, s6
	s_xor_b32 s6, s6, -1
	s_cbranch_vccnz .LBB154_2
; %bb.1:
	v_dual_mov_b32 v1, s4 :: v_dual_mov_b32 v2, s5
	flat_load_b64 v[2:3], v[1:2]
.LBB154_2:
	v_dual_mov_b32 v9, s3 :: v_dual_mov_b32 v8, s2
	s_and_not1_b32 vcc_lo, exec_lo, s6
	s_cbranch_vccnz .LBB154_4
; %bb.3:
	v_dual_mov_b32 v5, s3 :: v_dual_mov_b32 v4, s2
	flat_load_b64 v[8:9], v[4:5]
.LBB154_4:
	s_wait_loadcnt_dscnt 0x0
	v_cmp_neq_f64_e32 vcc_lo, 0, v[2:3]
	v_cmp_neq_f64_e64 s2, 1.0, v[8:9]
	s_or_b32 s2, vcc_lo, s2
	s_wait_alu 0xfffe
	s_and_saveexec_b32 s3, s2
	s_cbranch_execz .LBB154_10
; %bb.5:
	s_clause 0x1
	s_load_b64 s[4:5], s[0:1], 0x18
	s_load_b64 s[2:3], s[0:1], 0x0
	v_lshrrev_b32_e32 v1, 6, v0
	s_delay_alu instid0(VALU_DEP_1)
	v_lshl_or_b32 v10, ttmp9, 1, v1
	s_wait_kmcnt 0x0
	s_cmp_lg_u64 s[4:5], 0
	s_cbranch_scc0 .LBB154_11
; %bb.6:
	s_load_b32 s6, s[0:1], 0x10
	s_mov_b32 s7, 0
                                        ; implicit-def: $vgpr1
	s_wait_kmcnt 0x0
	v_cmp_gt_i32_e32 vcc_lo, s6, v10
	s_mov_b32 s6, 0
	s_and_saveexec_b32 s8, vcc_lo
	s_delay_alu instid0(SALU_CYCLE_1)
	s_xor_b32 s8, exec_lo, s8
	s_cbranch_execz .LBB154_8
; %bb.7:
	v_ashrrev_i32_e32 v11, 31, v10
	s_mov_b32 s6, exec_lo
	s_delay_alu instid0(VALU_DEP_1) | instskip(NEXT) | instid1(VALU_DEP_1)
	v_lshlrev_b64_e32 v[4:5], 2, v[10:11]
	v_add_co_u32 v4, vcc_lo, s4, v4
	s_delay_alu instid0(VALU_DEP_1)
	v_add_co_ci_u32_e64 v5, null, s5, v5, vcc_lo
	global_load_b32 v1, v[4:5], off
	s_wait_loadcnt 0x0
	v_subrev_nc_u32_e32 v1, s12, v1
.LBB154_8:
	s_or_b32 exec_lo, exec_lo, s8
	s_delay_alu instid0(SALU_CYCLE_1)
	s_and_b32 vcc_lo, exec_lo, s7
	s_wait_alu 0xfffe
	s_cbranch_vccz .LBB154_12
.LBB154_9:
	v_cmp_gt_i32_e32 vcc_lo, s2, v10
	s_and_not1_b32 s2, s6, exec_lo
	s_and_b32 s4, vcc_lo, exec_lo
	s_wait_alu 0xfffe
	s_or_b32 s6, s2, s4
	s_wait_alu 0xfffe
	s_and_b32 exec_lo, exec_lo, s6
	s_cbranch_execnz .LBB154_13
.LBB154_10:
	s_nop 0
	s_sendmsg sendmsg(MSG_DEALLOC_VGPRS)
	s_endpgm
.LBB154_11:
	s_mov_b32 s6, 0
                                        ; implicit-def: $vgpr1
	s_cbranch_execnz .LBB154_9
.LBB154_12:
	v_mov_b32_e32 v10, v1
	s_and_b32 exec_lo, exec_lo, s6
	s_cbranch_execz .LBB154_10
.LBB154_13:
	s_load_b256 s[4:11], s[0:1], 0x20
	s_delay_alu instid0(VALU_DEP_1) | instskip(SKIP_1) | instid1(VALU_DEP_2)
	v_ashrrev_i32_e32 v11, 31, v10
	v_and_b32_e32 v21, 63, v0
	v_lshlrev_b64_e32 v[4:5], 2, v[10:11]
	s_wait_kmcnt 0x0
	s_delay_alu instid0(VALU_DEP_1) | instskip(SKIP_1) | instid1(VALU_DEP_2)
	v_add_co_u32 v6, vcc_lo, s4, v4
	s_wait_alu 0xfffd
	v_add_co_ci_u32_e64 v7, null, s5, v5, vcc_lo
	v_add_co_u32 v1, vcc_lo, s6, v4
	s_wait_alu 0xfffd
	v_add_co_ci_u32_e64 v4, null, s7, v5, vcc_lo
	global_load_b32 v23, v[6:7], off
	v_add_co_u32 v6, vcc_lo, v6, 4
	s_wait_alu 0xfffd
	v_add_co_ci_u32_e64 v5, null, 0, v7, vcc_lo
	s_cmp_eq_u64 s[6:7], 0
	s_load_b64 s[4:5], s[0:1], 0x40
	s_cselect_b32 vcc_lo, -1, 0
	s_cmp_eq_u32 s3, 1
	s_wait_alu 0xfffe
	v_dual_cndmask_b32 v5, v4, v5 :: v_dual_cndmask_b32 v4, v1, v6
	global_load_b32 v6, v[4:5], off
	s_wait_loadcnt 0x1
	v_subrev_nc_u32_e32 v0, s12, v23
	s_delay_alu instid0(VALU_DEP_1) | instskip(NEXT) | instid1(VALU_DEP_1)
	v_add_nc_u32_e32 v0, v0, v21
	v_ashrrev_i32_e32 v1, 31, v0
	s_wait_loadcnt 0x0
	v_subrev_nc_u32_e32 v22, s12, v6
	s_delay_alu instid0(VALU_DEP_2) | instskip(NEXT) | instid1(VALU_DEP_2)
	v_lshlrev_b64_e32 v[4:5], 6, v[0:1]
	v_cmp_lt_i32_e64 s2, v0, v22
	s_delay_alu instid0(VALU_DEP_2) | instskip(SKIP_1) | instid1(VALU_DEP_3)
	v_add_co_u32 v4, vcc_lo, s10, v4
	s_wait_alu 0xfffd
	v_add_co_ci_u32_e64 v5, null, s11, v5, vcc_lo
	s_cbranch_scc1 .LBB154_25
; %bb.14:
	v_dual_mov_b32 v15, 0 :: v_dual_mov_b32 v6, 0
	v_dual_mov_b32 v11, 0 :: v_dual_mov_b32 v16, 0
	v_mov_b32_e32 v13, 0
	v_dual_mov_b32 v7, 0 :: v_dual_mov_b32 v12, 0
	v_mov_b32_e32 v14, 0
	s_and_saveexec_b32 s6, s2
	s_cbranch_execz .LBB154_24
; %bb.15:
	v_add_nc_u32_e32 v1, v23, v21
	v_mov_b32_e32 v13, 0
	v_dual_mov_b32 v14, 0 :: v_dual_mov_b32 v15, 0
	v_not_b32_e32 v6, v23
	s_delay_alu instid0(VALU_DEP_4) | instskip(SKIP_2) | instid1(VALU_DEP_3)
	v_subrev_nc_u32_e32 v1, s12, v1
	v_mov_b32_e32 v11, 0
	v_dual_mov_b32 v12, 0 :: v_dual_mov_b32 v19, v0
	v_dual_mov_b32 v16, 0 :: v_dual_add_nc_u32 v1, 64, v1
	s_delay_alu instid0(VALU_DEP_1) | instskip(NEXT) | instid1(VALU_DEP_1)
	v_max_i32_e32 v1, v1, v22
	v_add3_u32 v1, s12, v1, v6
	v_mov_b32_e32 v6, 0
	v_mov_b32_e32 v7, 0
	s_delay_alu instid0(VALU_DEP_3) | instskip(NEXT) | instid1(VALU_DEP_1)
	v_sub_nc_u32_e32 v1, v1, v21
	v_and_b32_e32 v17, 0xc0, v1
	s_delay_alu instid0(VALU_DEP_1)
	v_cmp_ne_u32_e32 vcc_lo, 0xc0, v17
	v_dual_mov_b32 v18, v5 :: v_dual_mov_b32 v17, v4
	s_and_saveexec_b32 s3, vcc_lo
	s_cbranch_execz .LBB154_19
; %bb.16:
	v_lshrrev_b32_e32 v6, 6, v1
	v_mov_b32_e32 v15, 0
	v_mov_b32_e32 v13, 0
	s_mov_b32 s7, 0
	s_delay_alu instid0(VALU_DEP_3) | instskip(SKIP_3) | instid1(VALU_DEP_4)
	v_dual_mov_b32 v18, v5 :: v_dual_add_nc_u32 v11, 1, v6
	v_mov_b32_e32 v6, 0
	v_mov_b32_e32 v7, 0
	v_dual_mov_b32 v17, v4 :: v_dual_mov_b32 v16, 0
	v_and_b32_e32 v19, 3, v11
	v_dual_mov_b32 v11, 0 :: v_dual_mov_b32 v14, 0
	v_mov_b32_e32 v12, 0
	s_delay_alu instid0(VALU_DEP_3)
	v_sub_nc_u32_e32 v24, 0, v19
	v_mov_b32_e32 v19, v0
.LBB154_17:                             ; =>This Inner Loop Header: Depth=1
	s_delay_alu instid0(VALU_DEP_1) | instskip(NEXT) | instid1(VALU_DEP_3)
	v_ashrrev_i32_e32 v20, 31, v19
	v_add_co_u32 v24, s10, v24, 1
	s_wait_alu 0xfffe
	s_or_b32 s7, s10, s7
	s_delay_alu instid0(VALU_DEP_2) | instskip(SKIP_1) | instid1(VALU_DEP_2)
	v_lshlrev_b64_e32 v[25:26], 2, v[19:20]
	v_add_nc_u32_e32 v19, 64, v19
	v_add_co_u32 v25, vcc_lo, s8, v25
	s_wait_alu 0xfffd
	s_delay_alu instid0(VALU_DEP_3)
	v_add_co_ci_u32_e64 v26, null, s9, v26, vcc_lo
	global_load_b32 v20, v[25:26], off
	s_clause 0x3
	global_load_b128 v[25:28], v[17:18], off
	global_load_b128 v[29:32], v[17:18], off offset:16
	global_load_b128 v[33:36], v[17:18], off offset:32
	global_load_b128 v[37:40], v[17:18], off offset:48
	s_wait_loadcnt 0x4
	v_subrev_nc_u32_e32 v20, s12, v20
	s_wait_loadcnt 0x3
	v_cvt_f64_f32_e32 v[49:50], v25
	s_wait_loadcnt 0x2
	v_cvt_f64_f32_e32 v[51:52], v29
	;; [unrolled: 2-line block ×4, first 2 shown]
	v_lshlrev_b32_e32 v41, 2, v20
	v_cvt_f64_f32_e32 v[25:26], v26
	v_cvt_f64_f32_e32 v[29:30], v30
	v_cvt_f64_f32_e32 v[33:34], v34
	v_cvt_f64_f32_e32 v[37:38], v38
	v_ashrrev_i32_e32 v42, 31, v41
	s_delay_alu instid0(VALU_DEP_1) | instskip(SKIP_1) | instid1(VALU_DEP_1)
	v_lshlrev_b64_e32 v[41:42], 3, v[41:42]
	s_wait_kmcnt 0x0
	v_add_co_u32 v45, vcc_lo, s4, v41
	s_wait_alu 0xfffd
	s_delay_alu instid0(VALU_DEP_2)
	v_add_co_ci_u32_e64 v46, null, s5, v42, vcc_lo
	v_add_co_u32 v17, vcc_lo, 0x1000, v17
	s_wait_alu 0xfffd
	v_add_co_ci_u32_e64 v18, null, 0, v18, vcc_lo
	s_clause 0x1
	global_load_b128 v[41:44], v[45:46], off
	global_load_b128 v[45:48], v[45:46], off offset:16
	s_wait_loadcnt 0x1
	v_fma_f64 v[13:14], v[49:50], v[41:42], v[13:14]
	v_fma_f64 v[15:16], v[51:52], v[41:42], v[15:16]
	;; [unrolled: 1-line block ×4, first 2 shown]
	v_cvt_f64_f32_e32 v[41:42], v27
	v_cvt_f64_f32_e32 v[49:50], v31
	;; [unrolled: 1-line block ×4, first 2 shown]
	v_fma_f64 v[13:14], v[25:26], v[43:44], v[13:14]
	v_fma_f64 v[15:16], v[29:30], v[43:44], v[15:16]
	;; [unrolled: 1-line block ×4, first 2 shown]
	v_cvt_f64_f32_e32 v[25:26], v28
	v_cvt_f64_f32_e32 v[27:28], v32
	;; [unrolled: 1-line block ×4, first 2 shown]
	s_wait_loadcnt 0x0
	v_fma_f64 v[13:14], v[41:42], v[45:46], v[13:14]
	v_fma_f64 v[15:16], v[49:50], v[45:46], v[15:16]
	;; [unrolled: 1-line block ×4, first 2 shown]
	s_delay_alu instid0(VALU_DEP_4) | instskip(NEXT) | instid1(VALU_DEP_4)
	v_fma_f64 v[13:14], v[25:26], v[47:48], v[13:14]
	v_fma_f64 v[15:16], v[27:28], v[47:48], v[15:16]
	s_delay_alu instid0(VALU_DEP_4) | instskip(NEXT) | instid1(VALU_DEP_4)
	v_fma_f64 v[11:12], v[29:30], v[47:48], v[11:12]
	v_fma_f64 v[6:7], v[31:32], v[47:48], v[6:7]
	s_wait_alu 0xfffe
	s_and_not1_b32 exec_lo, exec_lo, s7
	s_cbranch_execnz .LBB154_17
; %bb.18:
	s_or_b32 exec_lo, exec_lo, s7
.LBB154_19:
	s_wait_alu 0xfffe
	s_or_b32 exec_lo, exec_lo, s3
	s_delay_alu instid0(SALU_CYCLE_1)
	s_mov_b32 s7, exec_lo
	v_cmpx_lt_u32_e32 0xbf, v1
	s_cbranch_execz .LBB154_23
; %bb.20:
	s_mov_b32 s10, 0
.LBB154_21:                             ; =>This Inner Loop Header: Depth=1
	v_ashrrev_i32_e32 v20, 31, v19
	s_delay_alu instid0(VALU_DEP_1) | instskip(SKIP_1) | instid1(VALU_DEP_2)
	v_lshlrev_b64_e32 v[24:25], 2, v[19:20]
	v_add_nc_u32_e32 v19, 0x100, v19
	v_add_co_u32 v40, vcc_lo, s8, v24
	s_wait_alu 0xfffd
	s_delay_alu instid0(VALU_DEP_3)
	v_add_co_ci_u32_e64 v41, null, s9, v25, vcc_lo
	s_clause 0x1
	global_load_b32 v1, v[40:41], off
	global_load_b32 v20, v[40:41], off offset:256
	s_clause 0x3
	global_load_b128 v[24:27], v[17:18], off
	global_load_b128 v[28:31], v[17:18], off offset:16
	global_load_b128 v[32:35], v[17:18], off offset:32
	;; [unrolled: 1-line block ×3, first 2 shown]
	s_clause 0x1
	global_load_b32 v90, v[40:41], off offset:512
	global_load_b32 v104, v[40:41], off offset:768
	s_wait_loadcnt 0x7
	v_subrev_nc_u32_e32 v1, s12, v1
	s_wait_loadcnt 0x5
	v_cvt_f64_f32_e32 v[88:89], v24
	s_wait_loadcnt 0x4
	v_cvt_f64_f32_e32 v[92:93], v28
	;; [unrolled: 2-line block ×3, first 2 shown]
	v_lshlrev_b32_e32 v40, 2, v1
	v_subrev_nc_u32_e32 v1, s12, v20
	s_wait_loadcnt 0x2
	v_cvt_f64_f32_e32 v[96:97], v36
	v_cvt_f64_f32_e32 v[24:25], v25
	;; [unrolled: 1-line block ×3, first 2 shown]
	v_ashrrev_i32_e32 v41, 31, v40
	v_lshlrev_b32_e32 v64, 2, v1
	s_wait_loadcnt 0x1
	v_subrev_nc_u32_e32 v1, s12, v90
	v_cvt_f64_f32_e32 v[32:33], v33
	v_cvt_f64_f32_e32 v[36:37], v37
	v_lshlrev_b64_e32 v[40:41], 3, v[40:41]
	v_ashrrev_i32_e32 v65, 31, v64
	v_lshlrev_b32_e32 v90, 2, v1
	v_cvt_f64_f32_e32 v[100:101], v39
	s_wait_loadcnt 0x0
	v_subrev_nc_u32_e32 v1, s12, v104
	v_lshlrev_b64_e32 v[64:65], 3, v[64:65]
	s_wait_kmcnt 0x0
	v_add_co_u32 v44, vcc_lo, s4, v40
	s_wait_alu 0xfffd
	v_add_co_ci_u32_e64 v45, null, s5, v41, vcc_lo
	v_ashrrev_i32_e32 v91, 31, v90
	v_add_co_u32 v68, vcc_lo, s4, v64
	s_clause 0x1
	global_load_b128 v[40:43], v[44:45], off
	global_load_b128 v[44:47], v[44:45], off offset:16
	s_clause 0x3
	global_load_b128 v[48:51], v[17:18], off offset:4096
	global_load_b128 v[52:55], v[17:18], off offset:4112
	;; [unrolled: 1-line block ×4, first 2 shown]
	s_wait_alu 0xfffd
	v_add_co_ci_u32_e64 v69, null, s5, v65, vcc_lo
	v_lshlrev_b64_e32 v[90:91], 3, v[90:91]
	s_clause 0x1
	global_load_b128 v[64:67], v[68:69], off
	global_load_b128 v[68:71], v[68:69], off offset:16
	s_clause 0x3
	global_load_b128 v[72:75], v[17:18], off offset:8208
	global_load_b128 v[76:79], v[17:18], off offset:8192
	;; [unrolled: 1-line block ×4, first 2 shown]
	v_add_co_u32 v98, vcc_lo, s4, v90
	s_wait_alu 0xfffd
	v_add_co_ci_u32_e64 v99, null, s5, v91, vcc_lo
	s_wait_loadcnt 0xb
	v_fma_f64 v[13:14], v[88:89], v[40:41], v[13:14]
	global_load_b128 v[88:91], v[98:99], off
	v_fma_f64 v[15:16], v[92:93], v[40:41], v[15:16]
	v_fma_f64 v[11:12], v[94:95], v[40:41], v[11:12]
	;; [unrolled: 1-line block ×3, first 2 shown]
	v_cvt_f64_f32_e32 v[40:41], v26
	v_cvt_f64_f32_e32 v[92:93], v34
	;; [unrolled: 1-line block ×4, first 2 shown]
	s_wait_loadcnt 0x9
	v_cvt_f64_f32_e32 v[102:103], v52
	v_cvt_f64_f32_e32 v[52:53], v53
	v_fma_f64 v[24:25], v[24:25], v[42:43], v[13:14]
	v_fma_f64 v[15:16], v[28:29], v[42:43], v[15:16]
	v_cvt_f64_f32_e32 v[28:29], v30
	v_fma_f64 v[32:33], v[32:33], v[42:43], v[11:12]
	v_fma_f64 v[6:7], v[36:37], v[42:43], v[6:7]
	v_cvt_f64_f32_e32 v[36:37], v38
	global_load_b128 v[11:14], v[98:99], off offset:16
	v_cvt_f64_f32_e32 v[42:43], v27
	v_fma_f64 v[40:41], v[40:41], v[44:45], v[24:25]
	v_fma_f64 v[15:16], v[28:29], v[44:45], v[15:16]
	;; [unrolled: 1-line block ×4, first 2 shown]
	s_clause 0x3
	global_load_b128 v[24:27], v[17:18], off offset:12288
	global_load_b128 v[28:31], v[17:18], off offset:12304
	;; [unrolled: 1-line block ×4, first 2 shown]
	v_cvt_f64_f32_e32 v[44:45], v48
	v_cvt_f64_f32_e32 v[48:49], v49
	v_add_co_u32 v17, s3, 0x4000, v17
	s_wait_alu 0xf1ff
	v_add_co_ci_u32_e64 v18, null, 0, v18, s3
	v_fma_f64 v[98:99], v[42:43], v[46:47], v[40:41]
	v_lshlrev_b32_e32 v40, 2, v1
	v_fma_f64 v[15:16], v[94:95], v[46:47], v[15:16]
	s_wait_loadcnt 0xd
	v_cvt_f64_f32_e32 v[94:95], v56
	v_fma_f64 v[92:93], v[96:97], v[46:47], v[92:93]
	s_wait_loadcnt 0xc
	v_cvt_f64_f32_e32 v[96:97], v60
	v_fma_f64 v[6:7], v[100:101], v[46:47], v[6:7]
	v_ashrrev_i32_e32 v41, 31, v40
	v_cvt_f64_f32_e32 v[56:57], v57
	v_cvt_f64_f32_e32 v[60:61], v61
	s_delay_alu instid0(VALU_DEP_3) | instskip(NEXT) | instid1(VALU_DEP_1)
	v_lshlrev_b64_e32 v[40:41], 3, v[40:41]
	v_add_co_u32 v46, vcc_lo, s4, v40
	s_wait_alu 0xfffd
	s_delay_alu instid0(VALU_DEP_2)
	v_add_co_ci_u32_e64 v47, null, s5, v41, vcc_lo
	v_cmp_ge_i32_e32 vcc_lo, v19, v22
	global_load_b128 v[40:43], v[46:47], off
	s_wait_alu 0xfffe
	s_or_b32 s10, vcc_lo, s10
	s_wait_loadcnt 0xc
	v_fma_f64 v[44:45], v[44:45], v[64:65], v[98:99]
	v_fma_f64 v[15:16], v[102:103], v[64:65], v[15:16]
	v_fma_f64 v[92:93], v[94:95], v[64:65], v[92:93]
	v_fma_f64 v[6:7], v[96:97], v[64:65], v[6:7]
	v_cvt_f64_f32_e32 v[64:65], v50
	v_cvt_f64_f32_e32 v[50:51], v51
	v_fma_f64 v[48:49], v[48:49], v[66:67], v[44:45]
	global_load_b128 v[44:47], v[46:47], off offset:16
	v_fma_f64 v[15:16], v[52:53], v[66:67], v[15:16]
	v_cvt_f64_f32_e32 v[52:53], v54
	v_fma_f64 v[56:57], v[56:57], v[66:67], v[92:93]
	v_cvt_f64_f32_e32 v[92:93], v58
	;; [unrolled: 2-line block ×3, first 2 shown]
	v_cvt_f64_f32_e32 v[54:55], v55
	v_cvt_f64_f32_e32 v[58:59], v59
	;; [unrolled: 1-line block ×3, first 2 shown]
	s_wait_loadcnt 0x9
	v_cvt_f64_f32_e32 v[66:67], v80
	v_fma_f64 v[48:49], v[64:65], v[68:69], v[48:49]
	s_wait_loadcnt 0x8
	v_cvt_f64_f32_e32 v[64:65], v84
	v_fma_f64 v[15:16], v[52:53], v[68:69], v[15:16]
	v_fma_f64 v[52:53], v[92:93], v[68:69], v[56:57]
	v_cvt_f64_f32_e32 v[56:57], v76
	v_fma_f64 v[6:7], v[60:61], v[68:69], v[6:7]
	v_cvt_f64_f32_e32 v[60:61], v72
	v_fma_f64 v[48:49], v[50:51], v[70:71], v[48:49]
	v_fma_f64 v[15:16], v[54:55], v[70:71], v[15:16]
	v_cvt_f64_f32_e32 v[54:55], v73
	v_fma_f64 v[50:51], v[58:59], v[70:71], v[52:53]
	v_cvt_f64_f32_e32 v[52:53], v77
	;; [unrolled: 2-line block ×3, first 2 shown]
	v_cvt_f64_f32_e32 v[62:63], v81
	s_wait_loadcnt 0x7
	v_fma_f64 v[48:49], v[56:57], v[88:89], v[48:49]
	v_fma_f64 v[15:16], v[60:61], v[88:89], v[15:16]
	;; [unrolled: 1-line block ×4, first 2 shown]
	v_cvt_f64_f32_e32 v[56:57], v78
	v_cvt_f64_f32_e32 v[60:61], v74
	;; [unrolled: 1-line block ×4, first 2 shown]
	v_fma_f64 v[48:49], v[52:53], v[90:91], v[48:49]
	v_fma_f64 v[15:16], v[54:55], v[90:91], v[15:16]
	;; [unrolled: 1-line block ×4, first 2 shown]
	v_cvt_f64_f32_e32 v[52:53], v79
	v_cvt_f64_f32_e32 v[54:55], v75
	;; [unrolled: 1-line block ×4, first 2 shown]
	s_wait_loadcnt 0x6
	v_fma_f64 v[48:49], v[56:57], v[11:12], v[48:49]
	v_fma_f64 v[15:16], v[60:61], v[11:12], v[15:16]
	;; [unrolled: 1-line block ×4, first 2 shown]
	s_wait_loadcnt 0x5
	v_cvt_f64_f32_e32 v[11:12], v24
	s_wait_loadcnt 0x4
	v_cvt_f64_f32_e32 v[56:57], v28
	;; [unrolled: 2-line block ×4, first 2 shown]
	v_fma_f64 v[48:49], v[52:53], v[13:14], v[48:49]
	v_fma_f64 v[15:16], v[54:55], v[13:14], v[15:16]
	;; [unrolled: 1-line block ×4, first 2 shown]
	v_cvt_f64_f32_e32 v[13:14], v25
	v_cvt_f64_f32_e32 v[24:25], v29
	;; [unrolled: 1-line block ×5, first 2 shown]
	s_wait_loadcnt 0x1
	v_fma_f64 v[11:12], v[11:12], v[40:41], v[48:49]
	v_fma_f64 v[15:16], v[56:57], v[40:41], v[15:16]
	;; [unrolled: 1-line block ×4, first 2 shown]
	v_cvt_f64_f32_e32 v[40:41], v26
	v_cvt_f64_f32_e32 v[48:49], v30
	;; [unrolled: 1-line block ×3, first 2 shown]
	v_fma_f64 v[11:12], v[13:14], v[42:43], v[11:12]
	v_fma_f64 v[13:14], v[24:25], v[42:43], v[15:16]
	;; [unrolled: 1-line block ×4, first 2 shown]
	v_cvt_f64_f32_e32 v[24:25], v27
	v_cvt_f64_f32_e32 v[26:27], v31
	;; [unrolled: 1-line block ×4, first 2 shown]
	s_wait_loadcnt 0x0
	v_fma_f64 v[11:12], v[40:41], v[44:45], v[11:12]
	v_fma_f64 v[32:33], v[48:49], v[44:45], v[13:14]
	;; [unrolled: 1-line block ×4, first 2 shown]
	s_delay_alu instid0(VALU_DEP_4) | instskip(NEXT) | instid1(VALU_DEP_4)
	v_fma_f64 v[13:14], v[24:25], v[46:47], v[11:12]
	v_fma_f64 v[15:16], v[26:27], v[46:47], v[32:33]
	s_delay_alu instid0(VALU_DEP_4) | instskip(NEXT) | instid1(VALU_DEP_4)
	v_fma_f64 v[11:12], v[28:29], v[46:47], v[34:35]
	v_fma_f64 v[6:7], v[30:31], v[46:47], v[6:7]
	s_wait_alu 0xfffe
	s_and_not1_b32 exec_lo, exec_lo, s10
	s_cbranch_execnz .LBB154_21
; %bb.22:
	s_or_b32 exec_lo, exec_lo, s10
.LBB154_23:
	s_wait_alu 0xfffe
	s_or_b32 exec_lo, exec_lo, s7
.LBB154_24:
	s_wait_alu 0xfffe
	s_or_b32 exec_lo, exec_lo, s6
	s_cbranch_execz .LBB154_26
	s_branch .LBB154_37
.LBB154_25:
                                        ; implicit-def: $vgpr6_vgpr7
                                        ; implicit-def: $vgpr11_vgpr12
                                        ; implicit-def: $vgpr15_vgpr16
                                        ; implicit-def: $vgpr13_vgpr14
.LBB154_26:
	v_dual_mov_b32 v15, 0 :: v_dual_mov_b32 v6, 0
	v_dual_mov_b32 v11, 0 :: v_dual_mov_b32 v16, 0
	v_mov_b32_e32 v13, 0
	v_dual_mov_b32 v7, 0 :: v_dual_mov_b32 v12, 0
	v_mov_b32_e32 v14, 0
	s_and_saveexec_b32 s3, s2
	s_cbranch_execz .LBB154_36
; %bb.27:
	v_add_nc_u32_e32 v1, v23, v21
	v_mov_b32_e32 v13, 0
	v_dual_mov_b32 v14, 0 :: v_dual_mov_b32 v15, 0
	v_not_b32_e32 v6, v23
	s_delay_alu instid0(VALU_DEP_4) | instskip(SKIP_3) | instid1(VALU_DEP_3)
	v_subrev_nc_u32_e32 v1, s12, v1
	v_mov_b32_e32 v11, 0
	s_mov_b32 s2, exec_lo
	v_mov_b32_e32 v16, 0
	v_dual_mov_b32 v12, 0 :: v_dual_add_nc_u32 v1, 64, v1
	s_delay_alu instid0(VALU_DEP_1) | instskip(NEXT) | instid1(VALU_DEP_1)
	v_max_i32_e32 v1, v1, v22
	v_add3_u32 v1, s12, v1, v6
	v_mov_b32_e32 v6, 0
	v_mov_b32_e32 v7, 0
	s_delay_alu instid0(VALU_DEP_3) | instskip(NEXT) | instid1(VALU_DEP_1)
	v_sub_nc_u32_e32 v17, v1, v21
	v_and_b32_e32 v1, 0xc0, v17
	s_delay_alu instid0(VALU_DEP_1)
	v_cmpx_ne_u32_e32 0xc0, v1
	s_cbranch_execz .LBB154_31
; %bb.28:
	v_lshrrev_b32_e32 v1, 6, v17
	v_mov_b32_e32 v11, 0
	v_mov_b32_e32 v15, 0
	;; [unrolled: 1-line block ×3, first 2 shown]
	s_delay_alu instid0(VALU_DEP_4) | instskip(SKIP_3) | instid1(VALU_DEP_3)
	v_dual_mov_b32 v14, 0 :: v_dual_add_nc_u32 v1, 1, v1
	v_mov_b32_e32 v6, 0
	v_dual_mov_b32 v7, 0 :: v_dual_mov_b32 v16, 0
	s_mov_b32 s6, 0
	v_dual_mov_b32 v12, 0 :: v_dual_and_b32 v1, 3, v1
	s_delay_alu instid0(VALU_DEP_1)
	v_sub_nc_u32_e32 v18, 0, v1
.LBB154_29:                             ; =>This Inner Loop Header: Depth=1
	v_ashrrev_i32_e32 v1, 31, v0
	s_delay_alu instid0(VALU_DEP_2) | instskip(SKIP_2) | instid1(VALU_DEP_2)
	v_add_co_u32 v18, s7, v18, 1
	s_wait_alu 0xfffe
	s_or_b32 s6, s7, s6
	v_lshlrev_b64_e32 v[19:20], 2, v[0:1]
	v_add_nc_u32_e32 v0, 64, v0
	s_delay_alu instid0(VALU_DEP_2) | instskip(SKIP_1) | instid1(VALU_DEP_3)
	v_add_co_u32 v19, vcc_lo, s8, v19
	s_wait_alu 0xfffd
	v_add_co_ci_u32_e64 v20, null, s9, v20, vcc_lo
	global_load_b32 v1, v[19:20], off
	s_clause 0x1
	global_load_b128 v[23:26], v[4:5], off
	global_load_b128 v[27:30], v[4:5], off offset:16
	s_wait_loadcnt 0x2
	v_subrev_nc_u32_e32 v1, s12, v1
	s_wait_loadcnt 0x1
	v_cvt_f64_f32_e32 v[47:48], v25
	v_cvt_f64_f32_e32 v[25:26], v26
	s_wait_loadcnt 0x0
	v_cvt_f64_f32_e32 v[49:50], v27
	v_cvt_f64_f32_e32 v[27:28], v28
	v_lshlrev_b32_e32 v19, 2, v1
	v_cvt_f64_f32_e32 v[51:52], v29
	v_cvt_f64_f32_e32 v[29:30], v30
	s_delay_alu instid0(VALU_DEP_3) | instskip(NEXT) | instid1(VALU_DEP_1)
	v_ashrrev_i32_e32 v20, 31, v19
	v_lshlrev_b64_e32 v[19:20], 3, v[19:20]
	s_wait_kmcnt 0x0
	s_delay_alu instid0(VALU_DEP_1) | instskip(SKIP_1) | instid1(VALU_DEP_2)
	v_add_co_u32 v19, vcc_lo, s4, v19
	s_wait_alu 0xfffd
	v_add_co_ci_u32_e64 v20, null, s5, v20, vcc_lo
	s_clause 0x1
	global_load_b128 v[31:34], v[19:20], off
	global_load_b128 v[35:38], v[19:20], off offset:16
	s_clause 0x1
	global_load_b128 v[39:42], v[4:5], off offset:32
	global_load_b128 v[43:46], v[4:5], off offset:48
	v_cvt_f64_f32_e32 v[19:20], v23
	v_cvt_f64_f32_e32 v[23:24], v24
	v_add_co_u32 v4, vcc_lo, 0x1000, v4
	s_wait_alu 0xfffd
	v_add_co_ci_u32_e64 v5, null, 0, v5, vcc_lo
	s_wait_loadcnt 0x3
	s_delay_alu instid0(VALU_DEP_4) | instskip(NEXT) | instid1(VALU_DEP_4)
	v_fma_f64 v[13:14], v[19:20], v[31:32], v[13:14]
	v_fma_f64 v[15:16], v[23:24], v[31:32], v[15:16]
	;; [unrolled: 1-line block ×4, first 2 shown]
	s_wait_loadcnt 0x1
	v_cvt_f64_f32_e32 v[19:20], v39
	v_cvt_f64_f32_e32 v[23:24], v40
	;; [unrolled: 1-line block ×4, first 2 shown]
	s_wait_loadcnt 0x0
	v_cvt_f64_f32_e32 v[39:40], v46
	v_fma_f64 v[13:14], v[49:50], v[33:34], v[13:14]
	v_fma_f64 v[15:16], v[27:28], v[33:34], v[15:16]
	;; [unrolled: 1-line block ×4, first 2 shown]
	v_cvt_f64_f32_e32 v[27:28], v43
	v_cvt_f64_f32_e32 v[29:30], v44
	;; [unrolled: 1-line block ×3, first 2 shown]
	v_fma_f64 v[13:14], v[19:20], v[35:36], v[13:14]
	v_fma_f64 v[15:16], v[23:24], v[35:36], v[15:16]
	;; [unrolled: 1-line block ×4, first 2 shown]
	s_delay_alu instid0(VALU_DEP_4) | instskip(NEXT) | instid1(VALU_DEP_4)
	v_fma_f64 v[13:14], v[27:28], v[37:38], v[13:14]
	v_fma_f64 v[15:16], v[29:30], v[37:38], v[15:16]
	s_delay_alu instid0(VALU_DEP_4) | instskip(NEXT) | instid1(VALU_DEP_4)
	v_fma_f64 v[11:12], v[33:34], v[37:38], v[11:12]
	v_fma_f64 v[6:7], v[39:40], v[37:38], v[6:7]
	s_wait_alu 0xfffe
	s_and_not1_b32 exec_lo, exec_lo, s6
	s_cbranch_execnz .LBB154_29
; %bb.30:
	s_or_b32 exec_lo, exec_lo, s6
.LBB154_31:
	s_wait_alu 0xfffe
	s_or_b32 exec_lo, exec_lo, s2
	s_delay_alu instid0(SALU_CYCLE_1)
	s_mov_b32 s6, exec_lo
	v_cmpx_lt_u32_e32 0xbf, v17
	s_cbranch_execz .LBB154_35
; %bb.32:
	s_mov_b32 s7, 0
.LBB154_33:                             ; =>This Inner Loop Header: Depth=1
	v_ashrrev_i32_e32 v1, 31, v0
	s_delay_alu instid0(VALU_DEP_1) | instskip(SKIP_1) | instid1(VALU_DEP_2)
	v_lshlrev_b64_e32 v[17:18], 2, v[0:1]
	v_add_nc_u32_e32 v0, 0x100, v0
	v_add_co_u32 v23, vcc_lo, s8, v17
	s_wait_alu 0xfffd
	s_delay_alu instid0(VALU_DEP_3)
	v_add_co_ci_u32_e64 v24, null, s9, v18, vcc_lo
	s_clause 0x2
	global_load_b32 v1, v[23:24], off
	global_load_b32 v47, v[23:24], off offset:256
	global_load_b32 v71, v[23:24], off offset:512
	global_load_b128 v[17:20], v[4:5], off
	global_load_b32 v89, v[23:24], off offset:768
	s_wait_loadcnt 0x4
	v_subrev_nc_u32_e32 v1, s12, v1
	s_wait_loadcnt 0x1
	v_cvt_f64_f32_e32 v[75:76], v17
	v_cvt_f64_f32_e32 v[77:78], v18
	s_delay_alu instid0(VALU_DEP_3) | instskip(SKIP_3) | instid1(VALU_DEP_4)
	v_lshlrev_b32_e32 v23, 2, v1
	v_subrev_nc_u32_e32 v1, s12, v47
	v_cvt_f64_f32_e32 v[79:80], v19
	v_cvt_f64_f32_e32 v[81:82], v20
	v_ashrrev_i32_e32 v24, 31, v23
	s_delay_alu instid0(VALU_DEP_4) | instskip(SKIP_1) | instid1(VALU_DEP_3)
	v_lshlrev_b32_e32 v47, 2, v1
	v_subrev_nc_u32_e32 v1, s12, v71
	v_lshlrev_b64_e32 v[23:24], 3, v[23:24]
	s_delay_alu instid0(VALU_DEP_3) | instskip(NEXT) | instid1(VALU_DEP_3)
	v_ashrrev_i32_e32 v48, 31, v47
	v_lshlrev_b32_e32 v17, 2, v1
	s_wait_loadcnt 0x0
	v_subrev_nc_u32_e32 v1, s12, v89
	s_delay_alu instid0(VALU_DEP_3)
	v_lshlrev_b64_e32 v[47:48], 3, v[47:48]
	s_wait_kmcnt 0x0
	v_add_co_u32 v39, vcc_lo, s4, v23
	s_wait_alu 0xfffd
	v_add_co_ci_u32_e64 v40, null, s5, v24, vcc_lo
	v_ashrrev_i32_e32 v18, 31, v17
	global_load_b128 v[23:26], v[4:5], off offset:16
	global_load_b128 v[27:30], v[39:40], off
	s_clause 0x1
	global_load_b128 v[31:34], v[4:5], off offset:32
	global_load_b128 v[35:38], v[4:5], off offset:48
	global_load_b128 v[39:42], v[39:40], off offset:16
	global_load_b128 v[43:46], v[4:5], off offset:4096
	v_add_co_u32 v63, vcc_lo, s4, v47
	s_wait_alu 0xfffd
	v_add_co_ci_u32_e64 v64, null, s5, v48, vcc_lo
	global_load_b128 v[47:50], v[4:5], off offset:4112
	global_load_b128 v[51:54], v[63:64], off
	s_clause 0x1
	global_load_b128 v[55:58], v[4:5], off offset:4128
	global_load_b128 v[59:62], v[4:5], off offset:4144
	;; [unrolled: 1-line block ×4, first 2 shown]
	v_lshlrev_b64_e32 v[17:18], 3, v[17:18]
	s_delay_alu instid0(VALU_DEP_1) | instskip(SKIP_1) | instid1(VALU_DEP_2)
	v_add_co_u32 v83, vcc_lo, s4, v17
	s_wait_alu 0xfffd
	v_add_co_ci_u32_e64 v84, null, s5, v18, vcc_lo
	global_load_b128 v[17:20], v[4:5], off offset:8208
	global_load_b128 v[71:74], v[83:84], off
	s_wait_loadcnt 0xd
	v_cvt_f64_f32_e32 v[85:86], v23
	v_cvt_f64_f32_e32 v[23:24], v24
	;; [unrolled: 1-line block ×4, first 2 shown]
	s_wait_loadcnt 0xc
	v_fma_f64 v[75:76], v[75:76], v[27:28], v[13:14]
	v_fma_f64 v[15:16], v[77:78], v[27:28], v[15:16]
	;; [unrolled: 1-line block ×4, first 2 shown]
	global_load_b128 v[11:14], v[4:5], off offset:8224
	s_wait_loadcnt 0xc
	v_cvt_f64_f32_e32 v[79:80], v31
	v_cvt_f64_f32_e32 v[31:32], v32
	;; [unrolled: 1-line block ×4, first 2 shown]
	v_fma_f64 v[75:76], v[85:86], v[29:30], v[75:76]
	v_fma_f64 v[15:16], v[23:24], v[29:30], v[15:16]
	;; [unrolled: 1-line block ×4, first 2 shown]
	global_load_b128 v[23:26], v[4:5], off offset:8240
	global_load_b128 v[27:30], v[83:84], off offset:16
	s_wait_loadcnt 0xd
	v_cvt_f64_f32_e32 v[83:84], v35
	v_cvt_f64_f32_e32 v[35:36], v36
	v_cvt_f64_f32_e32 v[85:86], v37
	v_cvt_f64_f32_e32 v[37:38], v38
	s_wait_loadcnt 0xa
	v_cvt_f64_f32_e32 v[87:88], v49
	v_cvt_f64_f32_e32 v[49:50], v50
	v_fma_f64 v[75:76], v[79:80], v[39:40], v[75:76]
	v_fma_f64 v[15:16], v[31:32], v[39:40], v[15:16]
	;; [unrolled: 1-line block ×4, first 2 shown]
	global_load_b128 v[31:34], v[4:5], off offset:12288
	v_cvt_f64_f32_e32 v[79:80], v43
	v_cvt_f64_f32_e32 v[43:44], v44
	;; [unrolled: 1-line block ×4, first 2 shown]
	v_lshlrev_b32_e32 v39, 2, v1
	s_delay_alu instid0(VALU_DEP_1)
	v_ashrrev_i32_e32 v40, 31, v39
	v_fma_f64 v[75:76], v[83:84], v[41:42], v[75:76]
	v_fma_f64 v[15:16], v[35:36], v[41:42], v[15:16]
	;; [unrolled: 1-line block ×4, first 2 shown]
	v_lshlrev_b64_e32 v[35:36], 3, v[39:40]
	v_cvt_f64_f32_e32 v[85:86], v47
	v_cvt_f64_f32_e32 v[47:48], v48
	s_delay_alu instid0(VALU_DEP_3) | instskip(SKIP_1) | instid1(VALU_DEP_4)
	v_add_co_u32 v83, vcc_lo, s4, v35
	s_wait_alu 0xfffd
	v_add_co_ci_u32_e64 v84, null, s5, v36, vcc_lo
	global_load_b128 v[35:38], v[4:5], off offset:12304
	global_load_b128 v[39:42], v[83:84], off
	v_cmp_ge_i32_e32 vcc_lo, v0, v22
	s_wait_alu 0xfffe
	s_or_b32 s7, vcc_lo, s7
	s_wait_loadcnt 0xc
	v_fma_f64 v[75:76], v[79:80], v[51:52], v[75:76]
	v_fma_f64 v[15:16], v[43:44], v[51:52], v[15:16]
	;; [unrolled: 1-line block ×4, first 2 shown]
	global_load_b128 v[43:46], v[4:5], off offset:12320
	s_wait_loadcnt 0xc
	v_cvt_f64_f32_e32 v[79:80], v55
	v_cvt_f64_f32_e32 v[55:56], v56
	v_cvt_f64_f32_e32 v[81:82], v57
	v_cvt_f64_f32_e32 v[57:58], v58
	v_fma_f64 v[75:76], v[85:86], v[53:54], v[75:76]
	v_fma_f64 v[15:16], v[47:48], v[53:54], v[15:16]
	;; [unrolled: 1-line block ×4, first 2 shown]
	global_load_b128 v[47:50], v[4:5], off offset:12336
	global_load_b128 v[51:54], v[83:84], off offset:16
	s_wait_loadcnt 0xd
	v_cvt_f64_f32_e32 v[83:84], v59
	v_cvt_f64_f32_e32 v[59:60], v60
	;; [unrolled: 1-line block ×4, first 2 shown]
	v_add_co_u32 v4, s2, 0x4000, v4
	s_wait_alu 0xf1ff
	v_add_co_ci_u32_e64 v5, null, 0, v5, s2
	s_wait_loadcnt 0xc
	v_fma_f64 v[75:76], v[79:80], v[63:64], v[75:76]
	v_fma_f64 v[15:16], v[55:56], v[63:64], v[15:16]
	v_fma_f64 v[55:56], v[81:82], v[63:64], v[77:78]
	v_fma_f64 v[6:7], v[57:58], v[63:64], v[6:7]
	s_wait_loadcnt 0xb
	v_cvt_f64_f32_e32 v[57:58], v67
	v_cvt_f64_f32_e32 v[63:64], v68
	v_cvt_f64_f32_e32 v[67:68], v69
	v_cvt_f64_f32_e32 v[69:70], v70
	v_fma_f64 v[75:76], v[83:84], v[65:66], v[75:76]
	v_fma_f64 v[15:16], v[59:60], v[65:66], v[15:16]
	v_fma_f64 v[55:56], v[85:86], v[65:66], v[55:56]
	v_fma_f64 v[6:7], v[61:62], v[65:66], v[6:7]
	s_wait_loadcnt 0xa
	v_cvt_f64_f32_e32 v[59:60], v17
	v_cvt_f64_f32_e32 v[17:18], v18
	v_cvt_f64_f32_e32 v[61:62], v19
	v_cvt_f64_f32_e32 v[19:20], v20
	s_wait_loadcnt 0x9
	v_fma_f64 v[57:58], v[57:58], v[71:72], v[75:76]
	v_fma_f64 v[15:16], v[63:64], v[71:72], v[15:16]
	v_fma_f64 v[55:56], v[67:68], v[71:72], v[55:56]
	v_fma_f64 v[6:7], v[69:70], v[71:72], v[6:7]
	s_wait_loadcnt 0x8
	v_cvt_f64_f32_e32 v[63:64], v11
	v_cvt_f64_f32_e32 v[11:12], v12
	v_cvt_f64_f32_e32 v[65:66], v13
	v_cvt_f64_f32_e32 v[13:14], v14
	v_fma_f64 v[57:58], v[59:60], v[73:74], v[57:58]
	v_fma_f64 v[15:16], v[17:18], v[73:74], v[15:16]
	v_fma_f64 v[17:18], v[61:62], v[73:74], v[55:56]
	v_fma_f64 v[6:7], v[19:20], v[73:74], v[6:7]
	s_wait_loadcnt 0x7
	v_cvt_f64_f32_e32 v[19:20], v23
	v_cvt_f64_f32_e32 v[23:24], v24
	v_cvt_f64_f32_e32 v[55:56], v25
	v_cvt_f64_f32_e32 v[25:26], v26
	;; [unrolled: 19-line block ×4, first 2 shown]
	s_wait_loadcnt 0x0
	v_fma_f64 v[13:14], v[17:18], v[51:52], v[13:14]
	v_fma_f64 v[11:12], v[19:20], v[51:52], v[11:12]
	;; [unrolled: 1-line block ×4, first 2 shown]
	s_delay_alu instid0(VALU_DEP_4) | instskip(NEXT) | instid1(VALU_DEP_4)
	v_fma_f64 v[13:14], v[23:24], v[53:54], v[13:14]
	v_fma_f64 v[15:16], v[25:26], v[53:54], v[11:12]
	s_delay_alu instid0(VALU_DEP_4) | instskip(NEXT) | instid1(VALU_DEP_4)
	v_fma_f64 v[11:12], v[29:30], v[53:54], v[17:18]
	v_fma_f64 v[6:7], v[33:34], v[53:54], v[6:7]
	s_wait_alu 0xfffe
	s_and_not1_b32 exec_lo, exec_lo, s7
	s_cbranch_execnz .LBB154_33
; %bb.34:
	s_or_b32 exec_lo, exec_lo, s7
.LBB154_35:
	s_wait_alu 0xfffe
	s_or_b32 exec_lo, exec_lo, s6
.LBB154_36:
	s_wait_alu 0xfffe
	s_or_b32 exec_lo, exec_lo, s3
.LBB154_37:
	v_mbcnt_lo_u32_b32 v24, -1, 0
	s_delay_alu instid0(VALU_DEP_1) | instskip(NEXT) | instid1(VALU_DEP_1)
	v_or_b32_e32 v0, 32, v24
	v_cmp_gt_i32_e32 vcc_lo, 32, v0
	s_wait_alu 0xfffd
	v_cndmask_b32_e32 v0, v24, v0, vcc_lo
	s_delay_alu instid0(VALU_DEP_1)
	v_lshlrev_b32_e32 v20, 2, v0
	ds_bpermute_b32 v0, v20, v13
	ds_bpermute_b32 v1, v20, v14
	s_wait_dscnt 0x0
	v_add_f64_e32 v[0:1], v[13:14], v[0:1]
	v_xor_b32_e32 v13, 16, v24
	s_delay_alu instid0(VALU_DEP_1)
	v_cmp_gt_i32_e32 vcc_lo, 32, v13
	s_wait_alu 0xfffd
	v_cndmask_b32_e32 v13, v24, v13, vcc_lo
	ds_bpermute_b32 v4, v20, v15
	ds_bpermute_b32 v5, v20, v16
	;; [unrolled: 1-line block ×6, first 2 shown]
	s_wait_dscnt 0x4
	v_add_f64_e32 v[4:5], v[15:16], v[4:5]
	s_wait_dscnt 0x2
	v_add_f64_e32 v[11:12], v[11:12], v[17:18]
	;; [unrolled: 2-line block ×3, first 2 shown]
	v_lshlrev_b32_e32 v20, 2, v13
	ds_bpermute_b32 v13, v20, v0
	ds_bpermute_b32 v14, v20, v1
	s_wait_dscnt 0x0
	v_add_f64_e32 v[0:1], v[0:1], v[13:14]
	v_xor_b32_e32 v13, 8, v24
	s_delay_alu instid0(VALU_DEP_1)
	v_cmp_gt_i32_e32 vcc_lo, 32, v13
	ds_bpermute_b32 v15, v20, v4
	ds_bpermute_b32 v16, v20, v5
	;; [unrolled: 1-line block ×6, first 2 shown]
	s_wait_alu 0xfffd
	v_cndmask_b32_e32 v13, v24, v13, vcc_lo
	s_wait_dscnt 0x4
	v_add_f64_e32 v[4:5], v[4:5], v[15:16]
	s_wait_dscnt 0x2
	v_add_f64_e32 v[11:12], v[11:12], v[17:18]
	;; [unrolled: 2-line block ×3, first 2 shown]
	v_lshlrev_b32_e32 v20, 2, v13
	ds_bpermute_b32 v13, v20, v0
	ds_bpermute_b32 v14, v20, v1
	s_wait_dscnt 0x0
	v_add_f64_e32 v[0:1], v[0:1], v[13:14]
	v_xor_b32_e32 v13, 4, v24
	s_delay_alu instid0(VALU_DEP_1)
	v_cmp_gt_i32_e32 vcc_lo, 32, v13
	ds_bpermute_b32 v15, v20, v4
	ds_bpermute_b32 v16, v20, v5
	;; [unrolled: 1-line block ×6, first 2 shown]
	s_wait_alu 0xfffd
	v_cndmask_b32_e32 v13, v24, v13, vcc_lo
	s_wait_dscnt 0x4
	v_add_f64_e32 v[4:5], v[4:5], v[15:16]
	s_wait_dscnt 0x2
	v_add_f64_e32 v[11:12], v[11:12], v[17:18]
	;; [unrolled: 2-line block ×3, first 2 shown]
	v_lshlrev_b32_e32 v20, 2, v13
	ds_bpermute_b32 v13, v20, v0
	ds_bpermute_b32 v14, v20, v1
	s_wait_dscnt 0x0
	v_add_f64_e32 v[0:1], v[0:1], v[13:14]
	ds_bpermute_b32 v15, v20, v4
	ds_bpermute_b32 v16, v20, v5
	;; [unrolled: 1-line block ×6, first 2 shown]
	s_wait_dscnt 0x4
	v_add_f64_e32 v[4:5], v[4:5], v[15:16]
	s_wait_dscnt 0x2
	v_add_f64_e32 v[13:14], v[11:12], v[17:18]
	s_wait_dscnt 0x0
	v_add_f64_e32 v[15:16], v[6:7], v[19:20]
	v_xor_b32_e32 v6, 2, v24
	s_delay_alu instid0(VALU_DEP_1) | instskip(SKIP_2) | instid1(VALU_DEP_1)
	v_cmp_gt_i32_e32 vcc_lo, 32, v6
	s_wait_alu 0xfffd
	v_cndmask_b32_e32 v6, v24, v6, vcc_lo
	v_lshlrev_b32_e32 v11, 2, v6
	ds_bpermute_b32 v6, v11, v0
	ds_bpermute_b32 v7, v11, v1
	;; [unrolled: 1-line block ×8, first 2 shown]
	s_wait_dscnt 0x6
	v_add_f64_e32 v[11:12], v[0:1], v[6:7]
	s_wait_dscnt 0x4
	v_add_f64_e32 v[6:7], v[4:5], v[17:18]
	;; [unrolled: 2-line block ×3, first 2 shown]
	v_xor_b32_e32 v13, 1, v24
	s_wait_dscnt 0x0
	v_add_f64_e32 v[4:5], v[15:16], v[22:23]
	s_delay_alu instid0(VALU_DEP_2) | instskip(SKIP_3) | instid1(VALU_DEP_2)
	v_cmp_gt_i32_e32 vcc_lo, 32, v13
	s_wait_alu 0xfffd
	v_cndmask_b32_e32 v13, v24, v13, vcc_lo
	v_cmp_eq_u32_e32 vcc_lo, 63, v21
	v_lshlrev_b32_e32 v14, 2, v13
	ds_bpermute_b32 v19, v14, v11
	ds_bpermute_b32 v20, v14, v12
	;; [unrolled: 1-line block ×8, first 2 shown]
	s_and_b32 exec_lo, exec_lo, vcc_lo
	s_cbranch_execz .LBB154_10
; %bb.38:
	s_wait_dscnt 0x6
	v_add_f64_e32 v[11:12], v[11:12], v[19:20]
	s_wait_dscnt 0x4
	v_add_f64_e32 v[6:7], v[6:7], v[17:18]
	;; [unrolled: 2-line block ×4, first 2 shown]
	s_load_b64 s[0:1], s[0:1], 0x50
	v_lshlrev_b32_e32 v10, 2, v10
	s_mov_b32 s2, exec_lo
	v_mul_f64_e32 v[4:5], v[2:3], v[11:12]
	v_mul_f64_e32 v[6:7], v[2:3], v[6:7]
	;; [unrolled: 1-line block ×4, first 2 shown]
	v_cmpx_eq_f64_e32 0, v[8:9]
	s_wait_alu 0xfffe
	s_xor_b32 s2, exec_lo, s2
	s_cbranch_execz .LBB154_40
; %bb.39:
	v_ashrrev_i32_e32 v11, 31, v10
	s_delay_alu instid0(VALU_DEP_1) | instskip(SKIP_1) | instid1(VALU_DEP_1)
	v_lshlrev_b64_e32 v[8:9], 3, v[10:11]
                                        ; implicit-def: $vgpr10
	s_wait_kmcnt 0x0
	v_add_co_u32 v8, vcc_lo, s0, v8
	s_wait_alu 0xfffd
	s_delay_alu instid0(VALU_DEP_2)
	v_add_co_ci_u32_e64 v9, null, s1, v9, vcc_lo
	s_clause 0x1
	global_store_b128 v[8:9], v[4:7], off
	global_store_b128 v[8:9], v[0:3], off offset:16
                                        ; implicit-def: $vgpr8_vgpr9
                                        ; implicit-def: $vgpr4_vgpr5
                                        ; implicit-def: $vgpr0_vgpr1
.LBB154_40:
	s_wait_alu 0xfffe
	s_and_not1_saveexec_b32 s2, s2
	s_cbranch_execz .LBB154_10
; %bb.41:
	v_ashrrev_i32_e32 v11, 31, v10
	s_delay_alu instid0(VALU_DEP_1) | instskip(SKIP_1) | instid1(VALU_DEP_1)
	v_lshlrev_b64_e32 v[10:11], 3, v[10:11]
	s_wait_kmcnt 0x0
	v_add_co_u32 v18, vcc_lo, s0, v10
	s_wait_alu 0xfffd
	s_delay_alu instid0(VALU_DEP_2)
	v_add_co_ci_u32_e64 v19, null, s1, v11, vcc_lo
	s_clause 0x1
	global_load_b128 v[10:13], v[18:19], off
	global_load_b128 v[14:17], v[18:19], off offset:16
	s_wait_loadcnt 0x1
	v_fma_f64 v[4:5], v[8:9], v[10:11], v[4:5]
	v_fma_f64 v[6:7], v[8:9], v[12:13], v[6:7]
	s_wait_loadcnt 0x0
	v_fma_f64 v[0:1], v[8:9], v[14:15], v[0:1]
	v_fma_f64 v[2:3], v[8:9], v[16:17], v[2:3]
	s_clause 0x1
	global_store_b128 v[18:19], v[4:7], off
	global_store_b128 v[18:19], v[0:3], off offset:16
	s_nop 0
	s_sendmsg sendmsg(MSG_DEALLOC_VGPRS)
	s_endpgm
	.section	.rodata,"a",@progbits
	.p2align	6, 0x0
	.amdhsa_kernel _ZN9rocsparseL18bsrxmvn_4x4_kernelILj128ELj64EdiifddEEvT3_20rocsparse_direction_NS_24const_host_device_scalarIT1_EES1_PKS1_PKT2_SA_S7_PKT4_PKT5_S5_PT6_21rocsparse_index_base_b
		.amdhsa_group_segment_fixed_size 0
		.amdhsa_private_segment_fixed_size 0
		.amdhsa_kernarg_size 96
		.amdhsa_user_sgpr_count 2
		.amdhsa_user_sgpr_dispatch_ptr 0
		.amdhsa_user_sgpr_queue_ptr 0
		.amdhsa_user_sgpr_kernarg_segment_ptr 1
		.amdhsa_user_sgpr_dispatch_id 0
		.amdhsa_user_sgpr_private_segment_size 0
		.amdhsa_wavefront_size32 1
		.amdhsa_uses_dynamic_stack 0
		.amdhsa_enable_private_segment 0
		.amdhsa_system_sgpr_workgroup_id_x 1
		.amdhsa_system_sgpr_workgroup_id_y 0
		.amdhsa_system_sgpr_workgroup_id_z 0
		.amdhsa_system_sgpr_workgroup_info 0
		.amdhsa_system_vgpr_workitem_id 0
		.amdhsa_next_free_vgpr 105
		.amdhsa_next_free_sgpr 14
		.amdhsa_reserve_vcc 1
		.amdhsa_float_round_mode_32 0
		.amdhsa_float_round_mode_16_64 0
		.amdhsa_float_denorm_mode_32 3
		.amdhsa_float_denorm_mode_16_64 3
		.amdhsa_fp16_overflow 0
		.amdhsa_workgroup_processor_mode 1
		.amdhsa_memory_ordered 1
		.amdhsa_forward_progress 1
		.amdhsa_inst_pref_size 48
		.amdhsa_round_robin_scheduling 0
		.amdhsa_exception_fp_ieee_invalid_op 0
		.amdhsa_exception_fp_denorm_src 0
		.amdhsa_exception_fp_ieee_div_zero 0
		.amdhsa_exception_fp_ieee_overflow 0
		.amdhsa_exception_fp_ieee_underflow 0
		.amdhsa_exception_fp_ieee_inexact 0
		.amdhsa_exception_int_div_zero 0
	.end_amdhsa_kernel
	.section	.text._ZN9rocsparseL18bsrxmvn_4x4_kernelILj128ELj64EdiifddEEvT3_20rocsparse_direction_NS_24const_host_device_scalarIT1_EES1_PKS1_PKT2_SA_S7_PKT4_PKT5_S5_PT6_21rocsparse_index_base_b,"axG",@progbits,_ZN9rocsparseL18bsrxmvn_4x4_kernelILj128ELj64EdiifddEEvT3_20rocsparse_direction_NS_24const_host_device_scalarIT1_EES1_PKS1_PKT2_SA_S7_PKT4_PKT5_S5_PT6_21rocsparse_index_base_b,comdat
.Lfunc_end154:
	.size	_ZN9rocsparseL18bsrxmvn_4x4_kernelILj128ELj64EdiifddEEvT3_20rocsparse_direction_NS_24const_host_device_scalarIT1_EES1_PKS1_PKT2_SA_S7_PKT4_PKT5_S5_PT6_21rocsparse_index_base_b, .Lfunc_end154-_ZN9rocsparseL18bsrxmvn_4x4_kernelILj128ELj64EdiifddEEvT3_20rocsparse_direction_NS_24const_host_device_scalarIT1_EES1_PKS1_PKT2_SA_S7_PKT4_PKT5_S5_PT6_21rocsparse_index_base_b
                                        ; -- End function
	.set _ZN9rocsparseL18bsrxmvn_4x4_kernelILj128ELj64EdiifddEEvT3_20rocsparse_direction_NS_24const_host_device_scalarIT1_EES1_PKS1_PKT2_SA_S7_PKT4_PKT5_S5_PT6_21rocsparse_index_base_b.num_vgpr, 105
	.set _ZN9rocsparseL18bsrxmvn_4x4_kernelILj128ELj64EdiifddEEvT3_20rocsparse_direction_NS_24const_host_device_scalarIT1_EES1_PKS1_PKT2_SA_S7_PKT4_PKT5_S5_PT6_21rocsparse_index_base_b.num_agpr, 0
	.set _ZN9rocsparseL18bsrxmvn_4x4_kernelILj128ELj64EdiifddEEvT3_20rocsparse_direction_NS_24const_host_device_scalarIT1_EES1_PKS1_PKT2_SA_S7_PKT4_PKT5_S5_PT6_21rocsparse_index_base_b.numbered_sgpr, 14
	.set _ZN9rocsparseL18bsrxmvn_4x4_kernelILj128ELj64EdiifddEEvT3_20rocsparse_direction_NS_24const_host_device_scalarIT1_EES1_PKS1_PKT2_SA_S7_PKT4_PKT5_S5_PT6_21rocsparse_index_base_b.num_named_barrier, 0
	.set _ZN9rocsparseL18bsrxmvn_4x4_kernelILj128ELj64EdiifddEEvT3_20rocsparse_direction_NS_24const_host_device_scalarIT1_EES1_PKS1_PKT2_SA_S7_PKT4_PKT5_S5_PT6_21rocsparse_index_base_b.private_seg_size, 0
	.set _ZN9rocsparseL18bsrxmvn_4x4_kernelILj128ELj64EdiifddEEvT3_20rocsparse_direction_NS_24const_host_device_scalarIT1_EES1_PKS1_PKT2_SA_S7_PKT4_PKT5_S5_PT6_21rocsparse_index_base_b.uses_vcc, 1
	.set _ZN9rocsparseL18bsrxmvn_4x4_kernelILj128ELj64EdiifddEEvT3_20rocsparse_direction_NS_24const_host_device_scalarIT1_EES1_PKS1_PKT2_SA_S7_PKT4_PKT5_S5_PT6_21rocsparse_index_base_b.uses_flat_scratch, 0
	.set _ZN9rocsparseL18bsrxmvn_4x4_kernelILj128ELj64EdiifddEEvT3_20rocsparse_direction_NS_24const_host_device_scalarIT1_EES1_PKS1_PKT2_SA_S7_PKT4_PKT5_S5_PT6_21rocsparse_index_base_b.has_dyn_sized_stack, 0
	.set _ZN9rocsparseL18bsrxmvn_4x4_kernelILj128ELj64EdiifddEEvT3_20rocsparse_direction_NS_24const_host_device_scalarIT1_EES1_PKS1_PKT2_SA_S7_PKT4_PKT5_S5_PT6_21rocsparse_index_base_b.has_recursion, 0
	.set _ZN9rocsparseL18bsrxmvn_4x4_kernelILj128ELj64EdiifddEEvT3_20rocsparse_direction_NS_24const_host_device_scalarIT1_EES1_PKS1_PKT2_SA_S7_PKT4_PKT5_S5_PT6_21rocsparse_index_base_b.has_indirect_call, 0
	.section	.AMDGPU.csdata,"",@progbits
; Kernel info:
; codeLenInByte = 6068
; TotalNumSgprs: 16
; NumVgprs: 105
; ScratchSize: 0
; MemoryBound: 0
; FloatMode: 240
; IeeeMode: 1
; LDSByteSize: 0 bytes/workgroup (compile time only)
; SGPRBlocks: 0
; VGPRBlocks: 13
; NumSGPRsForWavesPerEU: 16
; NumVGPRsForWavesPerEU: 105
; Occupancy: 12
; WaveLimiterHint : 1
; COMPUTE_PGM_RSRC2:SCRATCH_EN: 0
; COMPUTE_PGM_RSRC2:USER_SGPR: 2
; COMPUTE_PGM_RSRC2:TRAP_HANDLER: 0
; COMPUTE_PGM_RSRC2:TGID_X_EN: 1
; COMPUTE_PGM_RSRC2:TGID_Y_EN: 0
; COMPUTE_PGM_RSRC2:TGID_Z_EN: 0
; COMPUTE_PGM_RSRC2:TIDIG_COMP_CNT: 0
	.section	.text._ZN9rocsparseL18bsrxmvn_4x4_kernelILj128ELj4EdlifddEEvT3_20rocsparse_direction_NS_24const_host_device_scalarIT1_EES1_PKS1_PKT2_SA_S7_PKT4_PKT5_S5_PT6_21rocsparse_index_base_b,"axG",@progbits,_ZN9rocsparseL18bsrxmvn_4x4_kernelILj128ELj4EdlifddEEvT3_20rocsparse_direction_NS_24const_host_device_scalarIT1_EES1_PKS1_PKT2_SA_S7_PKT4_PKT5_S5_PT6_21rocsparse_index_base_b,comdat
	.globl	_ZN9rocsparseL18bsrxmvn_4x4_kernelILj128ELj4EdlifddEEvT3_20rocsparse_direction_NS_24const_host_device_scalarIT1_EES1_PKS1_PKT2_SA_S7_PKT4_PKT5_S5_PT6_21rocsparse_index_base_b ; -- Begin function _ZN9rocsparseL18bsrxmvn_4x4_kernelILj128ELj4EdlifddEEvT3_20rocsparse_direction_NS_24const_host_device_scalarIT1_EES1_PKS1_PKT2_SA_S7_PKT4_PKT5_S5_PT6_21rocsparse_index_base_b
	.p2align	8
	.type	_ZN9rocsparseL18bsrxmvn_4x4_kernelILj128ELj4EdlifddEEvT3_20rocsparse_direction_NS_24const_host_device_scalarIT1_EES1_PKS1_PKT2_SA_S7_PKT4_PKT5_S5_PT6_21rocsparse_index_base_b,@function
_ZN9rocsparseL18bsrxmvn_4x4_kernelILj128ELj4EdlifddEEvT3_20rocsparse_direction_NS_24const_host_device_scalarIT1_EES1_PKS1_PKT2_SA_S7_PKT4_PKT5_S5_PT6_21rocsparse_index_base_b: ; @_ZN9rocsparseL18bsrxmvn_4x4_kernelILj128ELj4EdlifddEEvT3_20rocsparse_direction_NS_24const_host_device_scalarIT1_EES1_PKS1_PKT2_SA_S7_PKT4_PKT5_S5_PT6_21rocsparse_index_base_b
; %bb.0:
	s_clause 0x2
	s_load_b64 s[12:13], s[0:1], 0x58
	s_load_b64 s[4:5], s[0:1], 0x8
	;; [unrolled: 1-line block ×3, first 2 shown]
	s_wait_kmcnt 0x0
	s_bitcmp1_b32 s13, 0
	v_dual_mov_b32 v2, s4 :: v_dual_mov_b32 v3, s5
	s_cselect_b32 s6, -1, 0
	s_delay_alu instid0(SALU_CYCLE_1)
	s_and_b32 vcc_lo, exec_lo, s6
	s_xor_b32 s6, s6, -1
	s_cbranch_vccnz .LBB155_2
; %bb.1:
	v_dual_mov_b32 v1, s4 :: v_dual_mov_b32 v2, s5
	flat_load_b64 v[2:3], v[1:2]
.LBB155_2:
	v_dual_mov_b32 v9, s3 :: v_dual_mov_b32 v8, s2
	s_and_not1_b32 vcc_lo, exec_lo, s6
	s_cbranch_vccnz .LBB155_4
; %bb.3:
	v_dual_mov_b32 v5, s3 :: v_dual_mov_b32 v4, s2
	flat_load_b64 v[8:9], v[4:5]
.LBB155_4:
	s_wait_loadcnt_dscnt 0x0
	v_cmp_neq_f64_e32 vcc_lo, 0, v[2:3]
	v_cmp_neq_f64_e64 s2, 1.0, v[8:9]
	s_or_b32 s2, vcc_lo, s2
	s_wait_alu 0xfffe
	s_and_saveexec_b32 s3, s2
	s_cbranch_execz .LBB155_10
; %bb.5:
	s_clause 0x1
	s_load_b64 s[4:5], s[0:1], 0x18
	s_load_b64 s[2:3], s[0:1], 0x0
	v_lshrrev_b32_e32 v1, 2, v0
	s_delay_alu instid0(VALU_DEP_1)
	v_lshl_or_b32 v10, ttmp9, 5, v1
	s_wait_kmcnt 0x0
	s_cmp_lg_u64 s[4:5], 0
	s_cbranch_scc0 .LBB155_11
; %bb.6:
	s_load_b32 s6, s[0:1], 0x10
	s_mov_b32 s7, 0
                                        ; implicit-def: $vgpr1
	s_wait_kmcnt 0x0
	v_cmp_gt_i32_e32 vcc_lo, s6, v10
	s_mov_b32 s6, 0
	s_and_saveexec_b32 s8, vcc_lo
	s_delay_alu instid0(SALU_CYCLE_1)
	s_xor_b32 s8, exec_lo, s8
	s_cbranch_execz .LBB155_8
; %bb.7:
	v_ashrrev_i32_e32 v11, 31, v10
	s_mov_b32 s6, exec_lo
	s_delay_alu instid0(VALU_DEP_1) | instskip(NEXT) | instid1(VALU_DEP_1)
	v_lshlrev_b64_e32 v[4:5], 2, v[10:11]
	v_add_co_u32 v4, vcc_lo, s4, v4
	s_delay_alu instid0(VALU_DEP_1)
	v_add_co_ci_u32_e64 v5, null, s5, v5, vcc_lo
	global_load_b32 v1, v[4:5], off
	s_wait_loadcnt 0x0
	v_subrev_nc_u32_e32 v1, s12, v1
.LBB155_8:
	s_or_b32 exec_lo, exec_lo, s8
	s_delay_alu instid0(SALU_CYCLE_1)
	s_and_b32 vcc_lo, exec_lo, s7
	s_wait_alu 0xfffe
	s_cbranch_vccz .LBB155_12
.LBB155_9:
	v_cmp_gt_i32_e32 vcc_lo, s2, v10
	s_and_not1_b32 s2, s6, exec_lo
	s_and_b32 s4, vcc_lo, exec_lo
	s_wait_alu 0xfffe
	s_or_b32 s6, s2, s4
	s_wait_alu 0xfffe
	s_and_b32 exec_lo, exec_lo, s6
	s_cbranch_execnz .LBB155_13
.LBB155_10:
	s_nop 0
	s_sendmsg sendmsg(MSG_DEALLOC_VGPRS)
	s_endpgm
.LBB155_11:
	s_mov_b32 s6, 0
                                        ; implicit-def: $vgpr1
	s_cbranch_execnz .LBB155_9
.LBB155_12:
	v_mov_b32_e32 v10, v1
	s_and_b32 exec_lo, exec_lo, s6
	s_cbranch_execz .LBB155_10
.LBB155_13:
	s_load_b256 s[4:11], s[0:1], 0x20
	s_delay_alu instid0(VALU_DEP_1) | instskip(SKIP_1) | instid1(VALU_DEP_2)
	v_ashrrev_i32_e32 v11, 31, v10
	v_and_b32_e32 v31, 3, v0
	v_lshlrev_b64_e32 v[4:5], 3, v[10:11]
	s_wait_kmcnt 0x0
	s_delay_alu instid0(VALU_DEP_1) | instskip(SKIP_1) | instid1(VALU_DEP_2)
	v_add_co_u32 v6, vcc_lo, s4, v4
	s_wait_alu 0xfffd
	v_add_co_ci_u32_e64 v7, null, s5, v5, vcc_lo
	v_add_co_u32 v1, vcc_lo, s6, v4
	s_wait_alu 0xfffd
	v_add_co_ci_u32_e64 v4, null, s7, v5, vcc_lo
	v_add_co_u32 v11, vcc_lo, v6, 8
	global_load_b64 v[19:20], v[6:7], off
	s_wait_alu 0xfffd
	v_add_co_ci_u32_e64 v5, null, 0, v7, vcc_lo
	s_cmp_eq_u64 s[6:7], 0
	s_load_b64 s[4:5], s[0:1], 0x40
	s_cselect_b32 vcc_lo, -1, 0
	s_cmp_eq_u32 s3, 1
	s_wait_alu 0xfffe
	v_dual_cndmask_b32 v5, v4, v5 :: v_dual_cndmask_b32 v4, v1, v11
	global_load_b64 v[4:5], v[4:5], off
	s_wait_loadcnt 0x1
	v_sub_co_u32 v0, vcc_lo, v19, s12
	s_wait_alu 0xfffd
	v_subrev_co_ci_u32_e64 v1, null, 0, v20, vcc_lo
	s_delay_alu instid0(VALU_DEP_2) | instskip(SKIP_1) | instid1(VALU_DEP_2)
	v_add_co_u32 v0, vcc_lo, v0, v31
	s_wait_alu 0xfffd
	v_add_co_ci_u32_e64 v1, null, 0, v1, vcc_lo
	s_delay_alu instid0(VALU_DEP_1) | instskip(SKIP_4) | instid1(VALU_DEP_3)
	v_lshlrev_b64_e32 v[6:7], 6, v[0:1]
	s_wait_loadcnt 0x0
	v_sub_co_u32 v4, vcc_lo, v4, s12
	s_wait_alu 0xfffd
	v_subrev_co_ci_u32_e64 v5, null, 0, v5, vcc_lo
	v_add_co_u32 v6, vcc_lo, s10, v6
	s_delay_alu instid0(VALU_DEP_2)
	v_cmp_lt_i64_e64 s2, v[0:1], v[4:5]
	s_wait_alu 0xfffd
	v_add_co_ci_u32_e64 v7, null, s11, v7, vcc_lo
	s_cbranch_scc1 .LBB155_25
; %bb.14:
	v_mov_b32_e32 v11, 0
	v_dual_mov_b32 v17, 0 :: v_dual_mov_b32 v12, 0
	v_dual_mov_b32 v13, 0 :: v_dual_mov_b32 v18, 0
	;; [unrolled: 1-line block ×3, first 2 shown]
	v_mov_b32_e32 v16, 0
	s_and_saveexec_b32 s6, s2
	s_cbranch_execz .LBB155_24
; %bb.15:
	v_or_b32_e32 v11, 4, v31
	v_not_b32_e32 v14, v19
	v_not_b32_e32 v13, v20
	v_dual_mov_b32 v24, v1 :: v_dual_mov_b32 v23, v0
	s_delay_alu instid0(VALU_DEP_4) | instskip(SKIP_3) | instid1(VALU_DEP_3)
	v_sub_co_u32 v11, s3, v11, s12
	s_wait_alu 0xf1ff
	v_sub_co_ci_u32_e64 v12, null, 0, 0, s3
	v_sub_co_u32 v15, s3, s12, v31
	v_add_co_u32 v11, vcc_lo, v11, v19
	s_wait_alu 0xfffd
	s_delay_alu instid0(VALU_DEP_3) | instskip(SKIP_3) | instid1(VALU_DEP_3)
	v_add_co_ci_u32_e64 v12, null, v12, v20, vcc_lo
	s_wait_alu 0xf1ff
	v_sub_co_ci_u32_e64 v16, null, 0, 0, s3
	v_mov_b32_e32 v17, 0
	v_cmp_gt_i64_e32 vcc_lo, v[11:12], v[4:5]
	v_mov_b32_e32 v18, 0
	s_wait_alu 0xfffd
	v_dual_cndmask_b32 v12, v5, v12 :: v_dual_cndmask_b32 v11, v4, v11
	v_add_co_u32 v14, vcc_lo, v15, v14
	s_wait_alu 0xfffd
	v_add_co_ci_u32_e64 v13, null, v16, v13, vcc_lo
	v_mov_b32_e32 v15, 0
	s_delay_alu instid0(VALU_DEP_3) | instskip(SKIP_3) | instid1(VALU_DEP_3)
	v_add_co_u32 v25, vcc_lo, v14, v11
	v_mov_b32_e32 v22, 0
	s_wait_alu 0xfffd
	v_add_co_ci_u32_e64 v26, null, v13, v12, vcc_lo
	v_and_b32_e32 v21, 12, v25
	v_dual_mov_b32 v13, 0 :: v_dual_mov_b32 v16, 0
	v_dual_mov_b32 v14, 0 :: v_dual_mov_b32 v11, 0
	s_delay_alu instid0(VALU_DEP_3)
	v_cmp_ne_u64_e32 vcc_lo, 12, v[21:22]
	v_mov_b32_e32 v12, 0
	v_dual_mov_b32 v22, v7 :: v_dual_mov_b32 v21, v6
	s_and_saveexec_b32 s7, vcc_lo
	s_cbranch_execz .LBB155_19
; %bb.16:
	v_lshrrev_b32_e32 v11, 2, v25
	v_lshlrev_b64_e32 v[15:16], 2, v[0:1]
	v_mov_b32_e32 v13, 0
	v_mov_b32_e32 v17, 0
	s_delay_alu instid0(VALU_DEP_4) | instskip(SKIP_3) | instid1(VALU_DEP_4)
	v_dual_mov_b32 v18, 0 :: v_dual_add_nc_u32 v23, 1, v11
	v_dual_mov_b32 v11, 0 :: v_dual_mov_b32 v22, v7
	v_mov_b32_e32 v12, 0
	v_add_co_u32 v27, vcc_lo, s8, v15
	v_and_b32_e32 v23, 3, v23
	s_wait_alu 0xfffd
	v_add_co_ci_u32_e64 v28, null, s9, v16, vcc_lo
	v_mov_b32_e32 v15, 0
	v_dual_mov_b32 v21, v6 :: v_dual_mov_b32 v14, 0
	v_sub_co_u32 v29, s3, 0, v23
	v_mov_b32_e32 v24, v1
	s_wait_alu 0xf1ff
	v_sub_co_ci_u32_e64 v30, null, 0, 0, s3
	v_dual_mov_b32 v16, 0 :: v_dual_mov_b32 v23, v0
	s_mov_b32 s10, 0
.LBB155_17:                             ; =>This Inner Loop Header: Depth=1
	global_load_b32 v48, v[27:28], off
	s_clause 0x3
	global_load_b128 v[32:35], v[21:22], off
	global_load_b128 v[36:39], v[21:22], off offset:16
	global_load_b128 v[40:43], v[21:22], off offset:32
	;; [unrolled: 1-line block ×3, first 2 shown]
	v_add_co_u32 v27, s3, v27, 16
	s_wait_alu 0xf1ff
	v_add_co_ci_u32_e64 v28, null, 0, v28, s3
	s_wait_loadcnt 0x4
	v_subrev_nc_u32_e32 v48, s12, v48
	s_wait_loadcnt 0x3
	v_cvt_f64_f32_e32 v[56:57], v32
	s_wait_loadcnt 0x2
	v_cvt_f64_f32_e32 v[58:59], v36
	;; [unrolled: 2-line block ×4, first 2 shown]
	v_lshlrev_b32_e32 v48, 2, v48
	v_cvt_f64_f32_e32 v[32:33], v33
	v_cvt_f64_f32_e32 v[36:37], v37
	;; [unrolled: 1-line block ×4, first 2 shown]
	v_ashrrev_i32_e32 v49, 31, v48
	s_delay_alu instid0(VALU_DEP_1) | instskip(SKIP_1) | instid1(VALU_DEP_1)
	v_lshlrev_b64_e32 v[48:49], 3, v[48:49]
	s_wait_kmcnt 0x0
	v_add_co_u32 v52, vcc_lo, s4, v48
	s_wait_alu 0xfffd
	s_delay_alu instid0(VALU_DEP_2)
	v_add_co_ci_u32_e64 v53, null, s5, v49, vcc_lo
	v_add_co_u32 v21, vcc_lo, 0x100, v21
	s_wait_alu 0xfffd
	v_add_co_ci_u32_e64 v22, null, 0, v22, vcc_lo
	s_clause 0x1
	global_load_b128 v[48:51], v[52:53], off
	global_load_b128 v[52:55], v[52:53], off offset:16
	v_add_co_u32 v29, vcc_lo, v29, 1
	s_wait_alu 0xfffd
	v_add_co_ci_u32_e64 v30, null, 0, v30, vcc_lo
	v_add_co_u32 v23, vcc_lo, v23, 4
	s_wait_alu 0xfffd
	v_add_co_ci_u32_e64 v24, null, 0, v24, vcc_lo
	s_delay_alu instid0(VALU_DEP_3)
	v_cmp_eq_u64_e32 vcc_lo, 0, v[29:30]
	s_wait_alu 0xfffe
	s_or_b32 s10, vcc_lo, s10
	s_wait_loadcnt 0x1
	v_fma_f64 v[15:16], v[56:57], v[48:49], v[15:16]
	v_fma_f64 v[17:18], v[58:59], v[48:49], v[17:18]
	;; [unrolled: 1-line block ×4, first 2 shown]
	v_cvt_f64_f32_e32 v[48:49], v34
	v_cvt_f64_f32_e32 v[56:57], v38
	;; [unrolled: 1-line block ×4, first 2 shown]
	v_fma_f64 v[15:16], v[32:33], v[50:51], v[15:16]
	v_fma_f64 v[17:18], v[36:37], v[50:51], v[17:18]
	;; [unrolled: 1-line block ×4, first 2 shown]
	v_cvt_f64_f32_e32 v[32:33], v35
	v_cvt_f64_f32_e32 v[34:35], v39
	;; [unrolled: 1-line block ×4, first 2 shown]
	s_wait_loadcnt 0x0
	v_fma_f64 v[15:16], v[48:49], v[52:53], v[15:16]
	v_fma_f64 v[17:18], v[56:57], v[52:53], v[17:18]
	;; [unrolled: 1-line block ×4, first 2 shown]
	s_delay_alu instid0(VALU_DEP_4) | instskip(NEXT) | instid1(VALU_DEP_4)
	v_fma_f64 v[15:16], v[32:33], v[54:55], v[15:16]
	v_fma_f64 v[17:18], v[34:35], v[54:55], v[17:18]
	s_delay_alu instid0(VALU_DEP_4) | instskip(NEXT) | instid1(VALU_DEP_4)
	v_fma_f64 v[13:14], v[36:37], v[54:55], v[13:14]
	v_fma_f64 v[11:12], v[38:39], v[54:55], v[11:12]
	s_wait_alu 0xfffe
	s_and_not1_b32 exec_lo, exec_lo, s10
	s_cbranch_execnz .LBB155_17
; %bb.18:
	s_or_b32 exec_lo, exec_lo, s10
.LBB155_19:
	s_wait_alu 0xfffe
	s_or_b32 exec_lo, exec_lo, s7
	s_delay_alu instid0(SALU_CYCLE_1)
	s_mov_b32 s7, exec_lo
	v_cmpx_lt_u64_e32 11, v[25:26]
	s_cbranch_execz .LBB155_23
; %bb.20:
	v_lshlrev_b64_e32 v[25:26], 2, v[23:24]
	s_mov_b32 s10, 0
	s_delay_alu instid0(VALU_DEP_1) | instskip(SKIP_1) | instid1(VALU_DEP_2)
	v_add_co_u32 v25, vcc_lo, s8, v25
	s_wait_alu 0xfffd
	v_add_co_ci_u32_e64 v26, null, s9, v26, vcc_lo
	s_delay_alu instid0(VALU_DEP_2) | instskip(SKIP_1) | instid1(VALU_DEP_2)
	v_add_co_u32 v25, vcc_lo, v25, 32
	s_wait_alu 0xfffd
	v_add_co_ci_u32_e64 v26, null, 0, v26, vcc_lo
.LBB155_21:                             ; =>This Inner Loop Header: Depth=1
	s_clause 0x2
	global_load_b32 v44, v[25:26], off offset:-32
	global_load_b32 v68, v[25:26], off offset:-16
	global_load_b32 v92, v[25:26], off
	s_clause 0x3
	global_load_b128 v[27:30], v[21:22], off
	global_load_b128 v[32:35], v[21:22], off offset:16
	global_load_b128 v[36:39], v[21:22], off offset:32
	;; [unrolled: 1-line block ×3, first 2 shown]
	global_load_b32 v106, v[25:26], off offset:16
	v_add_co_u32 v25, s3, v25, 64
	s_wait_alu 0xf1ff
	v_add_co_ci_u32_e64 v26, null, 0, v26, s3
	s_wait_loadcnt 0x7
	v_subrev_nc_u32_e32 v44, s12, v44
	s_wait_loadcnt 0x6
	v_subrev_nc_u32_e32 v68, s12, v68
	s_wait_loadcnt 0x5
	v_subrev_nc_u32_e32 v92, s12, v92
	s_wait_loadcnt 0x4
	v_cvt_f64_f32_e32 v[96:97], v27
	s_wait_loadcnt 0x3
	v_cvt_f64_f32_e32 v[98:99], v32
	v_lshlrev_b32_e32 v44, 2, v44
	v_lshlrev_b32_e32 v68, 2, v68
	;; [unrolled: 1-line block ×3, first 2 shown]
	s_wait_loadcnt 0x2
	v_cvt_f64_f32_e32 v[100:101], v36
	s_wait_loadcnt 0x1
	v_cvt_f64_f32_e32 v[102:103], v40
	v_ashrrev_i32_e32 v45, 31, v44
	v_ashrrev_i32_e32 v69, 31, v68
	;; [unrolled: 1-line block ×3, first 2 shown]
	v_cvt_f64_f32_e32 v[27:28], v28
	v_cvt_f64_f32_e32 v[32:33], v33
	v_lshlrev_b64_e32 v[44:45], 3, v[44:45]
	v_lshlrev_b64_e32 v[68:69], 3, v[68:69]
	;; [unrolled: 1-line block ×3, first 2 shown]
	v_cvt_f64_f32_e32 v[36:37], v37
	v_cvt_f64_f32_e32 v[40:41], v41
	s_wait_loadcnt 0x0
	v_subrev_nc_u32_e32 v110, s12, v106
	s_wait_kmcnt 0x0
	v_add_co_u32 v48, vcc_lo, s4, v44
	s_wait_alu 0xfffd
	v_add_co_ci_u32_e64 v49, null, s5, v45, vcc_lo
	v_add_co_u32 v72, vcc_lo, s4, v68
	s_wait_alu 0xfffd
	v_add_co_ci_u32_e64 v73, null, s5, v69, vcc_lo
	s_clause 0x1
	global_load_b128 v[44:47], v[48:49], off
	global_load_b128 v[48:51], v[48:49], off offset:16
	s_clause 0x3
	global_load_b128 v[52:55], v[21:22], off offset:256
	global_load_b128 v[56:59], v[21:22], off offset:272
	global_load_b128 v[60:63], v[21:22], off offset:288
	global_load_b128 v[64:67], v[21:22], off offset:304
	s_clause 0x1
	global_load_b128 v[68:71], v[72:73], off
	global_load_b128 v[72:75], v[72:73], off offset:16
	s_clause 0x3
	global_load_b128 v[76:79], v[21:22], off offset:512
	global_load_b128 v[80:83], v[21:22], off offset:528
	;; [unrolled: 1-line block ×4, first 2 shown]
	v_add_co_u32 v104, vcc_lo, s4, v92
	s_wait_alu 0xfffd
	v_add_co_ci_u32_e64 v105, null, s5, v93, vcc_lo
	v_lshlrev_b32_e32 v110, 2, v110
	global_load_b128 v[92:95], v[104:105], off
	v_ashrrev_i32_e32 v111, 31, v110
	s_wait_loadcnt 0xc
	v_fma_f64 v[15:16], v[96:97], v[44:45], v[15:16]
	v_fma_f64 v[17:18], v[98:99], v[44:45], v[17:18]
	;; [unrolled: 1-line block ×4, first 2 shown]
	v_cvt_f64_f32_e32 v[44:45], v29
	v_cvt_f64_f32_e32 v[96:97], v34
	;; [unrolled: 1-line block ×6, first 2 shown]
	s_wait_loadcnt 0x8
	v_cvt_f64_f32_e32 v[106:107], v60
	s_wait_loadcnt 0x7
	v_cvt_f64_f32_e32 v[108:109], v64
	v_cvt_f64_f32_e32 v[60:61], v61
	;; [unrolled: 1-line block ×3, first 2 shown]
	v_fma_f64 v[15:16], v[27:28], v[46:47], v[15:16]
	v_fma_f64 v[17:18], v[32:33], v[46:47], v[17:18]
	;; [unrolled: 1-line block ×4, first 2 shown]
	global_load_b128 v[11:14], v[104:105], off offset:16
	v_cvt_f64_f32_e32 v[40:41], v30
	v_cvt_f64_f32_e32 v[46:47], v35
	;; [unrolled: 1-line block ×4, first 2 shown]
	v_fma_f64 v[44:45], v[44:45], v[48:49], v[15:16]
	v_fma_f64 v[96:97], v[96:97], v[48:49], v[17:18]
	;; [unrolled: 1-line block ×4, first 2 shown]
	s_clause 0x3
	global_load_b128 v[15:18], v[21:22], off offset:768
	global_load_b128 v[27:30], v[21:22], off offset:784
	;; [unrolled: 1-line block ×4, first 2 shown]
	v_cvt_f64_f32_e32 v[100:101], v52
	v_cvt_f64_f32_e32 v[52:53], v53
	v_fma_f64 v[44:45], v[40:41], v[50:51], v[44:45]
	v_fma_f64 v[46:47], v[46:47], v[50:51], v[96:97]
	v_fma_f64 v[96:97], v[102:103], v[50:51], v[98:99]
	v_fma_f64 v[48:49], v[42:43], v[50:51], v[48:49]
	v_lshlrev_b64_e32 v[40:41], 3, v[110:111]
	v_cvt_f64_f32_e32 v[98:99], v58
	v_cvt_f64_f32_e32 v[102:103], v66
	s_delay_alu instid0(VALU_DEP_3) | instskip(SKIP_1) | instid1(VALU_DEP_4)
	v_add_co_u32 v50, vcc_lo, s4, v40
	s_wait_alu 0xfffd
	v_add_co_ci_u32_e64 v51, null, s5, v41, vcc_lo
	v_add_co_u32 v23, vcc_lo, v23, 16
	s_wait_alu 0xfffd
	v_add_co_ci_u32_e64 v24, null, 0, v24, vcc_lo
	global_load_b128 v[40:43], v[50:51], off
	v_add_co_u32 v21, vcc_lo, 0x400, v21
	s_wait_alu 0xfffd
	v_add_co_ci_u32_e64 v22, null, 0, v22, vcc_lo
	v_cmp_ge_i64_e32 vcc_lo, v[23:24], v[4:5]
	s_wait_alu 0xfffe
	s_or_b32 s10, vcc_lo, s10
	s_wait_loadcnt 0xc
	v_fma_f64 v[44:45], v[100:101], v[68:69], v[44:45]
	v_fma_f64 v[46:47], v[104:105], v[68:69], v[46:47]
	;; [unrolled: 1-line block ×4, first 2 shown]
	v_cvt_f64_f32_e32 v[68:69], v54
	v_cvt_f64_f32_e32 v[100:101], v62
	v_fma_f64 v[52:53], v[52:53], v[70:71], v[44:45]
	v_fma_f64 v[56:57], v[56:57], v[70:71], v[46:47]
	;; [unrolled: 1-line block ×4, first 2 shown]
	global_load_b128 v[44:47], v[50:51], off offset:16
	v_cvt_f64_f32_e32 v[50:51], v55
	v_cvt_f64_f32_e32 v[54:55], v59
	;; [unrolled: 1-line block ×4, first 2 shown]
	s_wait_loadcnt 0xb
	v_cvt_f64_f32_e32 v[64:65], v76
	s_wait_loadcnt 0xa
	v_cvt_f64_f32_e32 v[66:67], v80
	;; [unrolled: 2-line block ×3, first 2 shown]
	v_fma_f64 v[52:53], v[68:69], v[72:73], v[52:53]
	v_fma_f64 v[56:57], v[98:99], v[72:73], v[56:57]
	;; [unrolled: 1-line block ×4, first 2 shown]
	v_cvt_f64_f32_e32 v[68:69], v84
	v_fma_f64 v[50:51], v[50:51], v[74:75], v[52:53]
	v_fma_f64 v[52:53], v[54:55], v[74:75], v[56:57]
	;; [unrolled: 1-line block ×4, first 2 shown]
	v_cvt_f64_f32_e32 v[56:57], v77
	v_cvt_f64_f32_e32 v[58:59], v81
	;; [unrolled: 1-line block ×4, first 2 shown]
	s_wait_loadcnt 0x7
	v_fma_f64 v[50:51], v[64:65], v[92:93], v[50:51]
	v_fma_f64 v[52:53], v[66:67], v[92:93], v[52:53]
	;; [unrolled: 1-line block ×4, first 2 shown]
	v_cvt_f64_f32_e32 v[64:65], v78
	v_cvt_f64_f32_e32 v[66:67], v82
	;; [unrolled: 1-line block ×4, first 2 shown]
	v_fma_f64 v[50:51], v[56:57], v[94:95], v[50:51]
	v_fma_f64 v[52:53], v[58:59], v[94:95], v[52:53]
	;; [unrolled: 1-line block ×4, first 2 shown]
	v_cvt_f64_f32_e32 v[56:57], v79
	v_cvt_f64_f32_e32 v[58:59], v83
	;; [unrolled: 1-line block ×4, first 2 shown]
	s_wait_loadcnt 0x6
	v_fma_f64 v[50:51], v[64:65], v[11:12], v[50:51]
	v_fma_f64 v[52:53], v[66:67], v[11:12], v[52:53]
	;; [unrolled: 1-line block ×4, first 2 shown]
	s_wait_loadcnt 0x5
	v_cvt_f64_f32_e32 v[48:49], v15
	s_wait_loadcnt 0x4
	v_cvt_f64_f32_e32 v[64:65], v27
	;; [unrolled: 2-line block ×4, first 2 shown]
	v_fma_f64 v[50:51], v[56:57], v[13:14], v[50:51]
	v_fma_f64 v[52:53], v[58:59], v[13:14], v[52:53]
	;; [unrolled: 1-line block ×4, first 2 shown]
	v_cvt_f64_f32_e32 v[13:14], v16
	v_cvt_f64_f32_e32 v[15:16], v28
	;; [unrolled: 1-line block ×5, first 2 shown]
	s_wait_loadcnt 0x1
	v_fma_f64 v[36:37], v[48:49], v[40:41], v[50:51]
	v_fma_f64 v[48:49], v[64:65], v[40:41], v[52:53]
	;; [unrolled: 1-line block ×4, first 2 shown]
	v_cvt_f64_f32_e32 v[40:41], v17
	v_cvt_f64_f32_e32 v[52:53], v29
	;; [unrolled: 1-line block ×5, first 2 shown]
	v_fma_f64 v[13:14], v[13:14], v[42:43], v[36:37]
	v_fma_f64 v[15:16], v[15:16], v[42:43], v[48:49]
	;; [unrolled: 1-line block ×4, first 2 shown]
	v_cvt_f64_f32_e32 v[32:33], v35
	v_cvt_f64_f32_e32 v[34:35], v39
	s_wait_loadcnt 0x0
	v_fma_f64 v[13:14], v[40:41], v[44:45], v[13:14]
	v_fma_f64 v[36:37], v[52:53], v[44:45], v[15:16]
	;; [unrolled: 1-line block ×4, first 2 shown]
	s_delay_alu instid0(VALU_DEP_4) | instskip(NEXT) | instid1(VALU_DEP_4)
	v_fma_f64 v[15:16], v[17:18], v[46:47], v[13:14]
	v_fma_f64 v[17:18], v[29:30], v[46:47], v[36:37]
	s_delay_alu instid0(VALU_DEP_4) | instskip(NEXT) | instid1(VALU_DEP_4)
	v_fma_f64 v[13:14], v[32:33], v[46:47], v[27:28]
	v_fma_f64 v[11:12], v[34:35], v[46:47], v[11:12]
	s_wait_alu 0xfffe
	s_and_not1_b32 exec_lo, exec_lo, s10
	s_cbranch_execnz .LBB155_21
; %bb.22:
	s_or_b32 exec_lo, exec_lo, s10
.LBB155_23:
	s_wait_alu 0xfffe
	s_or_b32 exec_lo, exec_lo, s7
.LBB155_24:
	s_wait_alu 0xfffe
	s_or_b32 exec_lo, exec_lo, s6
	s_cbranch_execz .LBB155_26
	s_branch .LBB155_37
.LBB155_25:
                                        ; implicit-def: $vgpr11_vgpr12
                                        ; implicit-def: $vgpr13_vgpr14
                                        ; implicit-def: $vgpr17_vgpr18
                                        ; implicit-def: $vgpr15_vgpr16
.LBB155_26:
	v_mov_b32_e32 v11, 0
	v_dual_mov_b32 v17, 0 :: v_dual_mov_b32 v12, 0
	v_dual_mov_b32 v13, 0 :: v_dual_mov_b32 v18, 0
	;; [unrolled: 1-line block ×3, first 2 shown]
	v_mov_b32_e32 v16, 0
	s_and_saveexec_b32 s3, s2
	s_cbranch_execz .LBB155_36
; %bb.27:
	v_or_b32_e32 v11, 4, v31
	v_not_b32_e32 v14, v19
	v_not_b32_e32 v13, v20
	s_delay_alu instid0(VALU_DEP_3) | instskip(SKIP_3) | instid1(VALU_DEP_3)
	v_sub_co_u32 v11, s2, v11, s12
	s_wait_alu 0xf1ff
	v_sub_co_ci_u32_e64 v12, null, 0, 0, s2
	v_sub_co_u32 v15, s2, s12, v31
	v_add_co_u32 v11, vcc_lo, v11, v19
	s_wait_alu 0xfffd
	s_delay_alu instid0(VALU_DEP_3) | instskip(SKIP_2) | instid1(VALU_DEP_2)
	v_add_co_ci_u32_e64 v12, null, v12, v20, vcc_lo
	s_wait_alu 0xf1ff
	v_sub_co_ci_u32_e64 v16, null, 0, 0, s2
	v_cmp_gt_i64_e32 vcc_lo, v[11:12], v[4:5]
	s_wait_alu 0xfffd
	v_cndmask_b32_e32 v17, v5, v12, vcc_lo
	v_cndmask_b32_e32 v11, v4, v11, vcc_lo
	v_add_co_u32 v12, vcc_lo, v15, v14
	s_wait_alu 0xfffd
	v_add_co_ci_u32_e64 v13, null, v16, v13, vcc_lo
	v_mov_b32_e32 v15, 0
	v_mov_b32_e32 v16, 0
	v_add_co_u32 v19, vcc_lo, v12, v11
	v_mov_b32_e32 v12, 0
	s_wait_alu 0xfffd
	v_add_co_ci_u32_e64 v20, null, v13, v17, vcc_lo
	s_delay_alu instid0(VALU_DEP_3) | instskip(SKIP_3) | instid1(VALU_DEP_4)
	v_and_b32_e32 v11, 12, v19
	v_mov_b32_e32 v17, 0
	v_dual_mov_b32 v18, 0 :: v_dual_mov_b32 v13, 0
	v_mov_b32_e32 v14, 0
	v_cmp_ne_u64_e32 vcc_lo, 12, v[11:12]
	v_mov_b32_e32 v11, 0
	v_mov_b32_e32 v12, 0
	s_and_saveexec_b32 s6, vcc_lo
	s_cbranch_execz .LBB155_31
; %bb.28:
	v_lshrrev_b32_e32 v11, 2, v19
	v_lshlrev_b64_e32 v[21:22], 2, v[0:1]
	v_mov_b32_e32 v13, 0
	v_mov_b32_e32 v17, 0
	;; [unrolled: 1-line block ×3, first 2 shown]
	v_add_nc_u32_e32 v23, 1, v11
	v_dual_mov_b32 v11, 0 :: v_dual_mov_b32 v14, 0
	v_mov_b32_e32 v12, 0
	v_add_co_u32 v21, vcc_lo, s8, v21
	s_delay_alu instid0(VALU_DEP_4) | instskip(SKIP_3) | instid1(VALU_DEP_3)
	v_dual_mov_b32 v18, 0 :: v_dual_and_b32 v23, 3, v23
	v_mov_b32_e32 v16, 0
	s_wait_alu 0xfffd
	v_add_co_ci_u32_e64 v22, null, s9, v22, vcc_lo
	v_sub_co_u32 v23, s2, 0, v23
	s_wait_alu 0xf1ff
	v_sub_co_ci_u32_e64 v24, null, 0, 0, s2
	s_mov_b32 s7, 0
.LBB155_29:                             ; =>This Inner Loop Header: Depth=1
	global_load_b32 v29, v[21:22], off
	s_clause 0x1
	global_load_b128 v[25:28], v[6:7], off
	global_load_b128 v[32:35], v[6:7], off offset:16
	v_add_co_u32 v21, s2, v21, 16
	s_wait_alu 0xf1ff
	v_add_co_ci_u32_e64 v22, null, 0, v22, s2
	s_wait_loadcnt 0x2
	v_subrev_nc_u32_e32 v29, s12, v29
	s_wait_loadcnt 0x1
	v_cvt_f64_f32_e32 v[52:53], v27
	v_cvt_f64_f32_e32 v[27:28], v28
	s_wait_loadcnt 0x0
	v_cvt_f64_f32_e32 v[54:55], v32
	v_cvt_f64_f32_e32 v[32:33], v33
	v_lshlrev_b32_e32 v29, 2, v29
	v_cvt_f64_f32_e32 v[56:57], v34
	v_cvt_f64_f32_e32 v[34:35], v35
	s_delay_alu instid0(VALU_DEP_3) | instskip(NEXT) | instid1(VALU_DEP_1)
	v_ashrrev_i32_e32 v30, 31, v29
	v_lshlrev_b64_e32 v[29:30], 3, v[29:30]
	s_wait_kmcnt 0x0
	s_delay_alu instid0(VALU_DEP_1) | instskip(SKIP_1) | instid1(VALU_DEP_2)
	v_add_co_u32 v29, vcc_lo, s4, v29
	s_wait_alu 0xfffd
	v_add_co_ci_u32_e64 v30, null, s5, v30, vcc_lo
	s_clause 0x1
	global_load_b128 v[36:39], v[29:30], off
	global_load_b128 v[40:43], v[29:30], off offset:16
	s_clause 0x1
	global_load_b128 v[44:47], v[6:7], off offset:32
	global_load_b128 v[48:51], v[6:7], off offset:48
	v_cvt_f64_f32_e32 v[29:30], v25
	v_cvt_f64_f32_e32 v[25:26], v26
	v_add_co_u32 v6, vcc_lo, 0x100, v6
	s_wait_alu 0xfffd
	v_add_co_ci_u32_e64 v7, null, 0, v7, vcc_lo
	v_add_co_u32 v23, vcc_lo, v23, 1
	s_wait_alu 0xfffd
	v_add_co_ci_u32_e64 v24, null, 0, v24, vcc_lo
	;; [unrolled: 3-line block ×3, first 2 shown]
	s_delay_alu instid0(VALU_DEP_3)
	v_cmp_eq_u64_e32 vcc_lo, 0, v[23:24]
	s_wait_alu 0xfffe
	s_or_b32 s7, vcc_lo, s7
	s_wait_loadcnt 0x3
	v_fma_f64 v[15:16], v[29:30], v[36:37], v[15:16]
	v_fma_f64 v[17:18], v[25:26], v[36:37], v[17:18]
	;; [unrolled: 1-line block ×4, first 2 shown]
	s_wait_loadcnt 0x1
	v_cvt_f64_f32_e32 v[25:26], v44
	v_cvt_f64_f32_e32 v[27:28], v45
	;; [unrolled: 1-line block ×4, first 2 shown]
	s_wait_loadcnt 0x0
	v_cvt_f64_f32_e32 v[44:45], v51
	v_fma_f64 v[15:16], v[54:55], v[38:39], v[15:16]
	v_fma_f64 v[17:18], v[32:33], v[38:39], v[17:18]
	;; [unrolled: 1-line block ×4, first 2 shown]
	v_cvt_f64_f32_e32 v[32:33], v48
	v_cvt_f64_f32_e32 v[34:35], v49
	;; [unrolled: 1-line block ×3, first 2 shown]
	v_fma_f64 v[15:16], v[25:26], v[40:41], v[15:16]
	v_fma_f64 v[17:18], v[27:28], v[40:41], v[17:18]
	;; [unrolled: 1-line block ×4, first 2 shown]
	s_delay_alu instid0(VALU_DEP_4) | instskip(NEXT) | instid1(VALU_DEP_4)
	v_fma_f64 v[15:16], v[32:33], v[42:43], v[15:16]
	v_fma_f64 v[17:18], v[34:35], v[42:43], v[17:18]
	s_delay_alu instid0(VALU_DEP_4) | instskip(NEXT) | instid1(VALU_DEP_4)
	v_fma_f64 v[13:14], v[38:39], v[42:43], v[13:14]
	v_fma_f64 v[11:12], v[44:45], v[42:43], v[11:12]
	s_wait_alu 0xfffe
	s_and_not1_b32 exec_lo, exec_lo, s7
	s_cbranch_execnz .LBB155_29
; %bb.30:
	s_or_b32 exec_lo, exec_lo, s7
.LBB155_31:
	s_wait_alu 0xfffe
	s_or_b32 exec_lo, exec_lo, s6
	s_delay_alu instid0(SALU_CYCLE_1)
	s_mov_b32 s6, exec_lo
	v_cmpx_lt_u64_e32 11, v[19:20]
	s_cbranch_execz .LBB155_35
; %bb.32:
	v_lshlrev_b64_e32 v[19:20], 2, v[0:1]
	s_mov_b32 s7, 0
	s_delay_alu instid0(VALU_DEP_1) | instskip(SKIP_1) | instid1(VALU_DEP_2)
	v_add_co_u32 v19, vcc_lo, s8, v19
	s_wait_alu 0xfffd
	v_add_co_ci_u32_e64 v20, null, s9, v20, vcc_lo
	s_delay_alu instid0(VALU_DEP_2) | instskip(SKIP_1) | instid1(VALU_DEP_2)
	v_add_co_u32 v19, vcc_lo, v19, 32
	s_wait_alu 0xfffd
	v_add_co_ci_u32_e64 v20, null, 0, v20, vcc_lo
.LBB155_33:                             ; =>This Inner Loop Header: Depth=1
	s_clause 0x2
	global_load_b32 v25, v[19:20], off offset:-32
	global_load_b32 v52, v[19:20], off offset:-16
	global_load_b32 v76, v[19:20], off
	global_load_b128 v[21:24], v[6:7], off
	global_load_b32 v92, v[19:20], off offset:16
	v_add_co_u32 v19, s2, v19, 64
	s_wait_alu 0xf1ff
	v_add_co_ci_u32_e64 v20, null, 0, v20, s2
	s_wait_loadcnt 0x4
	v_subrev_nc_u32_e32 v25, s12, v25
	s_wait_loadcnt 0x2
	v_subrev_nc_u32_e32 v76, s12, v76
	s_wait_loadcnt 0x1
	v_cvt_f64_f32_e32 v[80:81], v22
	v_cvt_f64_f32_e32 v[82:83], v23
	v_lshlrev_b32_e32 v25, 2, v25
	v_cvt_f64_f32_e32 v[84:85], v24
	s_delay_alu instid0(VALU_DEP_2) | instskip(NEXT) | instid1(VALU_DEP_1)
	v_ashrrev_i32_e32 v26, 31, v25
	v_lshlrev_b64_e32 v[25:26], 3, v[25:26]
	s_wait_kmcnt 0x0
	s_delay_alu instid0(VALU_DEP_1) | instskip(SKIP_1) | instid1(VALU_DEP_2)
	v_add_co_u32 v29, vcc_lo, s4, v25
	s_wait_alu 0xfffd
	v_add_co_ci_u32_e64 v30, null, s5, v26, vcc_lo
	global_load_b128 v[25:28], v[6:7], off offset:16
	global_load_b128 v[32:35], v[29:30], off
	s_clause 0x1
	global_load_b128 v[36:39], v[6:7], off offset:32
	global_load_b128 v[40:43], v[6:7], off offset:48
	;; [unrolled: 1-line block ×4, first 2 shown]
	v_subrev_nc_u32_e32 v29, s12, v52
	s_delay_alu instid0(VALU_DEP_1) | instskip(NEXT) | instid1(VALU_DEP_1)
	v_lshlrev_b32_e32 v29, 2, v29
	v_ashrrev_i32_e32 v30, 31, v29
	s_delay_alu instid0(VALU_DEP_1) | instskip(NEXT) | instid1(VALU_DEP_1)
	v_lshlrev_b64_e32 v[29:30], 3, v[29:30]
	v_add_co_u32 v29, vcc_lo, s4, v29
	s_wait_alu 0xfffd
	s_delay_alu instid0(VALU_DEP_2)
	v_add_co_ci_u32_e64 v30, null, s5, v30, vcc_lo
	global_load_b128 v[52:55], v[6:7], off offset:272
	global_load_b128 v[56:59], v[29:30], off
	s_clause 0x1
	global_load_b128 v[60:63], v[6:7], off offset:288
	global_load_b128 v[64:67], v[6:7], off offset:304
	;; [unrolled: 1-line block ×4, first 2 shown]
	v_cvt_f64_f32_e32 v[29:30], v21
	v_lshlrev_b32_e32 v21, 2, v76
	s_delay_alu instid0(VALU_DEP_1) | instskip(NEXT) | instid1(VALU_DEP_1)
	v_ashrrev_i32_e32 v22, 31, v21
	v_lshlrev_b64_e32 v[21:22], 3, v[21:22]
	s_delay_alu instid0(VALU_DEP_1) | instskip(SKIP_1) | instid1(VALU_DEP_2)
	v_add_co_u32 v86, vcc_lo, s4, v21
	s_wait_alu 0xfffd
	v_add_co_ci_u32_e64 v87, null, s5, v22, vcc_lo
	global_load_b128 v[21:24], v[6:7], off offset:528
	global_load_b128 v[76:79], v[86:87], off
	s_wait_loadcnt 0xd
	v_cvt_f64_f32_e32 v[88:89], v25
	v_cvt_f64_f32_e32 v[25:26], v26
	;; [unrolled: 1-line block ×4, first 2 shown]
	s_wait_loadcnt 0xc
	v_fma_f64 v[15:16], v[29:30], v[32:33], v[15:16]
	v_fma_f64 v[17:18], v[80:81], v[32:33], v[17:18]
	;; [unrolled: 1-line block ×4, first 2 shown]
	global_load_b128 v[11:14], v[6:7], off offset:544
	s_wait_loadcnt 0xc
	v_cvt_f64_f32_e32 v[80:81], v36
	v_cvt_f64_f32_e32 v[36:37], v37
	;; [unrolled: 1-line block ×4, first 2 shown]
	v_fma_f64 v[84:85], v[88:89], v[34:35], v[15:16]
	v_fma_f64 v[88:89], v[25:26], v[34:35], v[17:18]
	;; [unrolled: 1-line block ×4, first 2 shown]
	global_load_b128 v[15:18], v[6:7], off offset:560
	global_load_b128 v[25:28], v[86:87], off offset:16
	s_wait_loadcnt 0xd
	v_cvt_f64_f32_e32 v[86:87], v40
	v_cvt_f64_f32_e32 v[40:41], v41
	;; [unrolled: 1-line block ×4, first 2 shown]
	s_wait_loadcnt 0xc
	v_fma_f64 v[80:81], v[80:81], v[44:45], v[84:85]
	v_fma_f64 v[36:37], v[36:37], v[44:45], v[88:89]
	;; [unrolled: 1-line block ×4, first 2 shown]
	global_load_b128 v[32:35], v[6:7], off offset:768
	v_subrev_nc_u32_e32 v84, s12, v92
	s_wait_loadcnt 0xc
	v_cvt_f64_f32_e32 v[44:45], v48
	v_cvt_f64_f32_e32 v[48:49], v49
	;; [unrolled: 1-line block ×4, first 2 shown]
	v_lshlrev_b32_e32 v84, 2, v84
	s_wait_loadcnt 0xb
	v_cvt_f64_f32_e32 v[88:89], v52
	v_cvt_f64_f32_e32 v[52:53], v53
	s_delay_alu instid0(VALU_DEP_3)
	v_ashrrev_i32_e32 v85, 31, v84
	v_fma_f64 v[80:81], v[86:87], v[46:47], v[80:81]
	v_fma_f64 v[86:87], v[40:41], v[46:47], v[36:37]
	;; [unrolled: 1-line block ×4, first 2 shown]
	v_lshlrev_b64_e32 v[36:37], 3, v[84:85]
	v_cvt_f64_f32_e32 v[90:91], v54
	v_cvt_f64_f32_e32 v[54:55], v55
	s_delay_alu instid0(VALU_DEP_3) | instskip(SKIP_1) | instid1(VALU_DEP_4)
	v_add_co_u32 v84, vcc_lo, s4, v36
	s_wait_alu 0xfffd
	v_add_co_ci_u32_e64 v85, null, s5, v37, vcc_lo
	global_load_b128 v[36:39], v[6:7], off offset:784
	global_load_b128 v[40:43], v[84:85], off
	v_add_co_u32 v0, vcc_lo, v0, 16
	s_wait_alu 0xfffd
	v_add_co_ci_u32_e64 v1, null, 0, v1, vcc_lo
	s_wait_loadcnt 0xc
	v_fma_f64 v[80:81], v[44:45], v[56:57], v[80:81]
	v_fma_f64 v[48:49], v[48:49], v[56:57], v[86:87]
	v_fma_f64 v[29:30], v[82:83], v[56:57], v[29:30]
	v_fma_f64 v[50:51], v[50:51], v[56:57], v[46:47]
	global_load_b128 v[44:47], v[6:7], off offset:800
	s_wait_loadcnt 0xc
	v_cvt_f64_f32_e32 v[56:57], v60
	v_cvt_f64_f32_e32 v[60:61], v61
	;; [unrolled: 1-line block ×4, first 2 shown]
	v_fma_f64 v[80:81], v[88:89], v[58:59], v[80:81]
	v_fma_f64 v[86:87], v[52:53], v[58:59], v[48:49]
	;; [unrolled: 1-line block ×4, first 2 shown]
	global_load_b128 v[48:51], v[6:7], off offset:816
	global_load_b128 v[52:55], v[84:85], off offset:16
	s_wait_loadcnt 0xd
	v_cvt_f64_f32_e32 v[84:85], v64
	v_cvt_f64_f32_e32 v[64:65], v65
	v_cvt_f64_f32_e32 v[88:89], v66
	v_cvt_f64_f32_e32 v[66:67], v67
	v_add_co_u32 v6, vcc_lo, 0x400, v6
	s_wait_alu 0xfffd
	v_add_co_ci_u32_e64 v7, null, 0, v7, vcc_lo
	v_cmp_ge_i64_e32 vcc_lo, v[0:1], v[4:5]
	s_wait_alu 0xfffe
	s_or_b32 s7, vcc_lo, s7
	s_wait_loadcnt 0xc
	v_fma_f64 v[56:57], v[56:57], v[68:69], v[80:81]
	v_fma_f64 v[60:61], v[60:61], v[68:69], v[86:87]
	v_fma_f64 v[29:30], v[82:83], v[68:69], v[29:30]
	v_fma_f64 v[58:59], v[62:63], v[68:69], v[58:59]
	s_wait_loadcnt 0xb
	v_cvt_f64_f32_e32 v[62:63], v72
	v_cvt_f64_f32_e32 v[68:69], v73
	v_cvt_f64_f32_e32 v[72:73], v74
	v_cvt_f64_f32_e32 v[74:75], v75
	v_fma_f64 v[56:57], v[84:85], v[70:71], v[56:57]
	v_fma_f64 v[60:61], v[64:65], v[70:71], v[60:61]
	v_fma_f64 v[29:30], v[88:89], v[70:71], v[29:30]
	v_fma_f64 v[58:59], v[66:67], v[70:71], v[58:59]
	s_wait_loadcnt 0xa
	v_cvt_f64_f32_e32 v[64:65], v21
	v_cvt_f64_f32_e32 v[21:22], v22
	v_cvt_f64_f32_e32 v[66:67], v23
	v_cvt_f64_f32_e32 v[23:24], v24
	s_wait_loadcnt 0x9
	v_fma_f64 v[56:57], v[62:63], v[76:77], v[56:57]
	v_fma_f64 v[60:61], v[68:69], v[76:77], v[60:61]
	v_fma_f64 v[29:30], v[72:73], v[76:77], v[29:30]
	v_fma_f64 v[58:59], v[74:75], v[76:77], v[58:59]
	s_wait_loadcnt 0x8
	v_cvt_f64_f32_e32 v[62:63], v11
	v_cvt_f64_f32_e32 v[11:12], v12
	v_cvt_f64_f32_e32 v[68:69], v13
	v_cvt_f64_f32_e32 v[13:14], v14
	v_fma_f64 v[56:57], v[64:65], v[78:79], v[56:57]
	v_fma_f64 v[21:22], v[21:22], v[78:79], v[60:61]
	v_fma_f64 v[29:30], v[66:67], v[78:79], v[29:30]
	v_fma_f64 v[23:24], v[23:24], v[78:79], v[58:59]
	s_wait_loadcnt 0x7
	v_cvt_f64_f32_e32 v[58:59], v15
	v_cvt_f64_f32_e32 v[15:16], v16
	v_cvt_f64_f32_e32 v[60:61], v17
	v_cvt_f64_f32_e32 v[17:18], v18
	;; [unrolled: 19-line block ×4, first 2 shown]
	s_wait_loadcnt 0x0
	v_fma_f64 v[17:18], v[25:26], v[52:53], v[17:18]
	v_fma_f64 v[11:12], v[29:30], v[52:53], v[11:12]
	;; [unrolled: 1-line block ×4, first 2 shown]
	s_delay_alu instid0(VALU_DEP_4) | instskip(NEXT) | instid1(VALU_DEP_4)
	v_fma_f64 v[15:16], v[21:22], v[54:55], v[17:18]
	v_fma_f64 v[17:18], v[23:24], v[54:55], v[11:12]
	s_delay_alu instid0(VALU_DEP_4) | instskip(NEXT) | instid1(VALU_DEP_4)
	v_fma_f64 v[13:14], v[27:28], v[54:55], v[25:26]
	v_fma_f64 v[11:12], v[36:37], v[54:55], v[29:30]
	s_wait_alu 0xfffe
	s_and_not1_b32 exec_lo, exec_lo, s7
	s_cbranch_execnz .LBB155_33
; %bb.34:
	s_or_b32 exec_lo, exec_lo, s7
.LBB155_35:
	s_wait_alu 0xfffe
	s_or_b32 exec_lo, exec_lo, s6
.LBB155_36:
	s_wait_alu 0xfffe
	s_or_b32 exec_lo, exec_lo, s3
.LBB155_37:
	v_mbcnt_lo_u32_b32 v23, -1, 0
	s_delay_alu instid0(VALU_DEP_1) | instskip(NEXT) | instid1(VALU_DEP_1)
	v_xor_b32_e32 v0, 2, v23
	v_cmp_gt_i32_e32 vcc_lo, 32, v0
	s_wait_alu 0xfffd
	v_cndmask_b32_e32 v0, v23, v0, vcc_lo
	s_delay_alu instid0(VALU_DEP_1)
	v_lshlrev_b32_e32 v6, 2, v0
	ds_bpermute_b32 v0, v6, v15
	ds_bpermute_b32 v1, v6, v16
	;; [unrolled: 1-line block ×8, first 2 shown]
	s_wait_dscnt 0x6
	v_add_f64_e32 v[15:16], v[15:16], v[0:1]
	s_wait_dscnt 0x4
	v_add_f64_e32 v[6:7], v[17:18], v[4:5]
	;; [unrolled: 2-line block ×4, first 2 shown]
	v_xor_b32_e32 v11, 1, v23
	s_delay_alu instid0(VALU_DEP_1) | instskip(SKIP_3) | instid1(VALU_DEP_2)
	v_cmp_gt_i32_e32 vcc_lo, 32, v11
	s_wait_alu 0xfffd
	v_cndmask_b32_e32 v11, v23, v11, vcc_lo
	v_cmp_eq_u32_e32 vcc_lo, 3, v31
	v_lshlrev_b32_e32 v12, 2, v11
	ds_bpermute_b32 v19, v12, v15
	ds_bpermute_b32 v20, v12, v16
	;; [unrolled: 1-line block ×8, first 2 shown]
	s_and_b32 exec_lo, exec_lo, vcc_lo
	s_cbranch_execz .LBB155_10
; %bb.38:
	s_wait_dscnt 0x6
	v_add_f64_e32 v[15:16], v[15:16], v[19:20]
	s_wait_dscnt 0x4
	v_add_f64_e32 v[6:7], v[6:7], v[17:18]
	;; [unrolled: 2-line block ×4, first 2 shown]
	s_load_b64 s[0:1], s[0:1], 0x50
	v_lshlrev_b32_e32 v10, 2, v10
	s_mov_b32 s2, exec_lo
	v_mul_f64_e32 v[4:5], v[2:3], v[15:16]
	v_mul_f64_e32 v[6:7], v[2:3], v[6:7]
	;; [unrolled: 1-line block ×4, first 2 shown]
	v_cmpx_eq_f64_e32 0, v[8:9]
	s_wait_alu 0xfffe
	s_xor_b32 s2, exec_lo, s2
	s_cbranch_execz .LBB155_40
; %bb.39:
	v_ashrrev_i32_e32 v11, 31, v10
	s_delay_alu instid0(VALU_DEP_1) | instskip(SKIP_1) | instid1(VALU_DEP_1)
	v_lshlrev_b64_e32 v[8:9], 3, v[10:11]
                                        ; implicit-def: $vgpr10
	s_wait_kmcnt 0x0
	v_add_co_u32 v8, vcc_lo, s0, v8
	s_wait_alu 0xfffd
	s_delay_alu instid0(VALU_DEP_2)
	v_add_co_ci_u32_e64 v9, null, s1, v9, vcc_lo
	s_clause 0x1
	global_store_b128 v[8:9], v[4:7], off
	global_store_b128 v[8:9], v[0:3], off offset:16
                                        ; implicit-def: $vgpr8_vgpr9
                                        ; implicit-def: $vgpr4_vgpr5
                                        ; implicit-def: $vgpr0_vgpr1
.LBB155_40:
	s_wait_alu 0xfffe
	s_and_not1_saveexec_b32 s2, s2
	s_cbranch_execz .LBB155_10
; %bb.41:
	v_ashrrev_i32_e32 v11, 31, v10
	s_delay_alu instid0(VALU_DEP_1) | instskip(SKIP_1) | instid1(VALU_DEP_1)
	v_lshlrev_b64_e32 v[10:11], 3, v[10:11]
	s_wait_kmcnt 0x0
	v_add_co_u32 v18, vcc_lo, s0, v10
	s_wait_alu 0xfffd
	s_delay_alu instid0(VALU_DEP_2)
	v_add_co_ci_u32_e64 v19, null, s1, v11, vcc_lo
	s_clause 0x1
	global_load_b128 v[10:13], v[18:19], off
	global_load_b128 v[14:17], v[18:19], off offset:16
	s_wait_loadcnt 0x1
	v_fma_f64 v[4:5], v[8:9], v[10:11], v[4:5]
	v_fma_f64 v[6:7], v[8:9], v[12:13], v[6:7]
	s_wait_loadcnt 0x0
	v_fma_f64 v[0:1], v[8:9], v[14:15], v[0:1]
	v_fma_f64 v[2:3], v[8:9], v[16:17], v[2:3]
	s_clause 0x1
	global_store_b128 v[18:19], v[4:7], off
	global_store_b128 v[18:19], v[0:3], off offset:16
	s_nop 0
	s_sendmsg sendmsg(MSG_DEALLOC_VGPRS)
	s_endpgm
	.section	.rodata,"a",@progbits
	.p2align	6, 0x0
	.amdhsa_kernel _ZN9rocsparseL18bsrxmvn_4x4_kernelILj128ELj4EdlifddEEvT3_20rocsparse_direction_NS_24const_host_device_scalarIT1_EES1_PKS1_PKT2_SA_S7_PKT4_PKT5_S5_PT6_21rocsparse_index_base_b
		.amdhsa_group_segment_fixed_size 0
		.amdhsa_private_segment_fixed_size 0
		.amdhsa_kernarg_size 96
		.amdhsa_user_sgpr_count 2
		.amdhsa_user_sgpr_dispatch_ptr 0
		.amdhsa_user_sgpr_queue_ptr 0
		.amdhsa_user_sgpr_kernarg_segment_ptr 1
		.amdhsa_user_sgpr_dispatch_id 0
		.amdhsa_user_sgpr_private_segment_size 0
		.amdhsa_wavefront_size32 1
		.amdhsa_uses_dynamic_stack 0
		.amdhsa_enable_private_segment 0
		.amdhsa_system_sgpr_workgroup_id_x 1
		.amdhsa_system_sgpr_workgroup_id_y 0
		.amdhsa_system_sgpr_workgroup_id_z 0
		.amdhsa_system_sgpr_workgroup_info 0
		.amdhsa_system_vgpr_workitem_id 0
		.amdhsa_next_free_vgpr 112
		.amdhsa_next_free_sgpr 14
		.amdhsa_reserve_vcc 1
		.amdhsa_float_round_mode_32 0
		.amdhsa_float_round_mode_16_64 0
		.amdhsa_float_denorm_mode_32 3
		.amdhsa_float_denorm_mode_16_64 3
		.amdhsa_fp16_overflow 0
		.amdhsa_workgroup_processor_mode 1
		.amdhsa_memory_ordered 1
		.amdhsa_forward_progress 1
		.amdhsa_inst_pref_size 48
		.amdhsa_round_robin_scheduling 0
		.amdhsa_exception_fp_ieee_invalid_op 0
		.amdhsa_exception_fp_denorm_src 0
		.amdhsa_exception_fp_ieee_div_zero 0
		.amdhsa_exception_fp_ieee_overflow 0
		.amdhsa_exception_fp_ieee_underflow 0
		.amdhsa_exception_fp_ieee_inexact 0
		.amdhsa_exception_int_div_zero 0
	.end_amdhsa_kernel
	.section	.text._ZN9rocsparseL18bsrxmvn_4x4_kernelILj128ELj4EdlifddEEvT3_20rocsparse_direction_NS_24const_host_device_scalarIT1_EES1_PKS1_PKT2_SA_S7_PKT4_PKT5_S5_PT6_21rocsparse_index_base_b,"axG",@progbits,_ZN9rocsparseL18bsrxmvn_4x4_kernelILj128ELj4EdlifddEEvT3_20rocsparse_direction_NS_24const_host_device_scalarIT1_EES1_PKS1_PKT2_SA_S7_PKT4_PKT5_S5_PT6_21rocsparse_index_base_b,comdat
.Lfunc_end155:
	.size	_ZN9rocsparseL18bsrxmvn_4x4_kernelILj128ELj4EdlifddEEvT3_20rocsparse_direction_NS_24const_host_device_scalarIT1_EES1_PKS1_PKT2_SA_S7_PKT4_PKT5_S5_PT6_21rocsparse_index_base_b, .Lfunc_end155-_ZN9rocsparseL18bsrxmvn_4x4_kernelILj128ELj4EdlifddEEvT3_20rocsparse_direction_NS_24const_host_device_scalarIT1_EES1_PKS1_PKT2_SA_S7_PKT4_PKT5_S5_PT6_21rocsparse_index_base_b
                                        ; -- End function
	.set _ZN9rocsparseL18bsrxmvn_4x4_kernelILj128ELj4EdlifddEEvT3_20rocsparse_direction_NS_24const_host_device_scalarIT1_EES1_PKS1_PKT2_SA_S7_PKT4_PKT5_S5_PT6_21rocsparse_index_base_b.num_vgpr, 112
	.set _ZN9rocsparseL18bsrxmvn_4x4_kernelILj128ELj4EdlifddEEvT3_20rocsparse_direction_NS_24const_host_device_scalarIT1_EES1_PKS1_PKT2_SA_S7_PKT4_PKT5_S5_PT6_21rocsparse_index_base_b.num_agpr, 0
	.set _ZN9rocsparseL18bsrxmvn_4x4_kernelILj128ELj4EdlifddEEvT3_20rocsparse_direction_NS_24const_host_device_scalarIT1_EES1_PKS1_PKT2_SA_S7_PKT4_PKT5_S5_PT6_21rocsparse_index_base_b.numbered_sgpr, 14
	.set _ZN9rocsparseL18bsrxmvn_4x4_kernelILj128ELj4EdlifddEEvT3_20rocsparse_direction_NS_24const_host_device_scalarIT1_EES1_PKS1_PKT2_SA_S7_PKT4_PKT5_S5_PT6_21rocsparse_index_base_b.num_named_barrier, 0
	.set _ZN9rocsparseL18bsrxmvn_4x4_kernelILj128ELj4EdlifddEEvT3_20rocsparse_direction_NS_24const_host_device_scalarIT1_EES1_PKS1_PKT2_SA_S7_PKT4_PKT5_S5_PT6_21rocsparse_index_base_b.private_seg_size, 0
	.set _ZN9rocsparseL18bsrxmvn_4x4_kernelILj128ELj4EdlifddEEvT3_20rocsparse_direction_NS_24const_host_device_scalarIT1_EES1_PKS1_PKT2_SA_S7_PKT4_PKT5_S5_PT6_21rocsparse_index_base_b.uses_vcc, 1
	.set _ZN9rocsparseL18bsrxmvn_4x4_kernelILj128ELj4EdlifddEEvT3_20rocsparse_direction_NS_24const_host_device_scalarIT1_EES1_PKS1_PKT2_SA_S7_PKT4_PKT5_S5_PT6_21rocsparse_index_base_b.uses_flat_scratch, 0
	.set _ZN9rocsparseL18bsrxmvn_4x4_kernelILj128ELj4EdlifddEEvT3_20rocsparse_direction_NS_24const_host_device_scalarIT1_EES1_PKS1_PKT2_SA_S7_PKT4_PKT5_S5_PT6_21rocsparse_index_base_b.has_dyn_sized_stack, 0
	.set _ZN9rocsparseL18bsrxmvn_4x4_kernelILj128ELj4EdlifddEEvT3_20rocsparse_direction_NS_24const_host_device_scalarIT1_EES1_PKS1_PKT2_SA_S7_PKT4_PKT5_S5_PT6_21rocsparse_index_base_b.has_recursion, 0
	.set _ZN9rocsparseL18bsrxmvn_4x4_kernelILj128ELj4EdlifddEEvT3_20rocsparse_direction_NS_24const_host_device_scalarIT1_EES1_PKS1_PKT2_SA_S7_PKT4_PKT5_S5_PT6_21rocsparse_index_base_b.has_indirect_call, 0
	.section	.AMDGPU.csdata,"",@progbits
; Kernel info:
; codeLenInByte = 6024
; TotalNumSgprs: 16
; NumVgprs: 112
; ScratchSize: 0
; MemoryBound: 0
; FloatMode: 240
; IeeeMode: 1
; LDSByteSize: 0 bytes/workgroup (compile time only)
; SGPRBlocks: 0
; VGPRBlocks: 13
; NumSGPRsForWavesPerEU: 16
; NumVGPRsForWavesPerEU: 112
; Occupancy: 12
; WaveLimiterHint : 1
; COMPUTE_PGM_RSRC2:SCRATCH_EN: 0
; COMPUTE_PGM_RSRC2:USER_SGPR: 2
; COMPUTE_PGM_RSRC2:TRAP_HANDLER: 0
; COMPUTE_PGM_RSRC2:TGID_X_EN: 1
; COMPUTE_PGM_RSRC2:TGID_Y_EN: 0
; COMPUTE_PGM_RSRC2:TGID_Z_EN: 0
; COMPUTE_PGM_RSRC2:TIDIG_COMP_CNT: 0
	.section	.text._ZN9rocsparseL18bsrxmvn_4x4_kernelILj128ELj8EdlifddEEvT3_20rocsparse_direction_NS_24const_host_device_scalarIT1_EES1_PKS1_PKT2_SA_S7_PKT4_PKT5_S5_PT6_21rocsparse_index_base_b,"axG",@progbits,_ZN9rocsparseL18bsrxmvn_4x4_kernelILj128ELj8EdlifddEEvT3_20rocsparse_direction_NS_24const_host_device_scalarIT1_EES1_PKS1_PKT2_SA_S7_PKT4_PKT5_S5_PT6_21rocsparse_index_base_b,comdat
	.globl	_ZN9rocsparseL18bsrxmvn_4x4_kernelILj128ELj8EdlifddEEvT3_20rocsparse_direction_NS_24const_host_device_scalarIT1_EES1_PKS1_PKT2_SA_S7_PKT4_PKT5_S5_PT6_21rocsparse_index_base_b ; -- Begin function _ZN9rocsparseL18bsrxmvn_4x4_kernelILj128ELj8EdlifddEEvT3_20rocsparse_direction_NS_24const_host_device_scalarIT1_EES1_PKS1_PKT2_SA_S7_PKT4_PKT5_S5_PT6_21rocsparse_index_base_b
	.p2align	8
	.type	_ZN9rocsparseL18bsrxmvn_4x4_kernelILj128ELj8EdlifddEEvT3_20rocsparse_direction_NS_24const_host_device_scalarIT1_EES1_PKS1_PKT2_SA_S7_PKT4_PKT5_S5_PT6_21rocsparse_index_base_b,@function
_ZN9rocsparseL18bsrxmvn_4x4_kernelILj128ELj8EdlifddEEvT3_20rocsparse_direction_NS_24const_host_device_scalarIT1_EES1_PKS1_PKT2_SA_S7_PKT4_PKT5_S5_PT6_21rocsparse_index_base_b: ; @_ZN9rocsparseL18bsrxmvn_4x4_kernelILj128ELj8EdlifddEEvT3_20rocsparse_direction_NS_24const_host_device_scalarIT1_EES1_PKS1_PKT2_SA_S7_PKT4_PKT5_S5_PT6_21rocsparse_index_base_b
; %bb.0:
	s_clause 0x2
	s_load_b64 s[12:13], s[0:1], 0x58
	s_load_b64 s[4:5], s[0:1], 0x8
	;; [unrolled: 1-line block ×3, first 2 shown]
	s_wait_kmcnt 0x0
	s_bitcmp1_b32 s13, 0
	v_dual_mov_b32 v2, s4 :: v_dual_mov_b32 v3, s5
	s_cselect_b32 s6, -1, 0
	s_delay_alu instid0(SALU_CYCLE_1)
	s_and_b32 vcc_lo, exec_lo, s6
	s_xor_b32 s6, s6, -1
	s_cbranch_vccnz .LBB156_2
; %bb.1:
	v_dual_mov_b32 v1, s4 :: v_dual_mov_b32 v2, s5
	flat_load_b64 v[2:3], v[1:2]
.LBB156_2:
	v_dual_mov_b32 v9, s3 :: v_dual_mov_b32 v8, s2
	s_and_not1_b32 vcc_lo, exec_lo, s6
	s_cbranch_vccnz .LBB156_4
; %bb.3:
	v_dual_mov_b32 v5, s3 :: v_dual_mov_b32 v4, s2
	flat_load_b64 v[8:9], v[4:5]
.LBB156_4:
	s_wait_loadcnt_dscnt 0x0
	v_cmp_neq_f64_e32 vcc_lo, 0, v[2:3]
	v_cmp_neq_f64_e64 s2, 1.0, v[8:9]
	s_or_b32 s2, vcc_lo, s2
	s_wait_alu 0xfffe
	s_and_saveexec_b32 s3, s2
	s_cbranch_execz .LBB156_10
; %bb.5:
	s_clause 0x1
	s_load_b64 s[4:5], s[0:1], 0x18
	s_load_b64 s[2:3], s[0:1], 0x0
	v_lshrrev_b32_e32 v1, 3, v0
	s_delay_alu instid0(VALU_DEP_1)
	v_lshl_or_b32 v10, ttmp9, 4, v1
	s_wait_kmcnt 0x0
	s_cmp_lg_u64 s[4:5], 0
	s_cbranch_scc0 .LBB156_11
; %bb.6:
	s_load_b32 s6, s[0:1], 0x10
	s_mov_b32 s7, 0
                                        ; implicit-def: $vgpr1
	s_wait_kmcnt 0x0
	v_cmp_gt_i32_e32 vcc_lo, s6, v10
	s_mov_b32 s6, 0
	s_and_saveexec_b32 s8, vcc_lo
	s_delay_alu instid0(SALU_CYCLE_1)
	s_xor_b32 s8, exec_lo, s8
	s_cbranch_execz .LBB156_8
; %bb.7:
	v_ashrrev_i32_e32 v11, 31, v10
	s_mov_b32 s6, exec_lo
	s_delay_alu instid0(VALU_DEP_1) | instskip(NEXT) | instid1(VALU_DEP_1)
	v_lshlrev_b64_e32 v[4:5], 2, v[10:11]
	v_add_co_u32 v4, vcc_lo, s4, v4
	s_delay_alu instid0(VALU_DEP_1)
	v_add_co_ci_u32_e64 v5, null, s5, v5, vcc_lo
	global_load_b32 v1, v[4:5], off
	s_wait_loadcnt 0x0
	v_subrev_nc_u32_e32 v1, s12, v1
.LBB156_8:
	s_or_b32 exec_lo, exec_lo, s8
	s_delay_alu instid0(SALU_CYCLE_1)
	s_and_b32 vcc_lo, exec_lo, s7
	s_wait_alu 0xfffe
	s_cbranch_vccz .LBB156_12
.LBB156_9:
	v_cmp_gt_i32_e32 vcc_lo, s2, v10
	s_and_not1_b32 s2, s6, exec_lo
	s_and_b32 s4, vcc_lo, exec_lo
	s_wait_alu 0xfffe
	s_or_b32 s6, s2, s4
	s_wait_alu 0xfffe
	s_and_b32 exec_lo, exec_lo, s6
	s_cbranch_execnz .LBB156_13
.LBB156_10:
	s_nop 0
	s_sendmsg sendmsg(MSG_DEALLOC_VGPRS)
	s_endpgm
.LBB156_11:
	s_mov_b32 s6, 0
                                        ; implicit-def: $vgpr1
	s_cbranch_execnz .LBB156_9
.LBB156_12:
	v_mov_b32_e32 v10, v1
	s_and_b32 exec_lo, exec_lo, s6
	s_cbranch_execz .LBB156_10
.LBB156_13:
	s_load_b256 s[4:11], s[0:1], 0x20
	s_delay_alu instid0(VALU_DEP_1) | instskip(SKIP_1) | instid1(VALU_DEP_2)
	v_ashrrev_i32_e32 v11, 31, v10
	v_and_b32_e32 v31, 7, v0
	v_lshlrev_b64_e32 v[4:5], 3, v[10:11]
	s_wait_kmcnt 0x0
	s_delay_alu instid0(VALU_DEP_1) | instskip(SKIP_1) | instid1(VALU_DEP_2)
	v_add_co_u32 v6, vcc_lo, s4, v4
	s_wait_alu 0xfffd
	v_add_co_ci_u32_e64 v7, null, s5, v5, vcc_lo
	v_add_co_u32 v1, vcc_lo, s6, v4
	s_wait_alu 0xfffd
	v_add_co_ci_u32_e64 v4, null, s7, v5, vcc_lo
	v_add_co_u32 v11, vcc_lo, v6, 8
	global_load_b64 v[19:20], v[6:7], off
	s_wait_alu 0xfffd
	v_add_co_ci_u32_e64 v5, null, 0, v7, vcc_lo
	s_cmp_eq_u64 s[6:7], 0
	s_load_b64 s[4:5], s[0:1], 0x40
	s_cselect_b32 vcc_lo, -1, 0
	s_cmp_eq_u32 s3, 1
	s_wait_alu 0xfffe
	v_dual_cndmask_b32 v5, v4, v5 :: v_dual_cndmask_b32 v4, v1, v11
	global_load_b64 v[4:5], v[4:5], off
	s_wait_loadcnt 0x1
	v_sub_co_u32 v0, vcc_lo, v19, s12
	s_wait_alu 0xfffd
	v_subrev_co_ci_u32_e64 v1, null, 0, v20, vcc_lo
	s_delay_alu instid0(VALU_DEP_2) | instskip(SKIP_1) | instid1(VALU_DEP_2)
	v_add_co_u32 v0, vcc_lo, v0, v31
	s_wait_alu 0xfffd
	v_add_co_ci_u32_e64 v1, null, 0, v1, vcc_lo
	s_delay_alu instid0(VALU_DEP_1) | instskip(SKIP_4) | instid1(VALU_DEP_3)
	v_lshlrev_b64_e32 v[6:7], 6, v[0:1]
	s_wait_loadcnt 0x0
	v_sub_co_u32 v4, vcc_lo, v4, s12
	s_wait_alu 0xfffd
	v_subrev_co_ci_u32_e64 v5, null, 0, v5, vcc_lo
	v_add_co_u32 v6, vcc_lo, s10, v6
	s_delay_alu instid0(VALU_DEP_2)
	v_cmp_lt_i64_e64 s2, v[0:1], v[4:5]
	s_wait_alu 0xfffd
	v_add_co_ci_u32_e64 v7, null, s11, v7, vcc_lo
	s_cbranch_scc1 .LBB156_25
; %bb.14:
	v_mov_b32_e32 v11, 0
	v_dual_mov_b32 v17, 0 :: v_dual_mov_b32 v12, 0
	v_dual_mov_b32 v13, 0 :: v_dual_mov_b32 v18, 0
	;; [unrolled: 1-line block ×3, first 2 shown]
	v_mov_b32_e32 v16, 0
	s_and_saveexec_b32 s6, s2
	s_cbranch_execz .LBB156_24
; %bb.15:
	v_or_b32_e32 v11, 8, v31
	v_not_b32_e32 v14, v19
	v_not_b32_e32 v13, v20
	v_dual_mov_b32 v24, v1 :: v_dual_mov_b32 v23, v0
	s_delay_alu instid0(VALU_DEP_4) | instskip(SKIP_3) | instid1(VALU_DEP_3)
	v_sub_co_u32 v11, s3, v11, s12
	s_wait_alu 0xf1ff
	v_sub_co_ci_u32_e64 v12, null, 0, 0, s3
	v_sub_co_u32 v15, s3, s12, v31
	v_add_co_u32 v11, vcc_lo, v11, v19
	s_wait_alu 0xfffd
	s_delay_alu instid0(VALU_DEP_3) | instskip(SKIP_3) | instid1(VALU_DEP_3)
	v_add_co_ci_u32_e64 v12, null, v12, v20, vcc_lo
	s_wait_alu 0xf1ff
	v_sub_co_ci_u32_e64 v16, null, 0, 0, s3
	v_mov_b32_e32 v17, 0
	v_cmp_gt_i64_e32 vcc_lo, v[11:12], v[4:5]
	v_mov_b32_e32 v18, 0
	s_wait_alu 0xfffd
	v_dual_cndmask_b32 v12, v5, v12 :: v_dual_cndmask_b32 v11, v4, v11
	v_add_co_u32 v14, vcc_lo, v15, v14
	s_wait_alu 0xfffd
	v_add_co_ci_u32_e64 v13, null, v16, v13, vcc_lo
	v_mov_b32_e32 v15, 0
	s_delay_alu instid0(VALU_DEP_3) | instskip(SKIP_3) | instid1(VALU_DEP_3)
	v_add_co_u32 v25, vcc_lo, v14, v11
	v_mov_b32_e32 v22, 0
	s_wait_alu 0xfffd
	v_add_co_ci_u32_e64 v26, null, v13, v12, vcc_lo
	v_and_b32_e32 v21, 24, v25
	v_dual_mov_b32 v13, 0 :: v_dual_mov_b32 v16, 0
	v_dual_mov_b32 v14, 0 :: v_dual_mov_b32 v11, 0
	s_delay_alu instid0(VALU_DEP_3)
	v_cmp_ne_u64_e32 vcc_lo, 24, v[21:22]
	v_mov_b32_e32 v12, 0
	v_dual_mov_b32 v22, v7 :: v_dual_mov_b32 v21, v6
	s_and_saveexec_b32 s7, vcc_lo
	s_cbranch_execz .LBB156_19
; %bb.16:
	v_lshrrev_b32_e32 v11, 3, v25
	v_lshlrev_b64_e32 v[15:16], 2, v[0:1]
	v_mov_b32_e32 v13, 0
	v_mov_b32_e32 v17, 0
	s_delay_alu instid0(VALU_DEP_4) | instskip(SKIP_3) | instid1(VALU_DEP_4)
	v_dual_mov_b32 v18, 0 :: v_dual_add_nc_u32 v23, 1, v11
	v_dual_mov_b32 v11, 0 :: v_dual_mov_b32 v22, v7
	v_mov_b32_e32 v12, 0
	v_add_co_u32 v27, vcc_lo, s8, v15
	v_and_b32_e32 v23, 3, v23
	s_wait_alu 0xfffd
	v_add_co_ci_u32_e64 v28, null, s9, v16, vcc_lo
	v_mov_b32_e32 v15, 0
	v_dual_mov_b32 v21, v6 :: v_dual_mov_b32 v14, 0
	v_sub_co_u32 v29, s3, 0, v23
	v_mov_b32_e32 v24, v1
	s_wait_alu 0xf1ff
	v_sub_co_ci_u32_e64 v30, null, 0, 0, s3
	v_dual_mov_b32 v16, 0 :: v_dual_mov_b32 v23, v0
	s_mov_b32 s10, 0
.LBB156_17:                             ; =>This Inner Loop Header: Depth=1
	global_load_b32 v48, v[27:28], off
	s_clause 0x3
	global_load_b128 v[32:35], v[21:22], off
	global_load_b128 v[36:39], v[21:22], off offset:16
	global_load_b128 v[40:43], v[21:22], off offset:32
	;; [unrolled: 1-line block ×3, first 2 shown]
	v_add_co_u32 v27, s3, v27, 32
	s_wait_alu 0xf1ff
	v_add_co_ci_u32_e64 v28, null, 0, v28, s3
	s_wait_loadcnt 0x4
	v_subrev_nc_u32_e32 v48, s12, v48
	s_wait_loadcnt 0x3
	v_cvt_f64_f32_e32 v[56:57], v32
	s_wait_loadcnt 0x2
	v_cvt_f64_f32_e32 v[58:59], v36
	;; [unrolled: 2-line block ×4, first 2 shown]
	v_lshlrev_b32_e32 v48, 2, v48
	v_cvt_f64_f32_e32 v[32:33], v33
	v_cvt_f64_f32_e32 v[36:37], v37
	v_cvt_f64_f32_e32 v[40:41], v41
	v_cvt_f64_f32_e32 v[44:45], v45
	v_ashrrev_i32_e32 v49, 31, v48
	s_delay_alu instid0(VALU_DEP_1) | instskip(SKIP_1) | instid1(VALU_DEP_1)
	v_lshlrev_b64_e32 v[48:49], 3, v[48:49]
	s_wait_kmcnt 0x0
	v_add_co_u32 v52, vcc_lo, s4, v48
	s_wait_alu 0xfffd
	s_delay_alu instid0(VALU_DEP_2)
	v_add_co_ci_u32_e64 v53, null, s5, v49, vcc_lo
	v_add_co_u32 v21, vcc_lo, 0x200, v21
	s_wait_alu 0xfffd
	v_add_co_ci_u32_e64 v22, null, 0, v22, vcc_lo
	s_clause 0x1
	global_load_b128 v[48:51], v[52:53], off
	global_load_b128 v[52:55], v[52:53], off offset:16
	v_add_co_u32 v29, vcc_lo, v29, 1
	s_wait_alu 0xfffd
	v_add_co_ci_u32_e64 v30, null, 0, v30, vcc_lo
	v_add_co_u32 v23, vcc_lo, v23, 8
	s_wait_alu 0xfffd
	v_add_co_ci_u32_e64 v24, null, 0, v24, vcc_lo
	s_delay_alu instid0(VALU_DEP_3)
	v_cmp_eq_u64_e32 vcc_lo, 0, v[29:30]
	s_wait_alu 0xfffe
	s_or_b32 s10, vcc_lo, s10
	s_wait_loadcnt 0x1
	v_fma_f64 v[15:16], v[56:57], v[48:49], v[15:16]
	v_fma_f64 v[17:18], v[58:59], v[48:49], v[17:18]
	;; [unrolled: 1-line block ×4, first 2 shown]
	v_cvt_f64_f32_e32 v[48:49], v34
	v_cvt_f64_f32_e32 v[56:57], v38
	;; [unrolled: 1-line block ×4, first 2 shown]
	v_fma_f64 v[15:16], v[32:33], v[50:51], v[15:16]
	v_fma_f64 v[17:18], v[36:37], v[50:51], v[17:18]
	;; [unrolled: 1-line block ×4, first 2 shown]
	v_cvt_f64_f32_e32 v[32:33], v35
	v_cvt_f64_f32_e32 v[34:35], v39
	;; [unrolled: 1-line block ×4, first 2 shown]
	s_wait_loadcnt 0x0
	v_fma_f64 v[15:16], v[48:49], v[52:53], v[15:16]
	v_fma_f64 v[17:18], v[56:57], v[52:53], v[17:18]
	;; [unrolled: 1-line block ×4, first 2 shown]
	s_delay_alu instid0(VALU_DEP_4) | instskip(NEXT) | instid1(VALU_DEP_4)
	v_fma_f64 v[15:16], v[32:33], v[54:55], v[15:16]
	v_fma_f64 v[17:18], v[34:35], v[54:55], v[17:18]
	s_delay_alu instid0(VALU_DEP_4) | instskip(NEXT) | instid1(VALU_DEP_4)
	v_fma_f64 v[13:14], v[36:37], v[54:55], v[13:14]
	v_fma_f64 v[11:12], v[38:39], v[54:55], v[11:12]
	s_wait_alu 0xfffe
	s_and_not1_b32 exec_lo, exec_lo, s10
	s_cbranch_execnz .LBB156_17
; %bb.18:
	s_or_b32 exec_lo, exec_lo, s10
.LBB156_19:
	s_wait_alu 0xfffe
	s_or_b32 exec_lo, exec_lo, s7
	s_delay_alu instid0(SALU_CYCLE_1)
	s_mov_b32 s7, exec_lo
	v_cmpx_lt_u64_e32 23, v[25:26]
	s_cbranch_execz .LBB156_23
; %bb.20:
	v_lshlrev_b64_e32 v[25:26], 2, v[23:24]
	s_mov_b32 s10, 0
	s_delay_alu instid0(VALU_DEP_1) | instskip(SKIP_1) | instid1(VALU_DEP_2)
	v_add_co_u32 v25, vcc_lo, s8, v25
	s_wait_alu 0xfffd
	v_add_co_ci_u32_e64 v26, null, s9, v26, vcc_lo
	s_delay_alu instid0(VALU_DEP_2) | instskip(SKIP_1) | instid1(VALU_DEP_2)
	v_add_co_u32 v25, vcc_lo, v25, 64
	s_wait_alu 0xfffd
	v_add_co_ci_u32_e64 v26, null, 0, v26, vcc_lo
.LBB156_21:                             ; =>This Inner Loop Header: Depth=1
	s_clause 0x2
	global_load_b32 v44, v[25:26], off offset:-64
	global_load_b32 v68, v[25:26], off offset:-32
	global_load_b32 v92, v[25:26], off
	s_clause 0x3
	global_load_b128 v[27:30], v[21:22], off
	global_load_b128 v[32:35], v[21:22], off offset:16
	global_load_b128 v[36:39], v[21:22], off offset:32
	;; [unrolled: 1-line block ×3, first 2 shown]
	global_load_b32 v106, v[25:26], off offset:32
	v_add_co_u32 v25, s3, 0x80, v25
	s_wait_alu 0xf1ff
	v_add_co_ci_u32_e64 v26, null, 0, v26, s3
	s_wait_loadcnt 0x7
	v_subrev_nc_u32_e32 v44, s12, v44
	s_wait_loadcnt 0x6
	v_subrev_nc_u32_e32 v68, s12, v68
	;; [unrolled: 2-line block ×3, first 2 shown]
	s_wait_loadcnt 0x4
	v_cvt_f64_f32_e32 v[96:97], v27
	s_wait_loadcnt 0x3
	v_cvt_f64_f32_e32 v[98:99], v32
	v_lshlrev_b32_e32 v44, 2, v44
	v_lshlrev_b32_e32 v68, 2, v68
	;; [unrolled: 1-line block ×3, first 2 shown]
	s_wait_loadcnt 0x2
	v_cvt_f64_f32_e32 v[100:101], v36
	s_wait_loadcnt 0x1
	v_cvt_f64_f32_e32 v[102:103], v40
	v_ashrrev_i32_e32 v45, 31, v44
	v_ashrrev_i32_e32 v69, 31, v68
	;; [unrolled: 1-line block ×3, first 2 shown]
	v_cvt_f64_f32_e32 v[27:28], v28
	v_cvt_f64_f32_e32 v[32:33], v33
	v_lshlrev_b64_e32 v[44:45], 3, v[44:45]
	v_lshlrev_b64_e32 v[68:69], 3, v[68:69]
	;; [unrolled: 1-line block ×3, first 2 shown]
	v_cvt_f64_f32_e32 v[36:37], v37
	v_cvt_f64_f32_e32 v[40:41], v41
	s_wait_loadcnt 0x0
	v_subrev_nc_u32_e32 v110, s12, v106
	s_wait_kmcnt 0x0
	v_add_co_u32 v48, vcc_lo, s4, v44
	s_wait_alu 0xfffd
	v_add_co_ci_u32_e64 v49, null, s5, v45, vcc_lo
	v_add_co_u32 v72, vcc_lo, s4, v68
	s_wait_alu 0xfffd
	v_add_co_ci_u32_e64 v73, null, s5, v69, vcc_lo
	s_clause 0x1
	global_load_b128 v[44:47], v[48:49], off
	global_load_b128 v[48:51], v[48:49], off offset:16
	s_clause 0x3
	global_load_b128 v[52:55], v[21:22], off offset:512
	global_load_b128 v[56:59], v[21:22], off offset:528
	global_load_b128 v[60:63], v[21:22], off offset:544
	global_load_b128 v[64:67], v[21:22], off offset:560
	s_clause 0x1
	global_load_b128 v[68:71], v[72:73], off
	global_load_b128 v[72:75], v[72:73], off offset:16
	s_clause 0x3
	global_load_b128 v[76:79], v[21:22], off offset:1024
	global_load_b128 v[80:83], v[21:22], off offset:1040
	global_load_b128 v[84:87], v[21:22], off offset:1056
	global_load_b128 v[88:91], v[21:22], off offset:1072
	v_add_co_u32 v104, vcc_lo, s4, v92
	s_wait_alu 0xfffd
	v_add_co_ci_u32_e64 v105, null, s5, v93, vcc_lo
	v_lshlrev_b32_e32 v110, 2, v110
	global_load_b128 v[92:95], v[104:105], off
	v_ashrrev_i32_e32 v111, 31, v110
	s_wait_loadcnt 0xc
	v_fma_f64 v[15:16], v[96:97], v[44:45], v[15:16]
	v_fma_f64 v[17:18], v[98:99], v[44:45], v[17:18]
	;; [unrolled: 1-line block ×4, first 2 shown]
	v_cvt_f64_f32_e32 v[44:45], v29
	v_cvt_f64_f32_e32 v[96:97], v34
	;; [unrolled: 1-line block ×6, first 2 shown]
	s_wait_loadcnt 0x8
	v_cvt_f64_f32_e32 v[106:107], v60
	s_wait_loadcnt 0x7
	v_cvt_f64_f32_e32 v[108:109], v64
	v_cvt_f64_f32_e32 v[60:61], v61
	;; [unrolled: 1-line block ×3, first 2 shown]
	v_fma_f64 v[15:16], v[27:28], v[46:47], v[15:16]
	v_fma_f64 v[17:18], v[32:33], v[46:47], v[17:18]
	;; [unrolled: 1-line block ×4, first 2 shown]
	global_load_b128 v[11:14], v[104:105], off offset:16
	v_cvt_f64_f32_e32 v[40:41], v30
	v_cvt_f64_f32_e32 v[46:47], v35
	;; [unrolled: 1-line block ×4, first 2 shown]
	v_fma_f64 v[44:45], v[44:45], v[48:49], v[15:16]
	v_fma_f64 v[96:97], v[96:97], v[48:49], v[17:18]
	;; [unrolled: 1-line block ×4, first 2 shown]
	s_clause 0x3
	global_load_b128 v[15:18], v[21:22], off offset:1536
	global_load_b128 v[27:30], v[21:22], off offset:1552
	;; [unrolled: 1-line block ×4, first 2 shown]
	v_cvt_f64_f32_e32 v[100:101], v52
	v_cvt_f64_f32_e32 v[52:53], v53
	v_fma_f64 v[44:45], v[40:41], v[50:51], v[44:45]
	v_fma_f64 v[46:47], v[46:47], v[50:51], v[96:97]
	;; [unrolled: 1-line block ×4, first 2 shown]
	v_lshlrev_b64_e32 v[40:41], 3, v[110:111]
	v_cvt_f64_f32_e32 v[98:99], v58
	v_cvt_f64_f32_e32 v[102:103], v66
	s_delay_alu instid0(VALU_DEP_3) | instskip(SKIP_1) | instid1(VALU_DEP_4)
	v_add_co_u32 v50, vcc_lo, s4, v40
	s_wait_alu 0xfffd
	v_add_co_ci_u32_e64 v51, null, s5, v41, vcc_lo
	v_add_co_u32 v23, vcc_lo, v23, 32
	s_wait_alu 0xfffd
	v_add_co_ci_u32_e64 v24, null, 0, v24, vcc_lo
	global_load_b128 v[40:43], v[50:51], off
	v_add_co_u32 v21, vcc_lo, 0x800, v21
	s_wait_alu 0xfffd
	v_add_co_ci_u32_e64 v22, null, 0, v22, vcc_lo
	v_cmp_ge_i64_e32 vcc_lo, v[23:24], v[4:5]
	s_wait_alu 0xfffe
	s_or_b32 s10, vcc_lo, s10
	s_wait_loadcnt 0xc
	v_fma_f64 v[44:45], v[100:101], v[68:69], v[44:45]
	v_fma_f64 v[46:47], v[104:105], v[68:69], v[46:47]
	v_fma_f64 v[96:97], v[106:107], v[68:69], v[96:97]
	v_fma_f64 v[48:49], v[108:109], v[68:69], v[48:49]
	v_cvt_f64_f32_e32 v[68:69], v54
	v_cvt_f64_f32_e32 v[100:101], v62
	v_fma_f64 v[52:53], v[52:53], v[70:71], v[44:45]
	v_fma_f64 v[56:57], v[56:57], v[70:71], v[46:47]
	;; [unrolled: 1-line block ×4, first 2 shown]
	global_load_b128 v[44:47], v[50:51], off offset:16
	v_cvt_f64_f32_e32 v[50:51], v55
	v_cvt_f64_f32_e32 v[54:55], v59
	;; [unrolled: 1-line block ×4, first 2 shown]
	s_wait_loadcnt 0xb
	v_cvt_f64_f32_e32 v[64:65], v76
	s_wait_loadcnt 0xa
	v_cvt_f64_f32_e32 v[66:67], v80
	;; [unrolled: 2-line block ×3, first 2 shown]
	v_fma_f64 v[52:53], v[68:69], v[72:73], v[52:53]
	v_fma_f64 v[56:57], v[98:99], v[72:73], v[56:57]
	;; [unrolled: 1-line block ×4, first 2 shown]
	v_cvt_f64_f32_e32 v[68:69], v84
	v_fma_f64 v[50:51], v[50:51], v[74:75], v[52:53]
	v_fma_f64 v[52:53], v[54:55], v[74:75], v[56:57]
	;; [unrolled: 1-line block ×4, first 2 shown]
	v_cvt_f64_f32_e32 v[56:57], v77
	v_cvt_f64_f32_e32 v[58:59], v81
	;; [unrolled: 1-line block ×4, first 2 shown]
	s_wait_loadcnt 0x7
	v_fma_f64 v[50:51], v[64:65], v[92:93], v[50:51]
	v_fma_f64 v[52:53], v[66:67], v[92:93], v[52:53]
	;; [unrolled: 1-line block ×4, first 2 shown]
	v_cvt_f64_f32_e32 v[64:65], v78
	v_cvt_f64_f32_e32 v[66:67], v82
	;; [unrolled: 1-line block ×4, first 2 shown]
	v_fma_f64 v[50:51], v[56:57], v[94:95], v[50:51]
	v_fma_f64 v[52:53], v[58:59], v[94:95], v[52:53]
	;; [unrolled: 1-line block ×4, first 2 shown]
	v_cvt_f64_f32_e32 v[56:57], v79
	v_cvt_f64_f32_e32 v[58:59], v83
	;; [unrolled: 1-line block ×4, first 2 shown]
	s_wait_loadcnt 0x6
	v_fma_f64 v[50:51], v[64:65], v[11:12], v[50:51]
	v_fma_f64 v[52:53], v[66:67], v[11:12], v[52:53]
	;; [unrolled: 1-line block ×4, first 2 shown]
	s_wait_loadcnt 0x5
	v_cvt_f64_f32_e32 v[48:49], v15
	s_wait_loadcnt 0x4
	v_cvt_f64_f32_e32 v[64:65], v27
	;; [unrolled: 2-line block ×4, first 2 shown]
	v_fma_f64 v[50:51], v[56:57], v[13:14], v[50:51]
	v_fma_f64 v[52:53], v[58:59], v[13:14], v[52:53]
	;; [unrolled: 1-line block ×4, first 2 shown]
	v_cvt_f64_f32_e32 v[13:14], v16
	v_cvt_f64_f32_e32 v[15:16], v28
	;; [unrolled: 1-line block ×5, first 2 shown]
	s_wait_loadcnt 0x1
	v_fma_f64 v[36:37], v[48:49], v[40:41], v[50:51]
	v_fma_f64 v[48:49], v[64:65], v[40:41], v[52:53]
	;; [unrolled: 1-line block ×4, first 2 shown]
	v_cvt_f64_f32_e32 v[40:41], v17
	v_cvt_f64_f32_e32 v[52:53], v29
	;; [unrolled: 1-line block ×5, first 2 shown]
	v_fma_f64 v[13:14], v[13:14], v[42:43], v[36:37]
	v_fma_f64 v[15:16], v[15:16], v[42:43], v[48:49]
	;; [unrolled: 1-line block ×4, first 2 shown]
	v_cvt_f64_f32_e32 v[32:33], v35
	v_cvt_f64_f32_e32 v[34:35], v39
	s_wait_loadcnt 0x0
	v_fma_f64 v[13:14], v[40:41], v[44:45], v[13:14]
	v_fma_f64 v[36:37], v[52:53], v[44:45], v[15:16]
	;; [unrolled: 1-line block ×4, first 2 shown]
	s_delay_alu instid0(VALU_DEP_4) | instskip(NEXT) | instid1(VALU_DEP_4)
	v_fma_f64 v[15:16], v[17:18], v[46:47], v[13:14]
	v_fma_f64 v[17:18], v[29:30], v[46:47], v[36:37]
	s_delay_alu instid0(VALU_DEP_4) | instskip(NEXT) | instid1(VALU_DEP_4)
	v_fma_f64 v[13:14], v[32:33], v[46:47], v[27:28]
	v_fma_f64 v[11:12], v[34:35], v[46:47], v[11:12]
	s_wait_alu 0xfffe
	s_and_not1_b32 exec_lo, exec_lo, s10
	s_cbranch_execnz .LBB156_21
; %bb.22:
	s_or_b32 exec_lo, exec_lo, s10
.LBB156_23:
	s_wait_alu 0xfffe
	s_or_b32 exec_lo, exec_lo, s7
.LBB156_24:
	s_wait_alu 0xfffe
	s_or_b32 exec_lo, exec_lo, s6
	s_cbranch_execz .LBB156_26
	s_branch .LBB156_37
.LBB156_25:
                                        ; implicit-def: $vgpr11_vgpr12
                                        ; implicit-def: $vgpr13_vgpr14
                                        ; implicit-def: $vgpr17_vgpr18
                                        ; implicit-def: $vgpr15_vgpr16
.LBB156_26:
	v_mov_b32_e32 v11, 0
	v_dual_mov_b32 v17, 0 :: v_dual_mov_b32 v12, 0
	v_dual_mov_b32 v13, 0 :: v_dual_mov_b32 v18, 0
	;; [unrolled: 1-line block ×3, first 2 shown]
	v_mov_b32_e32 v16, 0
	s_and_saveexec_b32 s3, s2
	s_cbranch_execz .LBB156_36
; %bb.27:
	v_or_b32_e32 v11, 8, v31
	v_not_b32_e32 v14, v19
	v_not_b32_e32 v13, v20
	s_delay_alu instid0(VALU_DEP_3) | instskip(SKIP_3) | instid1(VALU_DEP_3)
	v_sub_co_u32 v11, s2, v11, s12
	s_wait_alu 0xf1ff
	v_sub_co_ci_u32_e64 v12, null, 0, 0, s2
	v_sub_co_u32 v15, s2, s12, v31
	v_add_co_u32 v11, vcc_lo, v11, v19
	s_wait_alu 0xfffd
	s_delay_alu instid0(VALU_DEP_3) | instskip(SKIP_2) | instid1(VALU_DEP_2)
	v_add_co_ci_u32_e64 v12, null, v12, v20, vcc_lo
	s_wait_alu 0xf1ff
	v_sub_co_ci_u32_e64 v16, null, 0, 0, s2
	v_cmp_gt_i64_e32 vcc_lo, v[11:12], v[4:5]
	s_wait_alu 0xfffd
	v_cndmask_b32_e32 v17, v5, v12, vcc_lo
	v_cndmask_b32_e32 v11, v4, v11, vcc_lo
	v_add_co_u32 v12, vcc_lo, v15, v14
	s_wait_alu 0xfffd
	v_add_co_ci_u32_e64 v13, null, v16, v13, vcc_lo
	v_mov_b32_e32 v15, 0
	v_mov_b32_e32 v16, 0
	v_add_co_u32 v19, vcc_lo, v12, v11
	v_mov_b32_e32 v12, 0
	s_wait_alu 0xfffd
	v_add_co_ci_u32_e64 v20, null, v13, v17, vcc_lo
	s_delay_alu instid0(VALU_DEP_3) | instskip(SKIP_3) | instid1(VALU_DEP_4)
	v_and_b32_e32 v11, 24, v19
	v_mov_b32_e32 v17, 0
	v_dual_mov_b32 v18, 0 :: v_dual_mov_b32 v13, 0
	v_mov_b32_e32 v14, 0
	v_cmp_ne_u64_e32 vcc_lo, 24, v[11:12]
	v_mov_b32_e32 v11, 0
	v_mov_b32_e32 v12, 0
	s_and_saveexec_b32 s6, vcc_lo
	s_cbranch_execz .LBB156_31
; %bb.28:
	v_lshrrev_b32_e32 v11, 3, v19
	v_lshlrev_b64_e32 v[21:22], 2, v[0:1]
	v_mov_b32_e32 v13, 0
	v_mov_b32_e32 v17, 0
	;; [unrolled: 1-line block ×3, first 2 shown]
	v_add_nc_u32_e32 v23, 1, v11
	v_dual_mov_b32 v11, 0 :: v_dual_mov_b32 v14, 0
	v_mov_b32_e32 v12, 0
	v_add_co_u32 v21, vcc_lo, s8, v21
	s_delay_alu instid0(VALU_DEP_4) | instskip(SKIP_3) | instid1(VALU_DEP_3)
	v_dual_mov_b32 v18, 0 :: v_dual_and_b32 v23, 3, v23
	v_mov_b32_e32 v16, 0
	s_wait_alu 0xfffd
	v_add_co_ci_u32_e64 v22, null, s9, v22, vcc_lo
	v_sub_co_u32 v23, s2, 0, v23
	s_wait_alu 0xf1ff
	v_sub_co_ci_u32_e64 v24, null, 0, 0, s2
	s_mov_b32 s7, 0
.LBB156_29:                             ; =>This Inner Loop Header: Depth=1
	global_load_b32 v29, v[21:22], off
	s_clause 0x1
	global_load_b128 v[25:28], v[6:7], off
	global_load_b128 v[32:35], v[6:7], off offset:16
	v_add_co_u32 v21, s2, v21, 32
	s_wait_alu 0xf1ff
	v_add_co_ci_u32_e64 v22, null, 0, v22, s2
	s_wait_loadcnt 0x2
	v_subrev_nc_u32_e32 v29, s12, v29
	s_wait_loadcnt 0x1
	v_cvt_f64_f32_e32 v[52:53], v27
	v_cvt_f64_f32_e32 v[27:28], v28
	s_wait_loadcnt 0x0
	v_cvt_f64_f32_e32 v[54:55], v32
	v_cvt_f64_f32_e32 v[32:33], v33
	v_lshlrev_b32_e32 v29, 2, v29
	v_cvt_f64_f32_e32 v[56:57], v34
	v_cvt_f64_f32_e32 v[34:35], v35
	s_delay_alu instid0(VALU_DEP_3) | instskip(NEXT) | instid1(VALU_DEP_1)
	v_ashrrev_i32_e32 v30, 31, v29
	v_lshlrev_b64_e32 v[29:30], 3, v[29:30]
	s_wait_kmcnt 0x0
	s_delay_alu instid0(VALU_DEP_1) | instskip(SKIP_1) | instid1(VALU_DEP_2)
	v_add_co_u32 v29, vcc_lo, s4, v29
	s_wait_alu 0xfffd
	v_add_co_ci_u32_e64 v30, null, s5, v30, vcc_lo
	s_clause 0x1
	global_load_b128 v[36:39], v[29:30], off
	global_load_b128 v[40:43], v[29:30], off offset:16
	s_clause 0x1
	global_load_b128 v[44:47], v[6:7], off offset:32
	global_load_b128 v[48:51], v[6:7], off offset:48
	v_cvt_f64_f32_e32 v[29:30], v25
	v_cvt_f64_f32_e32 v[25:26], v26
	v_add_co_u32 v6, vcc_lo, 0x200, v6
	s_wait_alu 0xfffd
	v_add_co_ci_u32_e64 v7, null, 0, v7, vcc_lo
	v_add_co_u32 v23, vcc_lo, v23, 1
	s_wait_alu 0xfffd
	v_add_co_ci_u32_e64 v24, null, 0, v24, vcc_lo
	;; [unrolled: 3-line block ×3, first 2 shown]
	s_delay_alu instid0(VALU_DEP_3)
	v_cmp_eq_u64_e32 vcc_lo, 0, v[23:24]
	s_wait_alu 0xfffe
	s_or_b32 s7, vcc_lo, s7
	s_wait_loadcnt 0x3
	v_fma_f64 v[15:16], v[29:30], v[36:37], v[15:16]
	v_fma_f64 v[17:18], v[25:26], v[36:37], v[17:18]
	;; [unrolled: 1-line block ×4, first 2 shown]
	s_wait_loadcnt 0x1
	v_cvt_f64_f32_e32 v[25:26], v44
	v_cvt_f64_f32_e32 v[27:28], v45
	;; [unrolled: 1-line block ×4, first 2 shown]
	s_wait_loadcnt 0x0
	v_cvt_f64_f32_e32 v[44:45], v51
	v_fma_f64 v[15:16], v[54:55], v[38:39], v[15:16]
	v_fma_f64 v[17:18], v[32:33], v[38:39], v[17:18]
	;; [unrolled: 1-line block ×4, first 2 shown]
	v_cvt_f64_f32_e32 v[32:33], v48
	v_cvt_f64_f32_e32 v[34:35], v49
	;; [unrolled: 1-line block ×3, first 2 shown]
	v_fma_f64 v[15:16], v[25:26], v[40:41], v[15:16]
	v_fma_f64 v[17:18], v[27:28], v[40:41], v[17:18]
	;; [unrolled: 1-line block ×4, first 2 shown]
	s_delay_alu instid0(VALU_DEP_4) | instskip(NEXT) | instid1(VALU_DEP_4)
	v_fma_f64 v[15:16], v[32:33], v[42:43], v[15:16]
	v_fma_f64 v[17:18], v[34:35], v[42:43], v[17:18]
	s_delay_alu instid0(VALU_DEP_4) | instskip(NEXT) | instid1(VALU_DEP_4)
	v_fma_f64 v[13:14], v[38:39], v[42:43], v[13:14]
	v_fma_f64 v[11:12], v[44:45], v[42:43], v[11:12]
	s_wait_alu 0xfffe
	s_and_not1_b32 exec_lo, exec_lo, s7
	s_cbranch_execnz .LBB156_29
; %bb.30:
	s_or_b32 exec_lo, exec_lo, s7
.LBB156_31:
	s_wait_alu 0xfffe
	s_or_b32 exec_lo, exec_lo, s6
	s_delay_alu instid0(SALU_CYCLE_1)
	s_mov_b32 s6, exec_lo
	v_cmpx_lt_u64_e32 23, v[19:20]
	s_cbranch_execz .LBB156_35
; %bb.32:
	v_lshlrev_b64_e32 v[19:20], 2, v[0:1]
	s_mov_b32 s7, 0
	s_delay_alu instid0(VALU_DEP_1) | instskip(SKIP_1) | instid1(VALU_DEP_2)
	v_add_co_u32 v19, vcc_lo, s8, v19
	s_wait_alu 0xfffd
	v_add_co_ci_u32_e64 v20, null, s9, v20, vcc_lo
	s_delay_alu instid0(VALU_DEP_2) | instskip(SKIP_1) | instid1(VALU_DEP_2)
	v_add_co_u32 v19, vcc_lo, v19, 64
	s_wait_alu 0xfffd
	v_add_co_ci_u32_e64 v20, null, 0, v20, vcc_lo
.LBB156_33:                             ; =>This Inner Loop Header: Depth=1
	s_clause 0x2
	global_load_b32 v25, v[19:20], off offset:-64
	global_load_b32 v52, v[19:20], off offset:-32
	global_load_b32 v76, v[19:20], off
	global_load_b128 v[21:24], v[6:7], off
	global_load_b32 v92, v[19:20], off offset:32
	v_add_co_u32 v19, s2, 0x80, v19
	s_wait_alu 0xf1ff
	v_add_co_ci_u32_e64 v20, null, 0, v20, s2
	s_wait_loadcnt 0x4
	v_subrev_nc_u32_e32 v25, s12, v25
	s_wait_loadcnt 0x2
	v_subrev_nc_u32_e32 v76, s12, v76
	s_wait_loadcnt 0x1
	v_cvt_f64_f32_e32 v[80:81], v22
	v_cvt_f64_f32_e32 v[82:83], v23
	v_lshlrev_b32_e32 v25, 2, v25
	v_cvt_f64_f32_e32 v[84:85], v24
	s_delay_alu instid0(VALU_DEP_2) | instskip(NEXT) | instid1(VALU_DEP_1)
	v_ashrrev_i32_e32 v26, 31, v25
	v_lshlrev_b64_e32 v[25:26], 3, v[25:26]
	s_wait_kmcnt 0x0
	s_delay_alu instid0(VALU_DEP_1) | instskip(SKIP_1) | instid1(VALU_DEP_2)
	v_add_co_u32 v29, vcc_lo, s4, v25
	s_wait_alu 0xfffd
	v_add_co_ci_u32_e64 v30, null, s5, v26, vcc_lo
	global_load_b128 v[25:28], v[6:7], off offset:16
	global_load_b128 v[32:35], v[29:30], off
	s_clause 0x1
	global_load_b128 v[36:39], v[6:7], off offset:32
	global_load_b128 v[40:43], v[6:7], off offset:48
	;; [unrolled: 1-line block ×4, first 2 shown]
	v_subrev_nc_u32_e32 v29, s12, v52
	s_delay_alu instid0(VALU_DEP_1) | instskip(NEXT) | instid1(VALU_DEP_1)
	v_lshlrev_b32_e32 v29, 2, v29
	v_ashrrev_i32_e32 v30, 31, v29
	s_delay_alu instid0(VALU_DEP_1) | instskip(NEXT) | instid1(VALU_DEP_1)
	v_lshlrev_b64_e32 v[29:30], 3, v[29:30]
	v_add_co_u32 v29, vcc_lo, s4, v29
	s_wait_alu 0xfffd
	s_delay_alu instid0(VALU_DEP_2)
	v_add_co_ci_u32_e64 v30, null, s5, v30, vcc_lo
	global_load_b128 v[52:55], v[6:7], off offset:528
	global_load_b128 v[56:59], v[29:30], off
	s_clause 0x1
	global_load_b128 v[60:63], v[6:7], off offset:544
	global_load_b128 v[64:67], v[6:7], off offset:560
	;; [unrolled: 1-line block ×4, first 2 shown]
	v_cvt_f64_f32_e32 v[29:30], v21
	v_lshlrev_b32_e32 v21, 2, v76
	s_delay_alu instid0(VALU_DEP_1) | instskip(NEXT) | instid1(VALU_DEP_1)
	v_ashrrev_i32_e32 v22, 31, v21
	v_lshlrev_b64_e32 v[21:22], 3, v[21:22]
	s_delay_alu instid0(VALU_DEP_1) | instskip(SKIP_1) | instid1(VALU_DEP_2)
	v_add_co_u32 v86, vcc_lo, s4, v21
	s_wait_alu 0xfffd
	v_add_co_ci_u32_e64 v87, null, s5, v22, vcc_lo
	global_load_b128 v[21:24], v[6:7], off offset:1040
	global_load_b128 v[76:79], v[86:87], off
	s_wait_loadcnt 0xd
	v_cvt_f64_f32_e32 v[88:89], v25
	v_cvt_f64_f32_e32 v[25:26], v26
	v_cvt_f64_f32_e32 v[90:91], v27
	v_cvt_f64_f32_e32 v[27:28], v28
	s_wait_loadcnt 0xc
	v_fma_f64 v[15:16], v[29:30], v[32:33], v[15:16]
	v_fma_f64 v[17:18], v[80:81], v[32:33], v[17:18]
	;; [unrolled: 1-line block ×4, first 2 shown]
	global_load_b128 v[11:14], v[6:7], off offset:1056
	s_wait_loadcnt 0xc
	v_cvt_f64_f32_e32 v[80:81], v36
	v_cvt_f64_f32_e32 v[36:37], v37
	;; [unrolled: 1-line block ×4, first 2 shown]
	v_fma_f64 v[84:85], v[88:89], v[34:35], v[15:16]
	v_fma_f64 v[88:89], v[25:26], v[34:35], v[17:18]
	;; [unrolled: 1-line block ×4, first 2 shown]
	global_load_b128 v[15:18], v[6:7], off offset:1072
	global_load_b128 v[25:28], v[86:87], off offset:16
	s_wait_loadcnt 0xd
	v_cvt_f64_f32_e32 v[86:87], v40
	v_cvt_f64_f32_e32 v[40:41], v41
	;; [unrolled: 1-line block ×4, first 2 shown]
	s_wait_loadcnt 0xc
	v_fma_f64 v[80:81], v[80:81], v[44:45], v[84:85]
	v_fma_f64 v[36:37], v[36:37], v[44:45], v[88:89]
	;; [unrolled: 1-line block ×4, first 2 shown]
	global_load_b128 v[32:35], v[6:7], off offset:1536
	v_subrev_nc_u32_e32 v84, s12, v92
	s_wait_loadcnt 0xc
	v_cvt_f64_f32_e32 v[44:45], v48
	v_cvt_f64_f32_e32 v[48:49], v49
	;; [unrolled: 1-line block ×4, first 2 shown]
	v_lshlrev_b32_e32 v84, 2, v84
	s_wait_loadcnt 0xb
	v_cvt_f64_f32_e32 v[88:89], v52
	v_cvt_f64_f32_e32 v[52:53], v53
	s_delay_alu instid0(VALU_DEP_3)
	v_ashrrev_i32_e32 v85, 31, v84
	v_fma_f64 v[80:81], v[86:87], v[46:47], v[80:81]
	v_fma_f64 v[86:87], v[40:41], v[46:47], v[36:37]
	;; [unrolled: 1-line block ×4, first 2 shown]
	v_lshlrev_b64_e32 v[36:37], 3, v[84:85]
	v_cvt_f64_f32_e32 v[90:91], v54
	v_cvt_f64_f32_e32 v[54:55], v55
	s_delay_alu instid0(VALU_DEP_3) | instskip(SKIP_1) | instid1(VALU_DEP_4)
	v_add_co_u32 v84, vcc_lo, s4, v36
	s_wait_alu 0xfffd
	v_add_co_ci_u32_e64 v85, null, s5, v37, vcc_lo
	global_load_b128 v[36:39], v[6:7], off offset:1552
	global_load_b128 v[40:43], v[84:85], off
	v_add_co_u32 v0, vcc_lo, v0, 32
	s_wait_alu 0xfffd
	v_add_co_ci_u32_e64 v1, null, 0, v1, vcc_lo
	s_wait_loadcnt 0xc
	v_fma_f64 v[80:81], v[44:45], v[56:57], v[80:81]
	v_fma_f64 v[48:49], v[48:49], v[56:57], v[86:87]
	;; [unrolled: 1-line block ×4, first 2 shown]
	global_load_b128 v[44:47], v[6:7], off offset:1568
	s_wait_loadcnt 0xc
	v_cvt_f64_f32_e32 v[56:57], v60
	v_cvt_f64_f32_e32 v[60:61], v61
	;; [unrolled: 1-line block ×4, first 2 shown]
	v_fma_f64 v[80:81], v[88:89], v[58:59], v[80:81]
	v_fma_f64 v[86:87], v[52:53], v[58:59], v[48:49]
	;; [unrolled: 1-line block ×4, first 2 shown]
	global_load_b128 v[48:51], v[6:7], off offset:1584
	global_load_b128 v[52:55], v[84:85], off offset:16
	s_wait_loadcnt 0xd
	v_cvt_f64_f32_e32 v[84:85], v64
	v_cvt_f64_f32_e32 v[64:65], v65
	v_cvt_f64_f32_e32 v[88:89], v66
	v_cvt_f64_f32_e32 v[66:67], v67
	v_add_co_u32 v6, vcc_lo, 0x800, v6
	s_wait_alu 0xfffd
	v_add_co_ci_u32_e64 v7, null, 0, v7, vcc_lo
	v_cmp_ge_i64_e32 vcc_lo, v[0:1], v[4:5]
	s_wait_alu 0xfffe
	s_or_b32 s7, vcc_lo, s7
	s_wait_loadcnt 0xc
	v_fma_f64 v[56:57], v[56:57], v[68:69], v[80:81]
	v_fma_f64 v[60:61], v[60:61], v[68:69], v[86:87]
	v_fma_f64 v[29:30], v[82:83], v[68:69], v[29:30]
	v_fma_f64 v[58:59], v[62:63], v[68:69], v[58:59]
	s_wait_loadcnt 0xb
	v_cvt_f64_f32_e32 v[62:63], v72
	v_cvt_f64_f32_e32 v[68:69], v73
	v_cvt_f64_f32_e32 v[72:73], v74
	v_cvt_f64_f32_e32 v[74:75], v75
	v_fma_f64 v[56:57], v[84:85], v[70:71], v[56:57]
	v_fma_f64 v[60:61], v[64:65], v[70:71], v[60:61]
	v_fma_f64 v[29:30], v[88:89], v[70:71], v[29:30]
	v_fma_f64 v[58:59], v[66:67], v[70:71], v[58:59]
	s_wait_loadcnt 0xa
	v_cvt_f64_f32_e32 v[64:65], v21
	v_cvt_f64_f32_e32 v[21:22], v22
	v_cvt_f64_f32_e32 v[66:67], v23
	v_cvt_f64_f32_e32 v[23:24], v24
	s_wait_loadcnt 0x9
	v_fma_f64 v[56:57], v[62:63], v[76:77], v[56:57]
	v_fma_f64 v[60:61], v[68:69], v[76:77], v[60:61]
	v_fma_f64 v[29:30], v[72:73], v[76:77], v[29:30]
	v_fma_f64 v[58:59], v[74:75], v[76:77], v[58:59]
	s_wait_loadcnt 0x8
	v_cvt_f64_f32_e32 v[62:63], v11
	v_cvt_f64_f32_e32 v[11:12], v12
	v_cvt_f64_f32_e32 v[68:69], v13
	v_cvt_f64_f32_e32 v[13:14], v14
	v_fma_f64 v[56:57], v[64:65], v[78:79], v[56:57]
	v_fma_f64 v[21:22], v[21:22], v[78:79], v[60:61]
	v_fma_f64 v[29:30], v[66:67], v[78:79], v[29:30]
	v_fma_f64 v[23:24], v[23:24], v[78:79], v[58:59]
	s_wait_loadcnt 0x7
	v_cvt_f64_f32_e32 v[58:59], v15
	v_cvt_f64_f32_e32 v[15:16], v16
	v_cvt_f64_f32_e32 v[60:61], v17
	v_cvt_f64_f32_e32 v[17:18], v18
	;; [unrolled: 19-line block ×4, first 2 shown]
	s_wait_loadcnt 0x0
	v_fma_f64 v[17:18], v[25:26], v[52:53], v[17:18]
	v_fma_f64 v[11:12], v[29:30], v[52:53], v[11:12]
	;; [unrolled: 1-line block ×4, first 2 shown]
	s_delay_alu instid0(VALU_DEP_4) | instskip(NEXT) | instid1(VALU_DEP_4)
	v_fma_f64 v[15:16], v[21:22], v[54:55], v[17:18]
	v_fma_f64 v[17:18], v[23:24], v[54:55], v[11:12]
	s_delay_alu instid0(VALU_DEP_4) | instskip(NEXT) | instid1(VALU_DEP_4)
	v_fma_f64 v[13:14], v[27:28], v[54:55], v[25:26]
	v_fma_f64 v[11:12], v[36:37], v[54:55], v[29:30]
	s_wait_alu 0xfffe
	s_and_not1_b32 exec_lo, exec_lo, s7
	s_cbranch_execnz .LBB156_33
; %bb.34:
	s_or_b32 exec_lo, exec_lo, s7
.LBB156_35:
	s_wait_alu 0xfffe
	s_or_b32 exec_lo, exec_lo, s6
.LBB156_36:
	s_wait_alu 0xfffe
	s_or_b32 exec_lo, exec_lo, s3
.LBB156_37:
	v_mbcnt_lo_u32_b32 v23, -1, 0
	s_delay_alu instid0(VALU_DEP_1) | instskip(NEXT) | instid1(VALU_DEP_1)
	v_xor_b32_e32 v0, 4, v23
	v_cmp_gt_i32_e32 vcc_lo, 32, v0
	s_wait_alu 0xfffd
	v_cndmask_b32_e32 v0, v23, v0, vcc_lo
	s_delay_alu instid0(VALU_DEP_1)
	v_lshlrev_b32_e32 v20, 2, v0
	ds_bpermute_b32 v0, v20, v15
	ds_bpermute_b32 v1, v20, v16
	;; [unrolled: 1-line block ×8, first 2 shown]
	s_wait_dscnt 0x6
	v_add_f64_e32 v[0:1], v[15:16], v[0:1]
	s_wait_dscnt 0x4
	v_add_f64_e32 v[4:5], v[17:18], v[4:5]
	;; [unrolled: 2-line block ×3, first 2 shown]
	v_xor_b32_e32 v6, 2, v23
	s_wait_dscnt 0x0
	v_add_f64_e32 v[15:16], v[11:12], v[19:20]
	s_delay_alu instid0(VALU_DEP_2) | instskip(SKIP_2) | instid1(VALU_DEP_1)
	v_cmp_gt_i32_e32 vcc_lo, 32, v6
	s_wait_alu 0xfffd
	v_cndmask_b32_e32 v6, v23, v6, vcc_lo
	v_lshlrev_b32_e32 v11, 2, v6
	ds_bpermute_b32 v6, v11, v0
	ds_bpermute_b32 v7, v11, v1
	;; [unrolled: 1-line block ×8, first 2 shown]
	s_wait_dscnt 0x6
	v_add_f64_e32 v[11:12], v[0:1], v[6:7]
	s_wait_dscnt 0x4
	v_add_f64_e32 v[6:7], v[4:5], v[17:18]
	;; [unrolled: 2-line block ×3, first 2 shown]
	v_xor_b32_e32 v13, 1, v23
	s_wait_dscnt 0x0
	v_add_f64_e32 v[4:5], v[15:16], v[21:22]
	s_delay_alu instid0(VALU_DEP_2) | instskip(SKIP_3) | instid1(VALU_DEP_2)
	v_cmp_gt_i32_e32 vcc_lo, 32, v13
	s_wait_alu 0xfffd
	v_cndmask_b32_e32 v13, v23, v13, vcc_lo
	v_cmp_eq_u32_e32 vcc_lo, 7, v31
	v_lshlrev_b32_e32 v14, 2, v13
	ds_bpermute_b32 v19, v14, v11
	ds_bpermute_b32 v20, v14, v12
	;; [unrolled: 1-line block ×8, first 2 shown]
	s_and_b32 exec_lo, exec_lo, vcc_lo
	s_cbranch_execz .LBB156_10
; %bb.38:
	s_wait_dscnt 0x6
	v_add_f64_e32 v[11:12], v[11:12], v[19:20]
	s_wait_dscnt 0x4
	v_add_f64_e32 v[6:7], v[6:7], v[17:18]
	s_wait_dscnt 0x2
	v_add_f64_e32 v[0:1], v[0:1], v[15:16]
	s_wait_dscnt 0x0
	v_add_f64_e32 v[13:14], v[4:5], v[13:14]
	s_load_b64 s[0:1], s[0:1], 0x50
	v_lshlrev_b32_e32 v10, 2, v10
	s_mov_b32 s2, exec_lo
	v_mul_f64_e32 v[4:5], v[2:3], v[11:12]
	v_mul_f64_e32 v[6:7], v[2:3], v[6:7]
	;; [unrolled: 1-line block ×4, first 2 shown]
	v_cmpx_eq_f64_e32 0, v[8:9]
	s_wait_alu 0xfffe
	s_xor_b32 s2, exec_lo, s2
	s_cbranch_execz .LBB156_40
; %bb.39:
	v_ashrrev_i32_e32 v11, 31, v10
	s_delay_alu instid0(VALU_DEP_1) | instskip(SKIP_1) | instid1(VALU_DEP_1)
	v_lshlrev_b64_e32 v[8:9], 3, v[10:11]
                                        ; implicit-def: $vgpr10
	s_wait_kmcnt 0x0
	v_add_co_u32 v8, vcc_lo, s0, v8
	s_wait_alu 0xfffd
	s_delay_alu instid0(VALU_DEP_2)
	v_add_co_ci_u32_e64 v9, null, s1, v9, vcc_lo
	s_clause 0x1
	global_store_b128 v[8:9], v[4:7], off
	global_store_b128 v[8:9], v[0:3], off offset:16
                                        ; implicit-def: $vgpr8_vgpr9
                                        ; implicit-def: $vgpr4_vgpr5
                                        ; implicit-def: $vgpr0_vgpr1
.LBB156_40:
	s_wait_alu 0xfffe
	s_and_not1_saveexec_b32 s2, s2
	s_cbranch_execz .LBB156_10
; %bb.41:
	v_ashrrev_i32_e32 v11, 31, v10
	s_delay_alu instid0(VALU_DEP_1) | instskip(SKIP_1) | instid1(VALU_DEP_1)
	v_lshlrev_b64_e32 v[10:11], 3, v[10:11]
	s_wait_kmcnt 0x0
	v_add_co_u32 v18, vcc_lo, s0, v10
	s_wait_alu 0xfffd
	s_delay_alu instid0(VALU_DEP_2)
	v_add_co_ci_u32_e64 v19, null, s1, v11, vcc_lo
	s_clause 0x1
	global_load_b128 v[10:13], v[18:19], off
	global_load_b128 v[14:17], v[18:19], off offset:16
	s_wait_loadcnt 0x1
	v_fma_f64 v[4:5], v[8:9], v[10:11], v[4:5]
	v_fma_f64 v[6:7], v[8:9], v[12:13], v[6:7]
	s_wait_loadcnt 0x0
	v_fma_f64 v[0:1], v[8:9], v[14:15], v[0:1]
	v_fma_f64 v[2:3], v[8:9], v[16:17], v[2:3]
	s_clause 0x1
	global_store_b128 v[18:19], v[4:7], off
	global_store_b128 v[18:19], v[0:3], off offset:16
	s_nop 0
	s_sendmsg sendmsg(MSG_DEALLOC_VGPRS)
	s_endpgm
	.section	.rodata,"a",@progbits
	.p2align	6, 0x0
	.amdhsa_kernel _ZN9rocsparseL18bsrxmvn_4x4_kernelILj128ELj8EdlifddEEvT3_20rocsparse_direction_NS_24const_host_device_scalarIT1_EES1_PKS1_PKT2_SA_S7_PKT4_PKT5_S5_PT6_21rocsparse_index_base_b
		.amdhsa_group_segment_fixed_size 0
		.amdhsa_private_segment_fixed_size 0
		.amdhsa_kernarg_size 96
		.amdhsa_user_sgpr_count 2
		.amdhsa_user_sgpr_dispatch_ptr 0
		.amdhsa_user_sgpr_queue_ptr 0
		.amdhsa_user_sgpr_kernarg_segment_ptr 1
		.amdhsa_user_sgpr_dispatch_id 0
		.amdhsa_user_sgpr_private_segment_size 0
		.amdhsa_wavefront_size32 1
		.amdhsa_uses_dynamic_stack 0
		.amdhsa_enable_private_segment 0
		.amdhsa_system_sgpr_workgroup_id_x 1
		.amdhsa_system_sgpr_workgroup_id_y 0
		.amdhsa_system_sgpr_workgroup_id_z 0
		.amdhsa_system_sgpr_workgroup_info 0
		.amdhsa_system_vgpr_workitem_id 0
		.amdhsa_next_free_vgpr 112
		.amdhsa_next_free_sgpr 14
		.amdhsa_reserve_vcc 1
		.amdhsa_float_round_mode_32 0
		.amdhsa_float_round_mode_16_64 0
		.amdhsa_float_denorm_mode_32 3
		.amdhsa_float_denorm_mode_16_64 3
		.amdhsa_fp16_overflow 0
		.amdhsa_workgroup_processor_mode 1
		.amdhsa_memory_ordered 1
		.amdhsa_forward_progress 1
		.amdhsa_inst_pref_size 49
		.amdhsa_round_robin_scheduling 0
		.amdhsa_exception_fp_ieee_invalid_op 0
		.amdhsa_exception_fp_denorm_src 0
		.amdhsa_exception_fp_ieee_div_zero 0
		.amdhsa_exception_fp_ieee_overflow 0
		.amdhsa_exception_fp_ieee_underflow 0
		.amdhsa_exception_fp_ieee_inexact 0
		.amdhsa_exception_int_div_zero 0
	.end_amdhsa_kernel
	.section	.text._ZN9rocsparseL18bsrxmvn_4x4_kernelILj128ELj8EdlifddEEvT3_20rocsparse_direction_NS_24const_host_device_scalarIT1_EES1_PKS1_PKT2_SA_S7_PKT4_PKT5_S5_PT6_21rocsparse_index_base_b,"axG",@progbits,_ZN9rocsparseL18bsrxmvn_4x4_kernelILj128ELj8EdlifddEEvT3_20rocsparse_direction_NS_24const_host_device_scalarIT1_EES1_PKS1_PKT2_SA_S7_PKT4_PKT5_S5_PT6_21rocsparse_index_base_b,comdat
.Lfunc_end156:
	.size	_ZN9rocsparseL18bsrxmvn_4x4_kernelILj128ELj8EdlifddEEvT3_20rocsparse_direction_NS_24const_host_device_scalarIT1_EES1_PKS1_PKT2_SA_S7_PKT4_PKT5_S5_PT6_21rocsparse_index_base_b, .Lfunc_end156-_ZN9rocsparseL18bsrxmvn_4x4_kernelILj128ELj8EdlifddEEvT3_20rocsparse_direction_NS_24const_host_device_scalarIT1_EES1_PKS1_PKT2_SA_S7_PKT4_PKT5_S5_PT6_21rocsparse_index_base_b
                                        ; -- End function
	.set _ZN9rocsparseL18bsrxmvn_4x4_kernelILj128ELj8EdlifddEEvT3_20rocsparse_direction_NS_24const_host_device_scalarIT1_EES1_PKS1_PKT2_SA_S7_PKT4_PKT5_S5_PT6_21rocsparse_index_base_b.num_vgpr, 112
	.set _ZN9rocsparseL18bsrxmvn_4x4_kernelILj128ELj8EdlifddEEvT3_20rocsparse_direction_NS_24const_host_device_scalarIT1_EES1_PKS1_PKT2_SA_S7_PKT4_PKT5_S5_PT6_21rocsparse_index_base_b.num_agpr, 0
	.set _ZN9rocsparseL18bsrxmvn_4x4_kernelILj128ELj8EdlifddEEvT3_20rocsparse_direction_NS_24const_host_device_scalarIT1_EES1_PKS1_PKT2_SA_S7_PKT4_PKT5_S5_PT6_21rocsparse_index_base_b.numbered_sgpr, 14
	.set _ZN9rocsparseL18bsrxmvn_4x4_kernelILj128ELj8EdlifddEEvT3_20rocsparse_direction_NS_24const_host_device_scalarIT1_EES1_PKS1_PKT2_SA_S7_PKT4_PKT5_S5_PT6_21rocsparse_index_base_b.num_named_barrier, 0
	.set _ZN9rocsparseL18bsrxmvn_4x4_kernelILj128ELj8EdlifddEEvT3_20rocsparse_direction_NS_24const_host_device_scalarIT1_EES1_PKS1_PKT2_SA_S7_PKT4_PKT5_S5_PT6_21rocsparse_index_base_b.private_seg_size, 0
	.set _ZN9rocsparseL18bsrxmvn_4x4_kernelILj128ELj8EdlifddEEvT3_20rocsparse_direction_NS_24const_host_device_scalarIT1_EES1_PKS1_PKT2_SA_S7_PKT4_PKT5_S5_PT6_21rocsparse_index_base_b.uses_vcc, 1
	.set _ZN9rocsparseL18bsrxmvn_4x4_kernelILj128ELj8EdlifddEEvT3_20rocsparse_direction_NS_24const_host_device_scalarIT1_EES1_PKS1_PKT2_SA_S7_PKT4_PKT5_S5_PT6_21rocsparse_index_base_b.uses_flat_scratch, 0
	.set _ZN9rocsparseL18bsrxmvn_4x4_kernelILj128ELj8EdlifddEEvT3_20rocsparse_direction_NS_24const_host_device_scalarIT1_EES1_PKS1_PKT2_SA_S7_PKT4_PKT5_S5_PT6_21rocsparse_index_base_b.has_dyn_sized_stack, 0
	.set _ZN9rocsparseL18bsrxmvn_4x4_kernelILj128ELj8EdlifddEEvT3_20rocsparse_direction_NS_24const_host_device_scalarIT1_EES1_PKS1_PKT2_SA_S7_PKT4_PKT5_S5_PT6_21rocsparse_index_base_b.has_recursion, 0
	.set _ZN9rocsparseL18bsrxmvn_4x4_kernelILj128ELj8EdlifddEEvT3_20rocsparse_direction_NS_24const_host_device_scalarIT1_EES1_PKS1_PKT2_SA_S7_PKT4_PKT5_S5_PT6_21rocsparse_index_base_b.has_indirect_call, 0
	.section	.AMDGPU.csdata,"",@progbits
; Kernel info:
; codeLenInByte = 6152
; TotalNumSgprs: 16
; NumVgprs: 112
; ScratchSize: 0
; MemoryBound: 0
; FloatMode: 240
; IeeeMode: 1
; LDSByteSize: 0 bytes/workgroup (compile time only)
; SGPRBlocks: 0
; VGPRBlocks: 13
; NumSGPRsForWavesPerEU: 16
; NumVGPRsForWavesPerEU: 112
; Occupancy: 12
; WaveLimiterHint : 1
; COMPUTE_PGM_RSRC2:SCRATCH_EN: 0
; COMPUTE_PGM_RSRC2:USER_SGPR: 2
; COMPUTE_PGM_RSRC2:TRAP_HANDLER: 0
; COMPUTE_PGM_RSRC2:TGID_X_EN: 1
; COMPUTE_PGM_RSRC2:TGID_Y_EN: 0
; COMPUTE_PGM_RSRC2:TGID_Z_EN: 0
; COMPUTE_PGM_RSRC2:TIDIG_COMP_CNT: 0
	.section	.text._ZN9rocsparseL18bsrxmvn_4x4_kernelILj128ELj16EdlifddEEvT3_20rocsparse_direction_NS_24const_host_device_scalarIT1_EES1_PKS1_PKT2_SA_S7_PKT4_PKT5_S5_PT6_21rocsparse_index_base_b,"axG",@progbits,_ZN9rocsparseL18bsrxmvn_4x4_kernelILj128ELj16EdlifddEEvT3_20rocsparse_direction_NS_24const_host_device_scalarIT1_EES1_PKS1_PKT2_SA_S7_PKT4_PKT5_S5_PT6_21rocsparse_index_base_b,comdat
	.globl	_ZN9rocsparseL18bsrxmvn_4x4_kernelILj128ELj16EdlifddEEvT3_20rocsparse_direction_NS_24const_host_device_scalarIT1_EES1_PKS1_PKT2_SA_S7_PKT4_PKT5_S5_PT6_21rocsparse_index_base_b ; -- Begin function _ZN9rocsparseL18bsrxmvn_4x4_kernelILj128ELj16EdlifddEEvT3_20rocsparse_direction_NS_24const_host_device_scalarIT1_EES1_PKS1_PKT2_SA_S7_PKT4_PKT5_S5_PT6_21rocsparse_index_base_b
	.p2align	8
	.type	_ZN9rocsparseL18bsrxmvn_4x4_kernelILj128ELj16EdlifddEEvT3_20rocsparse_direction_NS_24const_host_device_scalarIT1_EES1_PKS1_PKT2_SA_S7_PKT4_PKT5_S5_PT6_21rocsparse_index_base_b,@function
_ZN9rocsparseL18bsrxmvn_4x4_kernelILj128ELj16EdlifddEEvT3_20rocsparse_direction_NS_24const_host_device_scalarIT1_EES1_PKS1_PKT2_SA_S7_PKT4_PKT5_S5_PT6_21rocsparse_index_base_b: ; @_ZN9rocsparseL18bsrxmvn_4x4_kernelILj128ELj16EdlifddEEvT3_20rocsparse_direction_NS_24const_host_device_scalarIT1_EES1_PKS1_PKT2_SA_S7_PKT4_PKT5_S5_PT6_21rocsparse_index_base_b
; %bb.0:
	s_clause 0x2
	s_load_b64 s[12:13], s[0:1], 0x58
	s_load_b64 s[4:5], s[0:1], 0x8
	;; [unrolled: 1-line block ×3, first 2 shown]
	s_wait_kmcnt 0x0
	s_bitcmp1_b32 s13, 0
	v_dual_mov_b32 v2, s4 :: v_dual_mov_b32 v3, s5
	s_cselect_b32 s6, -1, 0
	s_delay_alu instid0(SALU_CYCLE_1)
	s_and_b32 vcc_lo, exec_lo, s6
	s_xor_b32 s6, s6, -1
	s_cbranch_vccnz .LBB157_2
; %bb.1:
	v_dual_mov_b32 v1, s4 :: v_dual_mov_b32 v2, s5
	flat_load_b64 v[2:3], v[1:2]
.LBB157_2:
	v_dual_mov_b32 v9, s3 :: v_dual_mov_b32 v8, s2
	s_and_not1_b32 vcc_lo, exec_lo, s6
	s_cbranch_vccnz .LBB157_4
; %bb.3:
	v_dual_mov_b32 v5, s3 :: v_dual_mov_b32 v4, s2
	flat_load_b64 v[8:9], v[4:5]
.LBB157_4:
	s_wait_loadcnt_dscnt 0x0
	v_cmp_neq_f64_e32 vcc_lo, 0, v[2:3]
	v_cmp_neq_f64_e64 s2, 1.0, v[8:9]
	s_or_b32 s2, vcc_lo, s2
	s_wait_alu 0xfffe
	s_and_saveexec_b32 s3, s2
	s_cbranch_execz .LBB157_10
; %bb.5:
	s_clause 0x1
	s_load_b64 s[4:5], s[0:1], 0x18
	s_load_b64 s[2:3], s[0:1], 0x0
	v_lshrrev_b32_e32 v1, 4, v0
	s_delay_alu instid0(VALU_DEP_1)
	v_lshl_or_b32 v10, ttmp9, 3, v1
	s_wait_kmcnt 0x0
	s_cmp_lg_u64 s[4:5], 0
	s_cbranch_scc0 .LBB157_11
; %bb.6:
	s_load_b32 s6, s[0:1], 0x10
	s_mov_b32 s7, 0
                                        ; implicit-def: $vgpr1
	s_wait_kmcnt 0x0
	v_cmp_gt_i32_e32 vcc_lo, s6, v10
	s_mov_b32 s6, 0
	s_and_saveexec_b32 s8, vcc_lo
	s_delay_alu instid0(SALU_CYCLE_1)
	s_xor_b32 s8, exec_lo, s8
	s_cbranch_execz .LBB157_8
; %bb.7:
	v_ashrrev_i32_e32 v11, 31, v10
	s_mov_b32 s6, exec_lo
	s_delay_alu instid0(VALU_DEP_1) | instskip(NEXT) | instid1(VALU_DEP_1)
	v_lshlrev_b64_e32 v[4:5], 2, v[10:11]
	v_add_co_u32 v4, vcc_lo, s4, v4
	s_delay_alu instid0(VALU_DEP_1)
	v_add_co_ci_u32_e64 v5, null, s5, v5, vcc_lo
	global_load_b32 v1, v[4:5], off
	s_wait_loadcnt 0x0
	v_subrev_nc_u32_e32 v1, s12, v1
.LBB157_8:
	s_or_b32 exec_lo, exec_lo, s8
	s_delay_alu instid0(SALU_CYCLE_1)
	s_and_b32 vcc_lo, exec_lo, s7
	s_wait_alu 0xfffe
	s_cbranch_vccz .LBB157_12
.LBB157_9:
	v_cmp_gt_i32_e32 vcc_lo, s2, v10
	s_and_not1_b32 s2, s6, exec_lo
	s_and_b32 s4, vcc_lo, exec_lo
	s_wait_alu 0xfffe
	s_or_b32 s6, s2, s4
	s_wait_alu 0xfffe
	s_and_b32 exec_lo, exec_lo, s6
	s_cbranch_execnz .LBB157_13
.LBB157_10:
	s_nop 0
	s_sendmsg sendmsg(MSG_DEALLOC_VGPRS)
	s_endpgm
.LBB157_11:
	s_mov_b32 s6, 0
                                        ; implicit-def: $vgpr1
	s_cbranch_execnz .LBB157_9
.LBB157_12:
	v_mov_b32_e32 v10, v1
	s_and_b32 exec_lo, exec_lo, s6
	s_cbranch_execz .LBB157_10
.LBB157_13:
	s_load_b256 s[4:11], s[0:1], 0x20
	s_delay_alu instid0(VALU_DEP_1) | instskip(SKIP_1) | instid1(VALU_DEP_2)
	v_ashrrev_i32_e32 v11, 31, v10
	v_and_b32_e32 v31, 15, v0
	v_lshlrev_b64_e32 v[4:5], 3, v[10:11]
	s_wait_kmcnt 0x0
	s_delay_alu instid0(VALU_DEP_1) | instskip(SKIP_1) | instid1(VALU_DEP_2)
	v_add_co_u32 v6, vcc_lo, s4, v4
	s_wait_alu 0xfffd
	v_add_co_ci_u32_e64 v7, null, s5, v5, vcc_lo
	v_add_co_u32 v1, vcc_lo, s6, v4
	s_wait_alu 0xfffd
	v_add_co_ci_u32_e64 v4, null, s7, v5, vcc_lo
	v_add_co_u32 v11, vcc_lo, v6, 8
	global_load_b64 v[19:20], v[6:7], off
	s_wait_alu 0xfffd
	v_add_co_ci_u32_e64 v5, null, 0, v7, vcc_lo
	s_cmp_eq_u64 s[6:7], 0
	s_load_b64 s[4:5], s[0:1], 0x40
	s_cselect_b32 vcc_lo, -1, 0
	s_cmp_eq_u32 s3, 1
	s_wait_alu 0xfffe
	v_dual_cndmask_b32 v5, v4, v5 :: v_dual_cndmask_b32 v4, v1, v11
	global_load_b64 v[4:5], v[4:5], off
	s_wait_loadcnt 0x1
	v_sub_co_u32 v0, vcc_lo, v19, s12
	s_wait_alu 0xfffd
	v_subrev_co_ci_u32_e64 v1, null, 0, v20, vcc_lo
	s_delay_alu instid0(VALU_DEP_2) | instskip(SKIP_1) | instid1(VALU_DEP_2)
	v_add_co_u32 v0, vcc_lo, v0, v31
	s_wait_alu 0xfffd
	v_add_co_ci_u32_e64 v1, null, 0, v1, vcc_lo
	s_delay_alu instid0(VALU_DEP_1) | instskip(SKIP_4) | instid1(VALU_DEP_3)
	v_lshlrev_b64_e32 v[6:7], 6, v[0:1]
	s_wait_loadcnt 0x0
	v_sub_co_u32 v4, vcc_lo, v4, s12
	s_wait_alu 0xfffd
	v_subrev_co_ci_u32_e64 v5, null, 0, v5, vcc_lo
	v_add_co_u32 v6, vcc_lo, s10, v6
	s_delay_alu instid0(VALU_DEP_2)
	v_cmp_lt_i64_e64 s2, v[0:1], v[4:5]
	s_wait_alu 0xfffd
	v_add_co_ci_u32_e64 v7, null, s11, v7, vcc_lo
	s_cbranch_scc1 .LBB157_25
; %bb.14:
	v_mov_b32_e32 v11, 0
	v_dual_mov_b32 v17, 0 :: v_dual_mov_b32 v12, 0
	v_dual_mov_b32 v13, 0 :: v_dual_mov_b32 v18, 0
	v_dual_mov_b32 v15, 0 :: v_dual_mov_b32 v14, 0
	v_mov_b32_e32 v16, 0
	s_and_saveexec_b32 s6, s2
	s_cbranch_execz .LBB157_24
; %bb.15:
	v_or_b32_e32 v11, 16, v31
	v_not_b32_e32 v14, v19
	v_not_b32_e32 v13, v20
	v_dual_mov_b32 v24, v1 :: v_dual_mov_b32 v23, v0
	s_delay_alu instid0(VALU_DEP_4) | instskip(SKIP_3) | instid1(VALU_DEP_3)
	v_sub_co_u32 v11, s3, v11, s12
	s_wait_alu 0xf1ff
	v_sub_co_ci_u32_e64 v12, null, 0, 0, s3
	v_sub_co_u32 v15, s3, s12, v31
	v_add_co_u32 v11, vcc_lo, v11, v19
	s_wait_alu 0xfffd
	s_delay_alu instid0(VALU_DEP_3) | instskip(SKIP_3) | instid1(VALU_DEP_3)
	v_add_co_ci_u32_e64 v12, null, v12, v20, vcc_lo
	s_wait_alu 0xf1ff
	v_sub_co_ci_u32_e64 v16, null, 0, 0, s3
	v_mov_b32_e32 v17, 0
	v_cmp_gt_i64_e32 vcc_lo, v[11:12], v[4:5]
	v_mov_b32_e32 v18, 0
	s_wait_alu 0xfffd
	v_dual_cndmask_b32 v12, v5, v12 :: v_dual_cndmask_b32 v11, v4, v11
	v_add_co_u32 v14, vcc_lo, v15, v14
	s_wait_alu 0xfffd
	v_add_co_ci_u32_e64 v13, null, v16, v13, vcc_lo
	v_mov_b32_e32 v15, 0
	s_delay_alu instid0(VALU_DEP_3) | instskip(SKIP_3) | instid1(VALU_DEP_3)
	v_add_co_u32 v25, vcc_lo, v14, v11
	v_mov_b32_e32 v22, 0
	s_wait_alu 0xfffd
	v_add_co_ci_u32_e64 v26, null, v13, v12, vcc_lo
	v_and_b32_e32 v21, 48, v25
	v_dual_mov_b32 v13, 0 :: v_dual_mov_b32 v16, 0
	v_dual_mov_b32 v14, 0 :: v_dual_mov_b32 v11, 0
	s_delay_alu instid0(VALU_DEP_3)
	v_cmp_ne_u64_e32 vcc_lo, 48, v[21:22]
	v_mov_b32_e32 v12, 0
	v_dual_mov_b32 v22, v7 :: v_dual_mov_b32 v21, v6
	s_and_saveexec_b32 s7, vcc_lo
	s_cbranch_execz .LBB157_19
; %bb.16:
	v_lshrrev_b32_e32 v11, 4, v25
	v_lshlrev_b64_e32 v[15:16], 2, v[0:1]
	v_mov_b32_e32 v13, 0
	v_mov_b32_e32 v17, 0
	s_delay_alu instid0(VALU_DEP_4) | instskip(SKIP_3) | instid1(VALU_DEP_4)
	v_dual_mov_b32 v18, 0 :: v_dual_add_nc_u32 v23, 1, v11
	v_dual_mov_b32 v11, 0 :: v_dual_mov_b32 v22, v7
	v_mov_b32_e32 v12, 0
	v_add_co_u32 v27, vcc_lo, s8, v15
	v_and_b32_e32 v23, 3, v23
	s_wait_alu 0xfffd
	v_add_co_ci_u32_e64 v28, null, s9, v16, vcc_lo
	v_mov_b32_e32 v15, 0
	v_dual_mov_b32 v21, v6 :: v_dual_mov_b32 v14, 0
	v_sub_co_u32 v29, s3, 0, v23
	v_mov_b32_e32 v24, v1
	s_wait_alu 0xf1ff
	v_sub_co_ci_u32_e64 v30, null, 0, 0, s3
	v_dual_mov_b32 v16, 0 :: v_dual_mov_b32 v23, v0
	s_mov_b32 s10, 0
.LBB157_17:                             ; =>This Inner Loop Header: Depth=1
	global_load_b32 v48, v[27:28], off
	s_clause 0x3
	global_load_b128 v[32:35], v[21:22], off
	global_load_b128 v[36:39], v[21:22], off offset:16
	global_load_b128 v[40:43], v[21:22], off offset:32
	;; [unrolled: 1-line block ×3, first 2 shown]
	v_add_co_u32 v27, s3, v27, 64
	s_wait_alu 0xf1ff
	v_add_co_ci_u32_e64 v28, null, 0, v28, s3
	s_wait_loadcnt 0x4
	v_subrev_nc_u32_e32 v48, s12, v48
	s_wait_loadcnt 0x3
	v_cvt_f64_f32_e32 v[56:57], v32
	s_wait_loadcnt 0x2
	v_cvt_f64_f32_e32 v[58:59], v36
	;; [unrolled: 2-line block ×4, first 2 shown]
	v_lshlrev_b32_e32 v48, 2, v48
	v_cvt_f64_f32_e32 v[32:33], v33
	v_cvt_f64_f32_e32 v[36:37], v37
	;; [unrolled: 1-line block ×4, first 2 shown]
	v_ashrrev_i32_e32 v49, 31, v48
	s_delay_alu instid0(VALU_DEP_1) | instskip(SKIP_1) | instid1(VALU_DEP_1)
	v_lshlrev_b64_e32 v[48:49], 3, v[48:49]
	s_wait_kmcnt 0x0
	v_add_co_u32 v52, vcc_lo, s4, v48
	s_wait_alu 0xfffd
	s_delay_alu instid0(VALU_DEP_2)
	v_add_co_ci_u32_e64 v53, null, s5, v49, vcc_lo
	v_add_co_u32 v21, vcc_lo, 0x400, v21
	s_wait_alu 0xfffd
	v_add_co_ci_u32_e64 v22, null, 0, v22, vcc_lo
	s_clause 0x1
	global_load_b128 v[48:51], v[52:53], off
	global_load_b128 v[52:55], v[52:53], off offset:16
	v_add_co_u32 v29, vcc_lo, v29, 1
	s_wait_alu 0xfffd
	v_add_co_ci_u32_e64 v30, null, 0, v30, vcc_lo
	v_add_co_u32 v23, vcc_lo, v23, 16
	s_wait_alu 0xfffd
	v_add_co_ci_u32_e64 v24, null, 0, v24, vcc_lo
	s_delay_alu instid0(VALU_DEP_3)
	v_cmp_eq_u64_e32 vcc_lo, 0, v[29:30]
	s_wait_alu 0xfffe
	s_or_b32 s10, vcc_lo, s10
	s_wait_loadcnt 0x1
	v_fma_f64 v[15:16], v[56:57], v[48:49], v[15:16]
	v_fma_f64 v[17:18], v[58:59], v[48:49], v[17:18]
	;; [unrolled: 1-line block ×4, first 2 shown]
	v_cvt_f64_f32_e32 v[48:49], v34
	v_cvt_f64_f32_e32 v[56:57], v38
	;; [unrolled: 1-line block ×4, first 2 shown]
	v_fma_f64 v[15:16], v[32:33], v[50:51], v[15:16]
	v_fma_f64 v[17:18], v[36:37], v[50:51], v[17:18]
	;; [unrolled: 1-line block ×4, first 2 shown]
	v_cvt_f64_f32_e32 v[32:33], v35
	v_cvt_f64_f32_e32 v[34:35], v39
	;; [unrolled: 1-line block ×4, first 2 shown]
	s_wait_loadcnt 0x0
	v_fma_f64 v[15:16], v[48:49], v[52:53], v[15:16]
	v_fma_f64 v[17:18], v[56:57], v[52:53], v[17:18]
	;; [unrolled: 1-line block ×4, first 2 shown]
	s_delay_alu instid0(VALU_DEP_4) | instskip(NEXT) | instid1(VALU_DEP_4)
	v_fma_f64 v[15:16], v[32:33], v[54:55], v[15:16]
	v_fma_f64 v[17:18], v[34:35], v[54:55], v[17:18]
	s_delay_alu instid0(VALU_DEP_4) | instskip(NEXT) | instid1(VALU_DEP_4)
	v_fma_f64 v[13:14], v[36:37], v[54:55], v[13:14]
	v_fma_f64 v[11:12], v[38:39], v[54:55], v[11:12]
	s_wait_alu 0xfffe
	s_and_not1_b32 exec_lo, exec_lo, s10
	s_cbranch_execnz .LBB157_17
; %bb.18:
	s_or_b32 exec_lo, exec_lo, s10
.LBB157_19:
	s_wait_alu 0xfffe
	s_or_b32 exec_lo, exec_lo, s7
	s_delay_alu instid0(SALU_CYCLE_1)
	s_mov_b32 s7, exec_lo
	v_cmpx_lt_u64_e32 47, v[25:26]
	s_cbranch_execz .LBB157_23
; %bb.20:
	v_lshlrev_b64_e32 v[25:26], 2, v[23:24]
	s_mov_b32 s10, 0
	s_delay_alu instid0(VALU_DEP_1) | instskip(SKIP_1) | instid1(VALU_DEP_2)
	v_add_co_u32 v25, vcc_lo, s8, v25
	s_wait_alu 0xfffd
	v_add_co_ci_u32_e64 v26, null, s9, v26, vcc_lo
	s_delay_alu instid0(VALU_DEP_2) | instskip(SKIP_1) | instid1(VALU_DEP_2)
	v_add_co_u32 v25, vcc_lo, 0x80, v25
	s_wait_alu 0xfffd
	v_add_co_ci_u32_e64 v26, null, 0, v26, vcc_lo
.LBB157_21:                             ; =>This Inner Loop Header: Depth=1
	s_clause 0x2
	global_load_b32 v44, v[25:26], off offset:-128
	global_load_b32 v68, v[25:26], off offset:-64
	global_load_b32 v92, v[25:26], off
	s_clause 0x3
	global_load_b128 v[27:30], v[21:22], off
	global_load_b128 v[32:35], v[21:22], off offset:16
	global_load_b128 v[36:39], v[21:22], off offset:32
	;; [unrolled: 1-line block ×3, first 2 shown]
	global_load_b32 v106, v[25:26], off offset:64
	v_add_co_u32 v25, s3, 0x100, v25
	s_wait_alu 0xf1ff
	v_add_co_ci_u32_e64 v26, null, 0, v26, s3
	s_wait_loadcnt 0x7
	v_subrev_nc_u32_e32 v44, s12, v44
	s_wait_loadcnt 0x6
	v_subrev_nc_u32_e32 v68, s12, v68
	;; [unrolled: 2-line block ×3, first 2 shown]
	s_wait_loadcnt 0x4
	v_cvt_f64_f32_e32 v[96:97], v27
	s_wait_loadcnt 0x3
	v_cvt_f64_f32_e32 v[98:99], v32
	v_lshlrev_b32_e32 v44, 2, v44
	v_lshlrev_b32_e32 v68, 2, v68
	;; [unrolled: 1-line block ×3, first 2 shown]
	s_wait_loadcnt 0x2
	v_cvt_f64_f32_e32 v[100:101], v36
	s_wait_loadcnt 0x1
	v_cvt_f64_f32_e32 v[102:103], v40
	v_ashrrev_i32_e32 v45, 31, v44
	v_ashrrev_i32_e32 v69, 31, v68
	;; [unrolled: 1-line block ×3, first 2 shown]
	v_cvt_f64_f32_e32 v[27:28], v28
	v_cvt_f64_f32_e32 v[32:33], v33
	v_lshlrev_b64_e32 v[44:45], 3, v[44:45]
	v_lshlrev_b64_e32 v[68:69], 3, v[68:69]
	;; [unrolled: 1-line block ×3, first 2 shown]
	v_cvt_f64_f32_e32 v[36:37], v37
	v_cvt_f64_f32_e32 v[40:41], v41
	s_wait_loadcnt 0x0
	v_subrev_nc_u32_e32 v110, s12, v106
	s_wait_kmcnt 0x0
	v_add_co_u32 v48, vcc_lo, s4, v44
	s_wait_alu 0xfffd
	v_add_co_ci_u32_e64 v49, null, s5, v45, vcc_lo
	v_add_co_u32 v72, vcc_lo, s4, v68
	s_wait_alu 0xfffd
	v_add_co_ci_u32_e64 v73, null, s5, v69, vcc_lo
	s_clause 0x1
	global_load_b128 v[44:47], v[48:49], off
	global_load_b128 v[48:51], v[48:49], off offset:16
	s_clause 0x3
	global_load_b128 v[52:55], v[21:22], off offset:1024
	global_load_b128 v[56:59], v[21:22], off offset:1040
	;; [unrolled: 1-line block ×4, first 2 shown]
	s_clause 0x1
	global_load_b128 v[68:71], v[72:73], off
	global_load_b128 v[72:75], v[72:73], off offset:16
	s_clause 0x3
	global_load_b128 v[76:79], v[21:22], off offset:2048
	global_load_b128 v[80:83], v[21:22], off offset:2064
	;; [unrolled: 1-line block ×4, first 2 shown]
	v_add_co_u32 v104, vcc_lo, s4, v92
	s_wait_alu 0xfffd
	v_add_co_ci_u32_e64 v105, null, s5, v93, vcc_lo
	v_lshlrev_b32_e32 v110, 2, v110
	global_load_b128 v[92:95], v[104:105], off
	v_ashrrev_i32_e32 v111, 31, v110
	s_wait_loadcnt 0xc
	v_fma_f64 v[15:16], v[96:97], v[44:45], v[15:16]
	v_fma_f64 v[17:18], v[98:99], v[44:45], v[17:18]
	;; [unrolled: 1-line block ×4, first 2 shown]
	v_cvt_f64_f32_e32 v[44:45], v29
	v_cvt_f64_f32_e32 v[96:97], v34
	;; [unrolled: 1-line block ×6, first 2 shown]
	s_wait_loadcnt 0x8
	v_cvt_f64_f32_e32 v[106:107], v60
	s_wait_loadcnt 0x7
	v_cvt_f64_f32_e32 v[108:109], v64
	v_cvt_f64_f32_e32 v[60:61], v61
	;; [unrolled: 1-line block ×3, first 2 shown]
	v_fma_f64 v[15:16], v[27:28], v[46:47], v[15:16]
	v_fma_f64 v[17:18], v[32:33], v[46:47], v[17:18]
	;; [unrolled: 1-line block ×4, first 2 shown]
	global_load_b128 v[11:14], v[104:105], off offset:16
	v_cvt_f64_f32_e32 v[40:41], v30
	v_cvt_f64_f32_e32 v[46:47], v35
	;; [unrolled: 1-line block ×4, first 2 shown]
	v_fma_f64 v[44:45], v[44:45], v[48:49], v[15:16]
	v_fma_f64 v[96:97], v[96:97], v[48:49], v[17:18]
	;; [unrolled: 1-line block ×4, first 2 shown]
	s_clause 0x3
	global_load_b128 v[15:18], v[21:22], off offset:3072
	global_load_b128 v[27:30], v[21:22], off offset:3088
	;; [unrolled: 1-line block ×4, first 2 shown]
	v_cvt_f64_f32_e32 v[100:101], v52
	v_cvt_f64_f32_e32 v[52:53], v53
	v_fma_f64 v[44:45], v[40:41], v[50:51], v[44:45]
	v_fma_f64 v[46:47], v[46:47], v[50:51], v[96:97]
	;; [unrolled: 1-line block ×4, first 2 shown]
	v_lshlrev_b64_e32 v[40:41], 3, v[110:111]
	v_cvt_f64_f32_e32 v[98:99], v58
	v_cvt_f64_f32_e32 v[102:103], v66
	s_delay_alu instid0(VALU_DEP_3) | instskip(SKIP_1) | instid1(VALU_DEP_4)
	v_add_co_u32 v50, vcc_lo, s4, v40
	s_wait_alu 0xfffd
	v_add_co_ci_u32_e64 v51, null, s5, v41, vcc_lo
	v_add_co_u32 v23, vcc_lo, v23, 64
	s_wait_alu 0xfffd
	v_add_co_ci_u32_e64 v24, null, 0, v24, vcc_lo
	global_load_b128 v[40:43], v[50:51], off
	v_add_co_u32 v21, vcc_lo, 0x1000, v21
	s_wait_alu 0xfffd
	v_add_co_ci_u32_e64 v22, null, 0, v22, vcc_lo
	v_cmp_ge_i64_e32 vcc_lo, v[23:24], v[4:5]
	s_wait_alu 0xfffe
	s_or_b32 s10, vcc_lo, s10
	s_wait_loadcnt 0xc
	v_fma_f64 v[44:45], v[100:101], v[68:69], v[44:45]
	v_fma_f64 v[46:47], v[104:105], v[68:69], v[46:47]
	;; [unrolled: 1-line block ×4, first 2 shown]
	v_cvt_f64_f32_e32 v[68:69], v54
	v_cvt_f64_f32_e32 v[100:101], v62
	v_fma_f64 v[52:53], v[52:53], v[70:71], v[44:45]
	v_fma_f64 v[56:57], v[56:57], v[70:71], v[46:47]
	;; [unrolled: 1-line block ×4, first 2 shown]
	global_load_b128 v[44:47], v[50:51], off offset:16
	v_cvt_f64_f32_e32 v[50:51], v55
	v_cvt_f64_f32_e32 v[54:55], v59
	;; [unrolled: 1-line block ×4, first 2 shown]
	s_wait_loadcnt 0xb
	v_cvt_f64_f32_e32 v[64:65], v76
	s_wait_loadcnt 0xa
	v_cvt_f64_f32_e32 v[66:67], v80
	;; [unrolled: 2-line block ×3, first 2 shown]
	v_fma_f64 v[52:53], v[68:69], v[72:73], v[52:53]
	v_fma_f64 v[56:57], v[98:99], v[72:73], v[56:57]
	;; [unrolled: 1-line block ×4, first 2 shown]
	v_cvt_f64_f32_e32 v[68:69], v84
	v_fma_f64 v[50:51], v[50:51], v[74:75], v[52:53]
	v_fma_f64 v[52:53], v[54:55], v[74:75], v[56:57]
	;; [unrolled: 1-line block ×4, first 2 shown]
	v_cvt_f64_f32_e32 v[56:57], v77
	v_cvt_f64_f32_e32 v[58:59], v81
	;; [unrolled: 1-line block ×4, first 2 shown]
	s_wait_loadcnt 0x7
	v_fma_f64 v[50:51], v[64:65], v[92:93], v[50:51]
	v_fma_f64 v[52:53], v[66:67], v[92:93], v[52:53]
	;; [unrolled: 1-line block ×4, first 2 shown]
	v_cvt_f64_f32_e32 v[64:65], v78
	v_cvt_f64_f32_e32 v[66:67], v82
	;; [unrolled: 1-line block ×4, first 2 shown]
	v_fma_f64 v[50:51], v[56:57], v[94:95], v[50:51]
	v_fma_f64 v[52:53], v[58:59], v[94:95], v[52:53]
	;; [unrolled: 1-line block ×4, first 2 shown]
	v_cvt_f64_f32_e32 v[56:57], v79
	v_cvt_f64_f32_e32 v[58:59], v83
	;; [unrolled: 1-line block ×4, first 2 shown]
	s_wait_loadcnt 0x6
	v_fma_f64 v[50:51], v[64:65], v[11:12], v[50:51]
	v_fma_f64 v[52:53], v[66:67], v[11:12], v[52:53]
	;; [unrolled: 1-line block ×4, first 2 shown]
	s_wait_loadcnt 0x5
	v_cvt_f64_f32_e32 v[48:49], v15
	s_wait_loadcnt 0x4
	v_cvt_f64_f32_e32 v[64:65], v27
	;; [unrolled: 2-line block ×4, first 2 shown]
	v_fma_f64 v[50:51], v[56:57], v[13:14], v[50:51]
	v_fma_f64 v[52:53], v[58:59], v[13:14], v[52:53]
	;; [unrolled: 1-line block ×4, first 2 shown]
	v_cvt_f64_f32_e32 v[13:14], v16
	v_cvt_f64_f32_e32 v[15:16], v28
	;; [unrolled: 1-line block ×5, first 2 shown]
	s_wait_loadcnt 0x1
	v_fma_f64 v[36:37], v[48:49], v[40:41], v[50:51]
	v_fma_f64 v[48:49], v[64:65], v[40:41], v[52:53]
	;; [unrolled: 1-line block ×4, first 2 shown]
	v_cvt_f64_f32_e32 v[40:41], v17
	v_cvt_f64_f32_e32 v[52:53], v29
	;; [unrolled: 1-line block ×5, first 2 shown]
	v_fma_f64 v[13:14], v[13:14], v[42:43], v[36:37]
	v_fma_f64 v[15:16], v[15:16], v[42:43], v[48:49]
	;; [unrolled: 1-line block ×4, first 2 shown]
	v_cvt_f64_f32_e32 v[32:33], v35
	v_cvt_f64_f32_e32 v[34:35], v39
	s_wait_loadcnt 0x0
	v_fma_f64 v[13:14], v[40:41], v[44:45], v[13:14]
	v_fma_f64 v[36:37], v[52:53], v[44:45], v[15:16]
	;; [unrolled: 1-line block ×4, first 2 shown]
	s_delay_alu instid0(VALU_DEP_4) | instskip(NEXT) | instid1(VALU_DEP_4)
	v_fma_f64 v[15:16], v[17:18], v[46:47], v[13:14]
	v_fma_f64 v[17:18], v[29:30], v[46:47], v[36:37]
	s_delay_alu instid0(VALU_DEP_4) | instskip(NEXT) | instid1(VALU_DEP_4)
	v_fma_f64 v[13:14], v[32:33], v[46:47], v[27:28]
	v_fma_f64 v[11:12], v[34:35], v[46:47], v[11:12]
	s_wait_alu 0xfffe
	s_and_not1_b32 exec_lo, exec_lo, s10
	s_cbranch_execnz .LBB157_21
; %bb.22:
	s_or_b32 exec_lo, exec_lo, s10
.LBB157_23:
	s_wait_alu 0xfffe
	s_or_b32 exec_lo, exec_lo, s7
.LBB157_24:
	s_wait_alu 0xfffe
	s_or_b32 exec_lo, exec_lo, s6
	s_cbranch_execz .LBB157_26
	s_branch .LBB157_37
.LBB157_25:
                                        ; implicit-def: $vgpr11_vgpr12
                                        ; implicit-def: $vgpr13_vgpr14
                                        ; implicit-def: $vgpr17_vgpr18
                                        ; implicit-def: $vgpr15_vgpr16
.LBB157_26:
	v_mov_b32_e32 v11, 0
	v_dual_mov_b32 v17, 0 :: v_dual_mov_b32 v12, 0
	v_dual_mov_b32 v13, 0 :: v_dual_mov_b32 v18, 0
	;; [unrolled: 1-line block ×3, first 2 shown]
	v_mov_b32_e32 v16, 0
	s_and_saveexec_b32 s3, s2
	s_cbranch_execz .LBB157_36
; %bb.27:
	v_or_b32_e32 v11, 16, v31
	v_not_b32_e32 v14, v19
	v_not_b32_e32 v13, v20
	s_delay_alu instid0(VALU_DEP_3) | instskip(SKIP_3) | instid1(VALU_DEP_3)
	v_sub_co_u32 v11, s2, v11, s12
	s_wait_alu 0xf1ff
	v_sub_co_ci_u32_e64 v12, null, 0, 0, s2
	v_sub_co_u32 v15, s2, s12, v31
	v_add_co_u32 v11, vcc_lo, v11, v19
	s_wait_alu 0xfffd
	s_delay_alu instid0(VALU_DEP_3) | instskip(SKIP_2) | instid1(VALU_DEP_2)
	v_add_co_ci_u32_e64 v12, null, v12, v20, vcc_lo
	s_wait_alu 0xf1ff
	v_sub_co_ci_u32_e64 v16, null, 0, 0, s2
	v_cmp_gt_i64_e32 vcc_lo, v[11:12], v[4:5]
	s_wait_alu 0xfffd
	v_cndmask_b32_e32 v17, v5, v12, vcc_lo
	v_cndmask_b32_e32 v11, v4, v11, vcc_lo
	v_add_co_u32 v12, vcc_lo, v15, v14
	s_wait_alu 0xfffd
	v_add_co_ci_u32_e64 v13, null, v16, v13, vcc_lo
	v_mov_b32_e32 v15, 0
	v_mov_b32_e32 v16, 0
	v_add_co_u32 v19, vcc_lo, v12, v11
	v_mov_b32_e32 v12, 0
	s_wait_alu 0xfffd
	v_add_co_ci_u32_e64 v20, null, v13, v17, vcc_lo
	s_delay_alu instid0(VALU_DEP_3) | instskip(SKIP_3) | instid1(VALU_DEP_4)
	v_and_b32_e32 v11, 48, v19
	v_mov_b32_e32 v17, 0
	v_dual_mov_b32 v18, 0 :: v_dual_mov_b32 v13, 0
	v_mov_b32_e32 v14, 0
	v_cmp_ne_u64_e32 vcc_lo, 48, v[11:12]
	v_mov_b32_e32 v11, 0
	v_mov_b32_e32 v12, 0
	s_and_saveexec_b32 s6, vcc_lo
	s_cbranch_execz .LBB157_31
; %bb.28:
	v_lshrrev_b32_e32 v11, 4, v19
	v_lshlrev_b64_e32 v[21:22], 2, v[0:1]
	v_mov_b32_e32 v13, 0
	v_mov_b32_e32 v17, 0
	;; [unrolled: 1-line block ×3, first 2 shown]
	v_add_nc_u32_e32 v23, 1, v11
	v_dual_mov_b32 v11, 0 :: v_dual_mov_b32 v14, 0
	v_mov_b32_e32 v12, 0
	v_add_co_u32 v21, vcc_lo, s8, v21
	s_delay_alu instid0(VALU_DEP_4) | instskip(SKIP_3) | instid1(VALU_DEP_3)
	v_dual_mov_b32 v18, 0 :: v_dual_and_b32 v23, 3, v23
	v_mov_b32_e32 v16, 0
	s_wait_alu 0xfffd
	v_add_co_ci_u32_e64 v22, null, s9, v22, vcc_lo
	v_sub_co_u32 v23, s2, 0, v23
	s_wait_alu 0xf1ff
	v_sub_co_ci_u32_e64 v24, null, 0, 0, s2
	s_mov_b32 s7, 0
.LBB157_29:                             ; =>This Inner Loop Header: Depth=1
	global_load_b32 v29, v[21:22], off
	s_clause 0x1
	global_load_b128 v[25:28], v[6:7], off
	global_load_b128 v[32:35], v[6:7], off offset:16
	v_add_co_u32 v21, s2, v21, 64
	s_wait_alu 0xf1ff
	v_add_co_ci_u32_e64 v22, null, 0, v22, s2
	s_wait_loadcnt 0x2
	v_subrev_nc_u32_e32 v29, s12, v29
	s_wait_loadcnt 0x1
	v_cvt_f64_f32_e32 v[52:53], v27
	v_cvt_f64_f32_e32 v[27:28], v28
	s_wait_loadcnt 0x0
	v_cvt_f64_f32_e32 v[54:55], v32
	v_cvt_f64_f32_e32 v[32:33], v33
	v_lshlrev_b32_e32 v29, 2, v29
	v_cvt_f64_f32_e32 v[56:57], v34
	v_cvt_f64_f32_e32 v[34:35], v35
	s_delay_alu instid0(VALU_DEP_3) | instskip(NEXT) | instid1(VALU_DEP_1)
	v_ashrrev_i32_e32 v30, 31, v29
	v_lshlrev_b64_e32 v[29:30], 3, v[29:30]
	s_wait_kmcnt 0x0
	s_delay_alu instid0(VALU_DEP_1) | instskip(SKIP_1) | instid1(VALU_DEP_2)
	v_add_co_u32 v29, vcc_lo, s4, v29
	s_wait_alu 0xfffd
	v_add_co_ci_u32_e64 v30, null, s5, v30, vcc_lo
	s_clause 0x1
	global_load_b128 v[36:39], v[29:30], off
	global_load_b128 v[40:43], v[29:30], off offset:16
	s_clause 0x1
	global_load_b128 v[44:47], v[6:7], off offset:32
	global_load_b128 v[48:51], v[6:7], off offset:48
	v_cvt_f64_f32_e32 v[29:30], v25
	v_cvt_f64_f32_e32 v[25:26], v26
	v_add_co_u32 v6, vcc_lo, 0x400, v6
	s_wait_alu 0xfffd
	v_add_co_ci_u32_e64 v7, null, 0, v7, vcc_lo
	v_add_co_u32 v23, vcc_lo, v23, 1
	s_wait_alu 0xfffd
	v_add_co_ci_u32_e64 v24, null, 0, v24, vcc_lo
	;; [unrolled: 3-line block ×3, first 2 shown]
	s_delay_alu instid0(VALU_DEP_3)
	v_cmp_eq_u64_e32 vcc_lo, 0, v[23:24]
	s_wait_alu 0xfffe
	s_or_b32 s7, vcc_lo, s7
	s_wait_loadcnt 0x3
	v_fma_f64 v[15:16], v[29:30], v[36:37], v[15:16]
	v_fma_f64 v[17:18], v[25:26], v[36:37], v[17:18]
	;; [unrolled: 1-line block ×4, first 2 shown]
	s_wait_loadcnt 0x1
	v_cvt_f64_f32_e32 v[25:26], v44
	v_cvt_f64_f32_e32 v[27:28], v45
	;; [unrolled: 1-line block ×4, first 2 shown]
	s_wait_loadcnt 0x0
	v_cvt_f64_f32_e32 v[44:45], v51
	v_fma_f64 v[15:16], v[54:55], v[38:39], v[15:16]
	v_fma_f64 v[17:18], v[32:33], v[38:39], v[17:18]
	v_fma_f64 v[13:14], v[56:57], v[38:39], v[13:14]
	v_fma_f64 v[11:12], v[34:35], v[38:39], v[11:12]
	v_cvt_f64_f32_e32 v[32:33], v48
	v_cvt_f64_f32_e32 v[34:35], v49
	;; [unrolled: 1-line block ×3, first 2 shown]
	v_fma_f64 v[15:16], v[25:26], v[40:41], v[15:16]
	v_fma_f64 v[17:18], v[27:28], v[40:41], v[17:18]
	;; [unrolled: 1-line block ×4, first 2 shown]
	s_delay_alu instid0(VALU_DEP_4) | instskip(NEXT) | instid1(VALU_DEP_4)
	v_fma_f64 v[15:16], v[32:33], v[42:43], v[15:16]
	v_fma_f64 v[17:18], v[34:35], v[42:43], v[17:18]
	s_delay_alu instid0(VALU_DEP_4) | instskip(NEXT) | instid1(VALU_DEP_4)
	v_fma_f64 v[13:14], v[38:39], v[42:43], v[13:14]
	v_fma_f64 v[11:12], v[44:45], v[42:43], v[11:12]
	s_wait_alu 0xfffe
	s_and_not1_b32 exec_lo, exec_lo, s7
	s_cbranch_execnz .LBB157_29
; %bb.30:
	s_or_b32 exec_lo, exec_lo, s7
.LBB157_31:
	s_wait_alu 0xfffe
	s_or_b32 exec_lo, exec_lo, s6
	s_delay_alu instid0(SALU_CYCLE_1)
	s_mov_b32 s6, exec_lo
	v_cmpx_lt_u64_e32 47, v[19:20]
	s_cbranch_execz .LBB157_35
; %bb.32:
	v_lshlrev_b64_e32 v[19:20], 2, v[0:1]
	s_mov_b32 s7, 0
	s_delay_alu instid0(VALU_DEP_1) | instskip(SKIP_1) | instid1(VALU_DEP_2)
	v_add_co_u32 v19, vcc_lo, s8, v19
	s_wait_alu 0xfffd
	v_add_co_ci_u32_e64 v20, null, s9, v20, vcc_lo
	s_delay_alu instid0(VALU_DEP_2) | instskip(SKIP_1) | instid1(VALU_DEP_2)
	v_add_co_u32 v19, vcc_lo, 0x80, v19
	s_wait_alu 0xfffd
	v_add_co_ci_u32_e64 v20, null, 0, v20, vcc_lo
.LBB157_33:                             ; =>This Inner Loop Header: Depth=1
	s_clause 0x2
	global_load_b32 v25, v[19:20], off offset:-128
	global_load_b32 v52, v[19:20], off offset:-64
	global_load_b32 v76, v[19:20], off
	global_load_b128 v[21:24], v[6:7], off
	global_load_b32 v92, v[19:20], off offset:64
	v_add_co_u32 v19, s2, 0x100, v19
	s_wait_alu 0xf1ff
	v_add_co_ci_u32_e64 v20, null, 0, v20, s2
	s_wait_loadcnt 0x4
	v_subrev_nc_u32_e32 v25, s12, v25
	s_wait_loadcnt 0x2
	v_subrev_nc_u32_e32 v76, s12, v76
	s_wait_loadcnt 0x1
	v_cvt_f64_f32_e32 v[80:81], v22
	v_cvt_f64_f32_e32 v[82:83], v23
	v_lshlrev_b32_e32 v25, 2, v25
	v_cvt_f64_f32_e32 v[84:85], v24
	s_delay_alu instid0(VALU_DEP_2) | instskip(NEXT) | instid1(VALU_DEP_1)
	v_ashrrev_i32_e32 v26, 31, v25
	v_lshlrev_b64_e32 v[25:26], 3, v[25:26]
	s_wait_kmcnt 0x0
	s_delay_alu instid0(VALU_DEP_1) | instskip(SKIP_1) | instid1(VALU_DEP_2)
	v_add_co_u32 v29, vcc_lo, s4, v25
	s_wait_alu 0xfffd
	v_add_co_ci_u32_e64 v30, null, s5, v26, vcc_lo
	global_load_b128 v[25:28], v[6:7], off offset:16
	global_load_b128 v[32:35], v[29:30], off
	s_clause 0x1
	global_load_b128 v[36:39], v[6:7], off offset:32
	global_load_b128 v[40:43], v[6:7], off offset:48
	;; [unrolled: 1-line block ×4, first 2 shown]
	v_subrev_nc_u32_e32 v29, s12, v52
	s_delay_alu instid0(VALU_DEP_1) | instskip(NEXT) | instid1(VALU_DEP_1)
	v_lshlrev_b32_e32 v29, 2, v29
	v_ashrrev_i32_e32 v30, 31, v29
	s_delay_alu instid0(VALU_DEP_1) | instskip(NEXT) | instid1(VALU_DEP_1)
	v_lshlrev_b64_e32 v[29:30], 3, v[29:30]
	v_add_co_u32 v29, vcc_lo, s4, v29
	s_wait_alu 0xfffd
	s_delay_alu instid0(VALU_DEP_2)
	v_add_co_ci_u32_e64 v30, null, s5, v30, vcc_lo
	global_load_b128 v[52:55], v[6:7], off offset:1040
	global_load_b128 v[56:59], v[29:30], off
	s_clause 0x1
	global_load_b128 v[60:63], v[6:7], off offset:1056
	global_load_b128 v[64:67], v[6:7], off offset:1072
	;; [unrolled: 1-line block ×4, first 2 shown]
	v_cvt_f64_f32_e32 v[29:30], v21
	v_lshlrev_b32_e32 v21, 2, v76
	s_delay_alu instid0(VALU_DEP_1) | instskip(NEXT) | instid1(VALU_DEP_1)
	v_ashrrev_i32_e32 v22, 31, v21
	v_lshlrev_b64_e32 v[21:22], 3, v[21:22]
	s_delay_alu instid0(VALU_DEP_1) | instskip(SKIP_1) | instid1(VALU_DEP_2)
	v_add_co_u32 v86, vcc_lo, s4, v21
	s_wait_alu 0xfffd
	v_add_co_ci_u32_e64 v87, null, s5, v22, vcc_lo
	global_load_b128 v[21:24], v[6:7], off offset:2064
	global_load_b128 v[76:79], v[86:87], off
	s_wait_loadcnt 0xd
	v_cvt_f64_f32_e32 v[88:89], v25
	v_cvt_f64_f32_e32 v[25:26], v26
	;; [unrolled: 1-line block ×4, first 2 shown]
	s_wait_loadcnt 0xc
	v_fma_f64 v[15:16], v[29:30], v[32:33], v[15:16]
	v_fma_f64 v[17:18], v[80:81], v[32:33], v[17:18]
	;; [unrolled: 1-line block ×4, first 2 shown]
	global_load_b128 v[11:14], v[6:7], off offset:2080
	s_wait_loadcnt 0xc
	v_cvt_f64_f32_e32 v[80:81], v36
	v_cvt_f64_f32_e32 v[36:37], v37
	;; [unrolled: 1-line block ×4, first 2 shown]
	v_fma_f64 v[84:85], v[88:89], v[34:35], v[15:16]
	v_fma_f64 v[88:89], v[25:26], v[34:35], v[17:18]
	;; [unrolled: 1-line block ×4, first 2 shown]
	global_load_b128 v[15:18], v[6:7], off offset:2096
	global_load_b128 v[25:28], v[86:87], off offset:16
	s_wait_loadcnt 0xd
	v_cvt_f64_f32_e32 v[86:87], v40
	v_cvt_f64_f32_e32 v[40:41], v41
	;; [unrolled: 1-line block ×4, first 2 shown]
	s_wait_loadcnt 0xc
	v_fma_f64 v[80:81], v[80:81], v[44:45], v[84:85]
	v_fma_f64 v[36:37], v[36:37], v[44:45], v[88:89]
	;; [unrolled: 1-line block ×4, first 2 shown]
	global_load_b128 v[32:35], v[6:7], off offset:3072
	v_subrev_nc_u32_e32 v84, s12, v92
	s_wait_loadcnt 0xc
	v_cvt_f64_f32_e32 v[44:45], v48
	v_cvt_f64_f32_e32 v[48:49], v49
	;; [unrolled: 1-line block ×4, first 2 shown]
	v_lshlrev_b32_e32 v84, 2, v84
	s_wait_loadcnt 0xb
	v_cvt_f64_f32_e32 v[88:89], v52
	v_cvt_f64_f32_e32 v[52:53], v53
	s_delay_alu instid0(VALU_DEP_3)
	v_ashrrev_i32_e32 v85, 31, v84
	v_fma_f64 v[80:81], v[86:87], v[46:47], v[80:81]
	v_fma_f64 v[86:87], v[40:41], v[46:47], v[36:37]
	;; [unrolled: 1-line block ×4, first 2 shown]
	v_lshlrev_b64_e32 v[36:37], 3, v[84:85]
	v_cvt_f64_f32_e32 v[90:91], v54
	v_cvt_f64_f32_e32 v[54:55], v55
	s_delay_alu instid0(VALU_DEP_3) | instskip(SKIP_1) | instid1(VALU_DEP_4)
	v_add_co_u32 v84, vcc_lo, s4, v36
	s_wait_alu 0xfffd
	v_add_co_ci_u32_e64 v85, null, s5, v37, vcc_lo
	global_load_b128 v[36:39], v[6:7], off offset:3088
	global_load_b128 v[40:43], v[84:85], off
	v_add_co_u32 v0, vcc_lo, v0, 64
	s_wait_alu 0xfffd
	v_add_co_ci_u32_e64 v1, null, 0, v1, vcc_lo
	s_wait_loadcnt 0xc
	v_fma_f64 v[80:81], v[44:45], v[56:57], v[80:81]
	v_fma_f64 v[48:49], v[48:49], v[56:57], v[86:87]
	;; [unrolled: 1-line block ×4, first 2 shown]
	global_load_b128 v[44:47], v[6:7], off offset:3104
	s_wait_loadcnt 0xc
	v_cvt_f64_f32_e32 v[56:57], v60
	v_cvt_f64_f32_e32 v[60:61], v61
	;; [unrolled: 1-line block ×4, first 2 shown]
	v_fma_f64 v[80:81], v[88:89], v[58:59], v[80:81]
	v_fma_f64 v[86:87], v[52:53], v[58:59], v[48:49]
	;; [unrolled: 1-line block ×4, first 2 shown]
	global_load_b128 v[48:51], v[6:7], off offset:3120
	global_load_b128 v[52:55], v[84:85], off offset:16
	s_wait_loadcnt 0xd
	v_cvt_f64_f32_e32 v[84:85], v64
	v_cvt_f64_f32_e32 v[64:65], v65
	;; [unrolled: 1-line block ×4, first 2 shown]
	v_add_co_u32 v6, vcc_lo, 0x1000, v6
	s_wait_alu 0xfffd
	v_add_co_ci_u32_e64 v7, null, 0, v7, vcc_lo
	v_cmp_ge_i64_e32 vcc_lo, v[0:1], v[4:5]
	s_wait_alu 0xfffe
	s_or_b32 s7, vcc_lo, s7
	s_wait_loadcnt 0xc
	v_fma_f64 v[56:57], v[56:57], v[68:69], v[80:81]
	v_fma_f64 v[60:61], v[60:61], v[68:69], v[86:87]
	v_fma_f64 v[29:30], v[82:83], v[68:69], v[29:30]
	v_fma_f64 v[58:59], v[62:63], v[68:69], v[58:59]
	s_wait_loadcnt 0xb
	v_cvt_f64_f32_e32 v[62:63], v72
	v_cvt_f64_f32_e32 v[68:69], v73
	v_cvt_f64_f32_e32 v[72:73], v74
	v_cvt_f64_f32_e32 v[74:75], v75
	v_fma_f64 v[56:57], v[84:85], v[70:71], v[56:57]
	v_fma_f64 v[60:61], v[64:65], v[70:71], v[60:61]
	v_fma_f64 v[29:30], v[88:89], v[70:71], v[29:30]
	v_fma_f64 v[58:59], v[66:67], v[70:71], v[58:59]
	s_wait_loadcnt 0xa
	v_cvt_f64_f32_e32 v[64:65], v21
	v_cvt_f64_f32_e32 v[21:22], v22
	v_cvt_f64_f32_e32 v[66:67], v23
	v_cvt_f64_f32_e32 v[23:24], v24
	s_wait_loadcnt 0x9
	v_fma_f64 v[56:57], v[62:63], v[76:77], v[56:57]
	v_fma_f64 v[60:61], v[68:69], v[76:77], v[60:61]
	v_fma_f64 v[29:30], v[72:73], v[76:77], v[29:30]
	v_fma_f64 v[58:59], v[74:75], v[76:77], v[58:59]
	s_wait_loadcnt 0x8
	v_cvt_f64_f32_e32 v[62:63], v11
	v_cvt_f64_f32_e32 v[11:12], v12
	v_cvt_f64_f32_e32 v[68:69], v13
	v_cvt_f64_f32_e32 v[13:14], v14
	v_fma_f64 v[56:57], v[64:65], v[78:79], v[56:57]
	v_fma_f64 v[21:22], v[21:22], v[78:79], v[60:61]
	v_fma_f64 v[29:30], v[66:67], v[78:79], v[29:30]
	v_fma_f64 v[23:24], v[23:24], v[78:79], v[58:59]
	s_wait_loadcnt 0x7
	v_cvt_f64_f32_e32 v[58:59], v15
	v_cvt_f64_f32_e32 v[15:16], v16
	v_cvt_f64_f32_e32 v[60:61], v17
	v_cvt_f64_f32_e32 v[17:18], v18
	;; [unrolled: 19-line block ×4, first 2 shown]
	s_wait_loadcnt 0x0
	v_fma_f64 v[17:18], v[25:26], v[52:53], v[17:18]
	v_fma_f64 v[11:12], v[29:30], v[52:53], v[11:12]
	;; [unrolled: 1-line block ×4, first 2 shown]
	s_delay_alu instid0(VALU_DEP_4) | instskip(NEXT) | instid1(VALU_DEP_4)
	v_fma_f64 v[15:16], v[21:22], v[54:55], v[17:18]
	v_fma_f64 v[17:18], v[23:24], v[54:55], v[11:12]
	s_delay_alu instid0(VALU_DEP_4) | instskip(NEXT) | instid1(VALU_DEP_4)
	v_fma_f64 v[13:14], v[27:28], v[54:55], v[25:26]
	v_fma_f64 v[11:12], v[36:37], v[54:55], v[29:30]
	s_wait_alu 0xfffe
	s_and_not1_b32 exec_lo, exec_lo, s7
	s_cbranch_execnz .LBB157_33
; %bb.34:
	s_or_b32 exec_lo, exec_lo, s7
.LBB157_35:
	s_wait_alu 0xfffe
	s_or_b32 exec_lo, exec_lo, s6
.LBB157_36:
	s_wait_alu 0xfffe
	s_or_b32 exec_lo, exec_lo, s3
.LBB157_37:
	v_mbcnt_lo_u32_b32 v23, -1, 0
	s_delay_alu instid0(VALU_DEP_1) | instskip(NEXT) | instid1(VALU_DEP_1)
	v_xor_b32_e32 v0, 8, v23
	v_cmp_gt_i32_e32 vcc_lo, 32, v0
	s_wait_alu 0xfffd
	v_cndmask_b32_e32 v0, v23, v0, vcc_lo
	s_delay_alu instid0(VALU_DEP_1)
	v_lshlrev_b32_e32 v20, 2, v0
	ds_bpermute_b32 v6, v20, v13
	ds_bpermute_b32 v7, v20, v14
	s_wait_dscnt 0x0
	v_add_f64_e32 v[6:7], v[13:14], v[6:7]
	v_xor_b32_e32 v13, 4, v23
	s_delay_alu instid0(VALU_DEP_1)
	v_cmp_gt_i32_e32 vcc_lo, 32, v13
	s_wait_alu 0xfffd
	v_cndmask_b32_e32 v13, v23, v13, vcc_lo
	ds_bpermute_b32 v0, v20, v15
	ds_bpermute_b32 v1, v20, v16
	;; [unrolled: 1-line block ×6, first 2 shown]
	s_wait_dscnt 0x4
	v_add_f64_e32 v[0:1], v[15:16], v[0:1]
	s_wait_dscnt 0x2
	v_add_f64_e32 v[4:5], v[17:18], v[4:5]
	;; [unrolled: 2-line block ×3, first 2 shown]
	v_lshlrev_b32_e32 v20, 2, v13
	ds_bpermute_b32 v17, v20, v6
	ds_bpermute_b32 v18, v20, v7
	;; [unrolled: 1-line block ×8, first 2 shown]
	s_wait_dscnt 0x4
	v_add_f64_e32 v[0:1], v[0:1], v[13:14]
	v_add_f64_e32 v[13:14], v[6:7], v[17:18]
	s_wait_dscnt 0x2
	v_add_f64_e32 v[4:5], v[4:5], v[15:16]
	v_xor_b32_e32 v6, 2, v23
	s_wait_dscnt 0x0
	v_add_f64_e32 v[15:16], v[11:12], v[19:20]
	s_delay_alu instid0(VALU_DEP_2) | instskip(SKIP_2) | instid1(VALU_DEP_1)
	v_cmp_gt_i32_e32 vcc_lo, 32, v6
	s_wait_alu 0xfffd
	v_cndmask_b32_e32 v6, v23, v6, vcc_lo
	v_lshlrev_b32_e32 v11, 2, v6
	ds_bpermute_b32 v6, v11, v0
	ds_bpermute_b32 v7, v11, v1
	;; [unrolled: 1-line block ×8, first 2 shown]
	s_wait_dscnt 0x6
	v_add_f64_e32 v[11:12], v[0:1], v[6:7]
	s_wait_dscnt 0x4
	v_add_f64_e32 v[6:7], v[4:5], v[17:18]
	;; [unrolled: 2-line block ×3, first 2 shown]
	v_xor_b32_e32 v13, 1, v23
	s_wait_dscnt 0x0
	v_add_f64_e32 v[4:5], v[15:16], v[21:22]
	s_delay_alu instid0(VALU_DEP_2) | instskip(SKIP_3) | instid1(VALU_DEP_2)
	v_cmp_gt_i32_e32 vcc_lo, 32, v13
	s_wait_alu 0xfffd
	v_cndmask_b32_e32 v13, v23, v13, vcc_lo
	v_cmp_eq_u32_e32 vcc_lo, 15, v31
	v_lshlrev_b32_e32 v14, 2, v13
	ds_bpermute_b32 v19, v14, v11
	ds_bpermute_b32 v20, v14, v12
	;; [unrolled: 1-line block ×8, first 2 shown]
	s_and_b32 exec_lo, exec_lo, vcc_lo
	s_cbranch_execz .LBB157_10
; %bb.38:
	s_wait_dscnt 0x6
	v_add_f64_e32 v[11:12], v[11:12], v[19:20]
	s_wait_dscnt 0x4
	v_add_f64_e32 v[6:7], v[6:7], v[17:18]
	;; [unrolled: 2-line block ×4, first 2 shown]
	s_load_b64 s[0:1], s[0:1], 0x50
	v_lshlrev_b32_e32 v10, 2, v10
	s_mov_b32 s2, exec_lo
	v_mul_f64_e32 v[4:5], v[2:3], v[11:12]
	v_mul_f64_e32 v[6:7], v[2:3], v[6:7]
	;; [unrolled: 1-line block ×4, first 2 shown]
	v_cmpx_eq_f64_e32 0, v[8:9]
	s_wait_alu 0xfffe
	s_xor_b32 s2, exec_lo, s2
	s_cbranch_execz .LBB157_40
; %bb.39:
	v_ashrrev_i32_e32 v11, 31, v10
	s_delay_alu instid0(VALU_DEP_1) | instskip(SKIP_1) | instid1(VALU_DEP_1)
	v_lshlrev_b64_e32 v[8:9], 3, v[10:11]
                                        ; implicit-def: $vgpr10
	s_wait_kmcnt 0x0
	v_add_co_u32 v8, vcc_lo, s0, v8
	s_wait_alu 0xfffd
	s_delay_alu instid0(VALU_DEP_2)
	v_add_co_ci_u32_e64 v9, null, s1, v9, vcc_lo
	s_clause 0x1
	global_store_b128 v[8:9], v[4:7], off
	global_store_b128 v[8:9], v[0:3], off offset:16
                                        ; implicit-def: $vgpr8_vgpr9
                                        ; implicit-def: $vgpr4_vgpr5
                                        ; implicit-def: $vgpr0_vgpr1
.LBB157_40:
	s_wait_alu 0xfffe
	s_and_not1_saveexec_b32 s2, s2
	s_cbranch_execz .LBB157_10
; %bb.41:
	v_ashrrev_i32_e32 v11, 31, v10
	s_delay_alu instid0(VALU_DEP_1) | instskip(SKIP_1) | instid1(VALU_DEP_1)
	v_lshlrev_b64_e32 v[10:11], 3, v[10:11]
	s_wait_kmcnt 0x0
	v_add_co_u32 v18, vcc_lo, s0, v10
	s_wait_alu 0xfffd
	s_delay_alu instid0(VALU_DEP_2)
	v_add_co_ci_u32_e64 v19, null, s1, v11, vcc_lo
	s_clause 0x1
	global_load_b128 v[10:13], v[18:19], off
	global_load_b128 v[14:17], v[18:19], off offset:16
	s_wait_loadcnt 0x1
	v_fma_f64 v[4:5], v[8:9], v[10:11], v[4:5]
	v_fma_f64 v[6:7], v[8:9], v[12:13], v[6:7]
	s_wait_loadcnt 0x0
	v_fma_f64 v[0:1], v[8:9], v[14:15], v[0:1]
	v_fma_f64 v[2:3], v[8:9], v[16:17], v[2:3]
	s_clause 0x1
	global_store_b128 v[18:19], v[4:7], off
	global_store_b128 v[18:19], v[0:3], off offset:16
	s_nop 0
	s_sendmsg sendmsg(MSG_DEALLOC_VGPRS)
	s_endpgm
	.section	.rodata,"a",@progbits
	.p2align	6, 0x0
	.amdhsa_kernel _ZN9rocsparseL18bsrxmvn_4x4_kernelILj128ELj16EdlifddEEvT3_20rocsparse_direction_NS_24const_host_device_scalarIT1_EES1_PKS1_PKT2_SA_S7_PKT4_PKT5_S5_PT6_21rocsparse_index_base_b
		.amdhsa_group_segment_fixed_size 0
		.amdhsa_private_segment_fixed_size 0
		.amdhsa_kernarg_size 96
		.amdhsa_user_sgpr_count 2
		.amdhsa_user_sgpr_dispatch_ptr 0
		.amdhsa_user_sgpr_queue_ptr 0
		.amdhsa_user_sgpr_kernarg_segment_ptr 1
		.amdhsa_user_sgpr_dispatch_id 0
		.amdhsa_user_sgpr_private_segment_size 0
		.amdhsa_wavefront_size32 1
		.amdhsa_uses_dynamic_stack 0
		.amdhsa_enable_private_segment 0
		.amdhsa_system_sgpr_workgroup_id_x 1
		.amdhsa_system_sgpr_workgroup_id_y 0
		.amdhsa_system_sgpr_workgroup_id_z 0
		.amdhsa_system_sgpr_workgroup_info 0
		.amdhsa_system_vgpr_workitem_id 0
		.amdhsa_next_free_vgpr 112
		.amdhsa_next_free_sgpr 14
		.amdhsa_reserve_vcc 1
		.amdhsa_float_round_mode_32 0
		.amdhsa_float_round_mode_16_64 0
		.amdhsa_float_denorm_mode_32 3
		.amdhsa_float_denorm_mode_16_64 3
		.amdhsa_fp16_overflow 0
		.amdhsa_workgroup_processor_mode 1
		.amdhsa_memory_ordered 1
		.amdhsa_forward_progress 1
		.amdhsa_inst_pref_size 50
		.amdhsa_round_robin_scheduling 0
		.amdhsa_exception_fp_ieee_invalid_op 0
		.amdhsa_exception_fp_denorm_src 0
		.amdhsa_exception_fp_ieee_div_zero 0
		.amdhsa_exception_fp_ieee_overflow 0
		.amdhsa_exception_fp_ieee_underflow 0
		.amdhsa_exception_fp_ieee_inexact 0
		.amdhsa_exception_int_div_zero 0
	.end_amdhsa_kernel
	.section	.text._ZN9rocsparseL18bsrxmvn_4x4_kernelILj128ELj16EdlifddEEvT3_20rocsparse_direction_NS_24const_host_device_scalarIT1_EES1_PKS1_PKT2_SA_S7_PKT4_PKT5_S5_PT6_21rocsparse_index_base_b,"axG",@progbits,_ZN9rocsparseL18bsrxmvn_4x4_kernelILj128ELj16EdlifddEEvT3_20rocsparse_direction_NS_24const_host_device_scalarIT1_EES1_PKS1_PKT2_SA_S7_PKT4_PKT5_S5_PT6_21rocsparse_index_base_b,comdat
.Lfunc_end157:
	.size	_ZN9rocsparseL18bsrxmvn_4x4_kernelILj128ELj16EdlifddEEvT3_20rocsparse_direction_NS_24const_host_device_scalarIT1_EES1_PKS1_PKT2_SA_S7_PKT4_PKT5_S5_PT6_21rocsparse_index_base_b, .Lfunc_end157-_ZN9rocsparseL18bsrxmvn_4x4_kernelILj128ELj16EdlifddEEvT3_20rocsparse_direction_NS_24const_host_device_scalarIT1_EES1_PKS1_PKT2_SA_S7_PKT4_PKT5_S5_PT6_21rocsparse_index_base_b
                                        ; -- End function
	.set _ZN9rocsparseL18bsrxmvn_4x4_kernelILj128ELj16EdlifddEEvT3_20rocsparse_direction_NS_24const_host_device_scalarIT1_EES1_PKS1_PKT2_SA_S7_PKT4_PKT5_S5_PT6_21rocsparse_index_base_b.num_vgpr, 112
	.set _ZN9rocsparseL18bsrxmvn_4x4_kernelILj128ELj16EdlifddEEvT3_20rocsparse_direction_NS_24const_host_device_scalarIT1_EES1_PKS1_PKT2_SA_S7_PKT4_PKT5_S5_PT6_21rocsparse_index_base_b.num_agpr, 0
	.set _ZN9rocsparseL18bsrxmvn_4x4_kernelILj128ELj16EdlifddEEvT3_20rocsparse_direction_NS_24const_host_device_scalarIT1_EES1_PKS1_PKT2_SA_S7_PKT4_PKT5_S5_PT6_21rocsparse_index_base_b.numbered_sgpr, 14
	.set _ZN9rocsparseL18bsrxmvn_4x4_kernelILj128ELj16EdlifddEEvT3_20rocsparse_direction_NS_24const_host_device_scalarIT1_EES1_PKS1_PKT2_SA_S7_PKT4_PKT5_S5_PT6_21rocsparse_index_base_b.num_named_barrier, 0
	.set _ZN9rocsparseL18bsrxmvn_4x4_kernelILj128ELj16EdlifddEEvT3_20rocsparse_direction_NS_24const_host_device_scalarIT1_EES1_PKS1_PKT2_SA_S7_PKT4_PKT5_S5_PT6_21rocsparse_index_base_b.private_seg_size, 0
	.set _ZN9rocsparseL18bsrxmvn_4x4_kernelILj128ELj16EdlifddEEvT3_20rocsparse_direction_NS_24const_host_device_scalarIT1_EES1_PKS1_PKT2_SA_S7_PKT4_PKT5_S5_PT6_21rocsparse_index_base_b.uses_vcc, 1
	.set _ZN9rocsparseL18bsrxmvn_4x4_kernelILj128ELj16EdlifddEEvT3_20rocsparse_direction_NS_24const_host_device_scalarIT1_EES1_PKS1_PKT2_SA_S7_PKT4_PKT5_S5_PT6_21rocsparse_index_base_b.uses_flat_scratch, 0
	.set _ZN9rocsparseL18bsrxmvn_4x4_kernelILj128ELj16EdlifddEEvT3_20rocsparse_direction_NS_24const_host_device_scalarIT1_EES1_PKS1_PKT2_SA_S7_PKT4_PKT5_S5_PT6_21rocsparse_index_base_b.has_dyn_sized_stack, 0
	.set _ZN9rocsparseL18bsrxmvn_4x4_kernelILj128ELj16EdlifddEEvT3_20rocsparse_direction_NS_24const_host_device_scalarIT1_EES1_PKS1_PKT2_SA_S7_PKT4_PKT5_S5_PT6_21rocsparse_index_base_b.has_recursion, 0
	.set _ZN9rocsparseL18bsrxmvn_4x4_kernelILj128ELj16EdlifddEEvT3_20rocsparse_direction_NS_24const_host_device_scalarIT1_EES1_PKS1_PKT2_SA_S7_PKT4_PKT5_S5_PT6_21rocsparse_index_base_b.has_indirect_call, 0
	.section	.AMDGPU.csdata,"",@progbits
; Kernel info:
; codeLenInByte = 6276
; TotalNumSgprs: 16
; NumVgprs: 112
; ScratchSize: 0
; MemoryBound: 0
; FloatMode: 240
; IeeeMode: 1
; LDSByteSize: 0 bytes/workgroup (compile time only)
; SGPRBlocks: 0
; VGPRBlocks: 13
; NumSGPRsForWavesPerEU: 16
; NumVGPRsForWavesPerEU: 112
; Occupancy: 12
; WaveLimiterHint : 1
; COMPUTE_PGM_RSRC2:SCRATCH_EN: 0
; COMPUTE_PGM_RSRC2:USER_SGPR: 2
; COMPUTE_PGM_RSRC2:TRAP_HANDLER: 0
; COMPUTE_PGM_RSRC2:TGID_X_EN: 1
; COMPUTE_PGM_RSRC2:TGID_Y_EN: 0
; COMPUTE_PGM_RSRC2:TGID_Z_EN: 0
; COMPUTE_PGM_RSRC2:TIDIG_COMP_CNT: 0
	.section	.text._ZN9rocsparseL18bsrxmvn_4x4_kernelILj128ELj32EdlifddEEvT3_20rocsparse_direction_NS_24const_host_device_scalarIT1_EES1_PKS1_PKT2_SA_S7_PKT4_PKT5_S5_PT6_21rocsparse_index_base_b,"axG",@progbits,_ZN9rocsparseL18bsrxmvn_4x4_kernelILj128ELj32EdlifddEEvT3_20rocsparse_direction_NS_24const_host_device_scalarIT1_EES1_PKS1_PKT2_SA_S7_PKT4_PKT5_S5_PT6_21rocsparse_index_base_b,comdat
	.globl	_ZN9rocsparseL18bsrxmvn_4x4_kernelILj128ELj32EdlifddEEvT3_20rocsparse_direction_NS_24const_host_device_scalarIT1_EES1_PKS1_PKT2_SA_S7_PKT4_PKT5_S5_PT6_21rocsparse_index_base_b ; -- Begin function _ZN9rocsparseL18bsrxmvn_4x4_kernelILj128ELj32EdlifddEEvT3_20rocsparse_direction_NS_24const_host_device_scalarIT1_EES1_PKS1_PKT2_SA_S7_PKT4_PKT5_S5_PT6_21rocsparse_index_base_b
	.p2align	8
	.type	_ZN9rocsparseL18bsrxmvn_4x4_kernelILj128ELj32EdlifddEEvT3_20rocsparse_direction_NS_24const_host_device_scalarIT1_EES1_PKS1_PKT2_SA_S7_PKT4_PKT5_S5_PT6_21rocsparse_index_base_b,@function
_ZN9rocsparseL18bsrxmvn_4x4_kernelILj128ELj32EdlifddEEvT3_20rocsparse_direction_NS_24const_host_device_scalarIT1_EES1_PKS1_PKT2_SA_S7_PKT4_PKT5_S5_PT6_21rocsparse_index_base_b: ; @_ZN9rocsparseL18bsrxmvn_4x4_kernelILj128ELj32EdlifddEEvT3_20rocsparse_direction_NS_24const_host_device_scalarIT1_EES1_PKS1_PKT2_SA_S7_PKT4_PKT5_S5_PT6_21rocsparse_index_base_b
; %bb.0:
	s_clause 0x2
	s_load_b64 s[12:13], s[0:1], 0x58
	s_load_b64 s[4:5], s[0:1], 0x8
	;; [unrolled: 1-line block ×3, first 2 shown]
	s_wait_kmcnt 0x0
	s_bitcmp1_b32 s13, 0
	v_dual_mov_b32 v2, s4 :: v_dual_mov_b32 v3, s5
	s_cselect_b32 s6, -1, 0
	s_delay_alu instid0(SALU_CYCLE_1)
	s_and_b32 vcc_lo, exec_lo, s6
	s_xor_b32 s6, s6, -1
	s_cbranch_vccnz .LBB158_2
; %bb.1:
	v_dual_mov_b32 v1, s4 :: v_dual_mov_b32 v2, s5
	flat_load_b64 v[2:3], v[1:2]
.LBB158_2:
	v_dual_mov_b32 v9, s3 :: v_dual_mov_b32 v8, s2
	s_and_not1_b32 vcc_lo, exec_lo, s6
	s_cbranch_vccnz .LBB158_4
; %bb.3:
	v_dual_mov_b32 v5, s3 :: v_dual_mov_b32 v4, s2
	flat_load_b64 v[8:9], v[4:5]
.LBB158_4:
	s_wait_loadcnt_dscnt 0x0
	v_cmp_neq_f64_e32 vcc_lo, 0, v[2:3]
	v_cmp_neq_f64_e64 s2, 1.0, v[8:9]
	s_or_b32 s2, vcc_lo, s2
	s_wait_alu 0xfffe
	s_and_saveexec_b32 s3, s2
	s_cbranch_execz .LBB158_10
; %bb.5:
	s_clause 0x1
	s_load_b64 s[4:5], s[0:1], 0x18
	s_load_b64 s[2:3], s[0:1], 0x0
	v_lshrrev_b32_e32 v1, 5, v0
	s_delay_alu instid0(VALU_DEP_1)
	v_lshl_or_b32 v10, ttmp9, 2, v1
	s_wait_kmcnt 0x0
	s_cmp_lg_u64 s[4:5], 0
	s_cbranch_scc0 .LBB158_11
; %bb.6:
	s_load_b32 s6, s[0:1], 0x10
	s_mov_b32 s7, 0
                                        ; implicit-def: $vgpr1
	s_wait_kmcnt 0x0
	v_cmp_gt_i32_e32 vcc_lo, s6, v10
	s_mov_b32 s6, 0
	s_and_saveexec_b32 s8, vcc_lo
	s_delay_alu instid0(SALU_CYCLE_1)
	s_xor_b32 s8, exec_lo, s8
	s_cbranch_execz .LBB158_8
; %bb.7:
	v_ashrrev_i32_e32 v11, 31, v10
	s_mov_b32 s6, exec_lo
	s_delay_alu instid0(VALU_DEP_1) | instskip(NEXT) | instid1(VALU_DEP_1)
	v_lshlrev_b64_e32 v[4:5], 2, v[10:11]
	v_add_co_u32 v4, vcc_lo, s4, v4
	s_delay_alu instid0(VALU_DEP_1)
	v_add_co_ci_u32_e64 v5, null, s5, v5, vcc_lo
	global_load_b32 v1, v[4:5], off
	s_wait_loadcnt 0x0
	v_subrev_nc_u32_e32 v1, s12, v1
.LBB158_8:
	s_or_b32 exec_lo, exec_lo, s8
	s_delay_alu instid0(SALU_CYCLE_1)
	s_and_b32 vcc_lo, exec_lo, s7
	s_wait_alu 0xfffe
	s_cbranch_vccz .LBB158_12
.LBB158_9:
	v_cmp_gt_i32_e32 vcc_lo, s2, v10
	s_and_not1_b32 s2, s6, exec_lo
	s_and_b32 s4, vcc_lo, exec_lo
	s_wait_alu 0xfffe
	s_or_b32 s6, s2, s4
	s_wait_alu 0xfffe
	s_and_b32 exec_lo, exec_lo, s6
	s_cbranch_execnz .LBB158_13
.LBB158_10:
	s_nop 0
	s_sendmsg sendmsg(MSG_DEALLOC_VGPRS)
	s_endpgm
.LBB158_11:
	s_mov_b32 s6, 0
                                        ; implicit-def: $vgpr1
	s_cbranch_execnz .LBB158_9
.LBB158_12:
	v_mov_b32_e32 v10, v1
	s_and_b32 exec_lo, exec_lo, s6
	s_cbranch_execz .LBB158_10
.LBB158_13:
	s_load_b256 s[4:11], s[0:1], 0x20
	s_delay_alu instid0(VALU_DEP_1) | instskip(SKIP_1) | instid1(VALU_DEP_2)
	v_ashrrev_i32_e32 v11, 31, v10
	v_and_b32_e32 v31, 31, v0
	v_lshlrev_b64_e32 v[4:5], 3, v[10:11]
	s_wait_kmcnt 0x0
	s_delay_alu instid0(VALU_DEP_1) | instskip(SKIP_1) | instid1(VALU_DEP_2)
	v_add_co_u32 v6, vcc_lo, s4, v4
	s_wait_alu 0xfffd
	v_add_co_ci_u32_e64 v7, null, s5, v5, vcc_lo
	v_add_co_u32 v1, vcc_lo, s6, v4
	s_wait_alu 0xfffd
	v_add_co_ci_u32_e64 v4, null, s7, v5, vcc_lo
	v_add_co_u32 v11, vcc_lo, v6, 8
	global_load_b64 v[19:20], v[6:7], off
	s_wait_alu 0xfffd
	v_add_co_ci_u32_e64 v5, null, 0, v7, vcc_lo
	s_cmp_eq_u64 s[6:7], 0
	s_load_b64 s[4:5], s[0:1], 0x40
	s_cselect_b32 vcc_lo, -1, 0
	s_cmp_eq_u32 s3, 1
	s_wait_alu 0xfffe
	v_dual_cndmask_b32 v5, v4, v5 :: v_dual_cndmask_b32 v4, v1, v11
	global_load_b64 v[4:5], v[4:5], off
	s_wait_loadcnt 0x1
	v_sub_co_u32 v0, vcc_lo, v19, s12
	s_wait_alu 0xfffd
	v_subrev_co_ci_u32_e64 v1, null, 0, v20, vcc_lo
	s_delay_alu instid0(VALU_DEP_2) | instskip(SKIP_1) | instid1(VALU_DEP_2)
	v_add_co_u32 v0, vcc_lo, v0, v31
	s_wait_alu 0xfffd
	v_add_co_ci_u32_e64 v1, null, 0, v1, vcc_lo
	s_delay_alu instid0(VALU_DEP_1) | instskip(SKIP_4) | instid1(VALU_DEP_3)
	v_lshlrev_b64_e32 v[6:7], 6, v[0:1]
	s_wait_loadcnt 0x0
	v_sub_co_u32 v4, vcc_lo, v4, s12
	s_wait_alu 0xfffd
	v_subrev_co_ci_u32_e64 v5, null, 0, v5, vcc_lo
	v_add_co_u32 v6, vcc_lo, s10, v6
	s_delay_alu instid0(VALU_DEP_2)
	v_cmp_lt_i64_e64 s2, v[0:1], v[4:5]
	s_wait_alu 0xfffd
	v_add_co_ci_u32_e64 v7, null, s11, v7, vcc_lo
	s_cbranch_scc1 .LBB158_25
; %bb.14:
	v_mov_b32_e32 v11, 0
	v_dual_mov_b32 v17, 0 :: v_dual_mov_b32 v12, 0
	v_dual_mov_b32 v13, 0 :: v_dual_mov_b32 v18, 0
	;; [unrolled: 1-line block ×3, first 2 shown]
	v_mov_b32_e32 v16, 0
	s_and_saveexec_b32 s6, s2
	s_cbranch_execz .LBB158_24
; %bb.15:
	v_or_b32_e32 v11, 32, v31
	v_not_b32_e32 v14, v19
	v_not_b32_e32 v13, v20
	v_dual_mov_b32 v24, v1 :: v_dual_mov_b32 v23, v0
	s_delay_alu instid0(VALU_DEP_4) | instskip(SKIP_3) | instid1(VALU_DEP_3)
	v_sub_co_u32 v11, s3, v11, s12
	s_wait_alu 0xf1ff
	v_sub_co_ci_u32_e64 v12, null, 0, 0, s3
	v_sub_co_u32 v15, s3, s12, v31
	v_add_co_u32 v11, vcc_lo, v11, v19
	s_wait_alu 0xfffd
	s_delay_alu instid0(VALU_DEP_3) | instskip(SKIP_3) | instid1(VALU_DEP_3)
	v_add_co_ci_u32_e64 v12, null, v12, v20, vcc_lo
	s_wait_alu 0xf1ff
	v_sub_co_ci_u32_e64 v16, null, 0, 0, s3
	v_mov_b32_e32 v17, 0
	v_cmp_gt_i64_e32 vcc_lo, v[11:12], v[4:5]
	v_mov_b32_e32 v18, 0
	s_wait_alu 0xfffd
	v_dual_cndmask_b32 v12, v5, v12 :: v_dual_cndmask_b32 v11, v4, v11
	v_add_co_u32 v14, vcc_lo, v15, v14
	s_wait_alu 0xfffd
	v_add_co_ci_u32_e64 v13, null, v16, v13, vcc_lo
	v_mov_b32_e32 v15, 0
	s_delay_alu instid0(VALU_DEP_3) | instskip(SKIP_3) | instid1(VALU_DEP_3)
	v_add_co_u32 v25, vcc_lo, v14, v11
	v_mov_b32_e32 v22, 0
	s_wait_alu 0xfffd
	v_add_co_ci_u32_e64 v26, null, v13, v12, vcc_lo
	v_and_b32_e32 v21, 0x60, v25
	v_dual_mov_b32 v13, 0 :: v_dual_mov_b32 v16, 0
	v_dual_mov_b32 v14, 0 :: v_dual_mov_b32 v11, 0
	s_delay_alu instid0(VALU_DEP_3)
	v_cmp_ne_u64_e32 vcc_lo, 0x60, v[21:22]
	v_mov_b32_e32 v12, 0
	v_dual_mov_b32 v22, v7 :: v_dual_mov_b32 v21, v6
	s_and_saveexec_b32 s7, vcc_lo
	s_cbranch_execz .LBB158_19
; %bb.16:
	v_lshrrev_b32_e32 v11, 5, v25
	v_lshlrev_b64_e32 v[15:16], 2, v[0:1]
	v_mov_b32_e32 v13, 0
	v_mov_b32_e32 v17, 0
	s_delay_alu instid0(VALU_DEP_4) | instskip(SKIP_3) | instid1(VALU_DEP_4)
	v_dual_mov_b32 v18, 0 :: v_dual_add_nc_u32 v23, 1, v11
	v_dual_mov_b32 v11, 0 :: v_dual_mov_b32 v22, v7
	v_mov_b32_e32 v12, 0
	v_add_co_u32 v27, vcc_lo, s8, v15
	v_and_b32_e32 v23, 3, v23
	s_wait_alu 0xfffd
	v_add_co_ci_u32_e64 v28, null, s9, v16, vcc_lo
	v_mov_b32_e32 v15, 0
	v_dual_mov_b32 v21, v6 :: v_dual_mov_b32 v14, 0
	v_sub_co_u32 v29, s3, 0, v23
	v_mov_b32_e32 v24, v1
	s_wait_alu 0xf1ff
	v_sub_co_ci_u32_e64 v30, null, 0, 0, s3
	v_dual_mov_b32 v16, 0 :: v_dual_mov_b32 v23, v0
	s_mov_b32 s10, 0
.LBB158_17:                             ; =>This Inner Loop Header: Depth=1
	global_load_b32 v48, v[27:28], off
	s_clause 0x3
	global_load_b128 v[32:35], v[21:22], off
	global_load_b128 v[36:39], v[21:22], off offset:16
	global_load_b128 v[40:43], v[21:22], off offset:32
	global_load_b128 v[44:47], v[21:22], off offset:48
	v_add_co_u32 v27, s3, 0x80, v27
	s_wait_alu 0xf1ff
	v_add_co_ci_u32_e64 v28, null, 0, v28, s3
	s_wait_loadcnt 0x4
	v_subrev_nc_u32_e32 v48, s12, v48
	s_wait_loadcnt 0x3
	v_cvt_f64_f32_e32 v[56:57], v32
	s_wait_loadcnt 0x2
	v_cvt_f64_f32_e32 v[58:59], v36
	;; [unrolled: 2-line block ×4, first 2 shown]
	v_lshlrev_b32_e32 v48, 2, v48
	v_cvt_f64_f32_e32 v[32:33], v33
	v_cvt_f64_f32_e32 v[36:37], v37
	;; [unrolled: 1-line block ×4, first 2 shown]
	v_ashrrev_i32_e32 v49, 31, v48
	s_delay_alu instid0(VALU_DEP_1) | instskip(SKIP_1) | instid1(VALU_DEP_1)
	v_lshlrev_b64_e32 v[48:49], 3, v[48:49]
	s_wait_kmcnt 0x0
	v_add_co_u32 v52, vcc_lo, s4, v48
	s_wait_alu 0xfffd
	s_delay_alu instid0(VALU_DEP_2)
	v_add_co_ci_u32_e64 v53, null, s5, v49, vcc_lo
	v_add_co_u32 v21, vcc_lo, 0x800, v21
	s_wait_alu 0xfffd
	v_add_co_ci_u32_e64 v22, null, 0, v22, vcc_lo
	s_clause 0x1
	global_load_b128 v[48:51], v[52:53], off
	global_load_b128 v[52:55], v[52:53], off offset:16
	v_add_co_u32 v29, vcc_lo, v29, 1
	s_wait_alu 0xfffd
	v_add_co_ci_u32_e64 v30, null, 0, v30, vcc_lo
	v_add_co_u32 v23, vcc_lo, v23, 32
	s_wait_alu 0xfffd
	v_add_co_ci_u32_e64 v24, null, 0, v24, vcc_lo
	s_delay_alu instid0(VALU_DEP_3)
	v_cmp_eq_u64_e32 vcc_lo, 0, v[29:30]
	s_wait_alu 0xfffe
	s_or_b32 s10, vcc_lo, s10
	s_wait_loadcnt 0x1
	v_fma_f64 v[15:16], v[56:57], v[48:49], v[15:16]
	v_fma_f64 v[17:18], v[58:59], v[48:49], v[17:18]
	;; [unrolled: 1-line block ×4, first 2 shown]
	v_cvt_f64_f32_e32 v[48:49], v34
	v_cvt_f64_f32_e32 v[56:57], v38
	;; [unrolled: 1-line block ×4, first 2 shown]
	v_fma_f64 v[15:16], v[32:33], v[50:51], v[15:16]
	v_fma_f64 v[17:18], v[36:37], v[50:51], v[17:18]
	;; [unrolled: 1-line block ×4, first 2 shown]
	v_cvt_f64_f32_e32 v[32:33], v35
	v_cvt_f64_f32_e32 v[34:35], v39
	;; [unrolled: 1-line block ×4, first 2 shown]
	s_wait_loadcnt 0x0
	v_fma_f64 v[15:16], v[48:49], v[52:53], v[15:16]
	v_fma_f64 v[17:18], v[56:57], v[52:53], v[17:18]
	;; [unrolled: 1-line block ×4, first 2 shown]
	s_delay_alu instid0(VALU_DEP_4) | instskip(NEXT) | instid1(VALU_DEP_4)
	v_fma_f64 v[15:16], v[32:33], v[54:55], v[15:16]
	v_fma_f64 v[17:18], v[34:35], v[54:55], v[17:18]
	s_delay_alu instid0(VALU_DEP_4) | instskip(NEXT) | instid1(VALU_DEP_4)
	v_fma_f64 v[13:14], v[36:37], v[54:55], v[13:14]
	v_fma_f64 v[11:12], v[38:39], v[54:55], v[11:12]
	s_wait_alu 0xfffe
	s_and_not1_b32 exec_lo, exec_lo, s10
	s_cbranch_execnz .LBB158_17
; %bb.18:
	s_or_b32 exec_lo, exec_lo, s10
.LBB158_19:
	s_wait_alu 0xfffe
	s_or_b32 exec_lo, exec_lo, s7
	s_delay_alu instid0(SALU_CYCLE_1)
	s_mov_b32 s7, exec_lo
	v_cmpx_lt_u64_e32 0x5f, v[25:26]
	s_cbranch_execz .LBB158_23
; %bb.20:
	v_lshlrev_b64_e32 v[25:26], 2, v[23:24]
	s_mov_b32 s10, 0
	s_delay_alu instid0(VALU_DEP_1) | instskip(SKIP_1) | instid1(VALU_DEP_2)
	v_add_co_u32 v25, vcc_lo, s8, v25
	s_wait_alu 0xfffd
	v_add_co_ci_u32_e64 v26, null, s9, v26, vcc_lo
	s_delay_alu instid0(VALU_DEP_2) | instskip(SKIP_1) | instid1(VALU_DEP_2)
	v_add_co_u32 v25, vcc_lo, 0x100, v25
	s_wait_alu 0xfffd
	v_add_co_ci_u32_e64 v26, null, 0, v26, vcc_lo
.LBB158_21:                             ; =>This Inner Loop Header: Depth=1
	s_clause 0x2
	global_load_b32 v44, v[25:26], off offset:-256
	global_load_b32 v68, v[25:26], off offset:-128
	global_load_b32 v92, v[25:26], off
	s_clause 0x3
	global_load_b128 v[27:30], v[21:22], off
	global_load_b128 v[32:35], v[21:22], off offset:16
	global_load_b128 v[36:39], v[21:22], off offset:32
	;; [unrolled: 1-line block ×3, first 2 shown]
	global_load_b32 v106, v[25:26], off offset:128
	v_add_co_u32 v25, s3, 0x200, v25
	s_wait_alu 0xf1ff
	v_add_co_ci_u32_e64 v26, null, 0, v26, s3
	s_wait_loadcnt 0x7
	v_subrev_nc_u32_e32 v44, s12, v44
	s_wait_loadcnt 0x6
	v_subrev_nc_u32_e32 v68, s12, v68
	;; [unrolled: 2-line block ×3, first 2 shown]
	s_wait_loadcnt 0x4
	v_cvt_f64_f32_e32 v[96:97], v27
	s_wait_loadcnt 0x3
	v_cvt_f64_f32_e32 v[98:99], v32
	v_lshlrev_b32_e32 v44, 2, v44
	v_lshlrev_b32_e32 v68, 2, v68
	;; [unrolled: 1-line block ×3, first 2 shown]
	s_wait_loadcnt 0x2
	v_cvt_f64_f32_e32 v[100:101], v36
	s_wait_loadcnt 0x1
	v_cvt_f64_f32_e32 v[102:103], v40
	v_ashrrev_i32_e32 v45, 31, v44
	v_ashrrev_i32_e32 v69, 31, v68
	;; [unrolled: 1-line block ×3, first 2 shown]
	v_cvt_f64_f32_e32 v[27:28], v28
	v_cvt_f64_f32_e32 v[32:33], v33
	v_lshlrev_b64_e32 v[44:45], 3, v[44:45]
	v_lshlrev_b64_e32 v[68:69], 3, v[68:69]
	;; [unrolled: 1-line block ×3, first 2 shown]
	v_cvt_f64_f32_e32 v[36:37], v37
	v_cvt_f64_f32_e32 v[40:41], v41
	s_wait_loadcnt 0x0
	v_subrev_nc_u32_e32 v110, s12, v106
	s_wait_kmcnt 0x0
	v_add_co_u32 v48, vcc_lo, s4, v44
	s_wait_alu 0xfffd
	v_add_co_ci_u32_e64 v49, null, s5, v45, vcc_lo
	v_add_co_u32 v72, vcc_lo, s4, v68
	s_wait_alu 0xfffd
	v_add_co_ci_u32_e64 v73, null, s5, v69, vcc_lo
	s_clause 0x1
	global_load_b128 v[44:47], v[48:49], off
	global_load_b128 v[48:51], v[48:49], off offset:16
	s_clause 0x3
	global_load_b128 v[52:55], v[21:22], off offset:2048
	global_load_b128 v[56:59], v[21:22], off offset:2064
	;; [unrolled: 1-line block ×4, first 2 shown]
	s_clause 0x1
	global_load_b128 v[68:71], v[72:73], off
	global_load_b128 v[72:75], v[72:73], off offset:16
	s_clause 0x3
	global_load_b128 v[76:79], v[21:22], off offset:4096
	global_load_b128 v[80:83], v[21:22], off offset:4112
	;; [unrolled: 1-line block ×4, first 2 shown]
	v_add_co_u32 v104, vcc_lo, s4, v92
	s_wait_alu 0xfffd
	v_add_co_ci_u32_e64 v105, null, s5, v93, vcc_lo
	v_lshlrev_b32_e32 v110, 2, v110
	global_load_b128 v[92:95], v[104:105], off
	v_ashrrev_i32_e32 v111, 31, v110
	s_wait_loadcnt 0xc
	v_fma_f64 v[15:16], v[96:97], v[44:45], v[15:16]
	v_fma_f64 v[17:18], v[98:99], v[44:45], v[17:18]
	v_fma_f64 v[13:14], v[100:101], v[44:45], v[13:14]
	v_fma_f64 v[11:12], v[102:103], v[44:45], v[11:12]
	v_cvt_f64_f32_e32 v[44:45], v29
	v_cvt_f64_f32_e32 v[96:97], v34
	;; [unrolled: 1-line block ×6, first 2 shown]
	s_wait_loadcnt 0x8
	v_cvt_f64_f32_e32 v[106:107], v60
	s_wait_loadcnt 0x7
	v_cvt_f64_f32_e32 v[108:109], v64
	v_cvt_f64_f32_e32 v[60:61], v61
	;; [unrolled: 1-line block ×3, first 2 shown]
	v_fma_f64 v[15:16], v[27:28], v[46:47], v[15:16]
	v_fma_f64 v[17:18], v[32:33], v[46:47], v[17:18]
	;; [unrolled: 1-line block ×4, first 2 shown]
	global_load_b128 v[11:14], v[104:105], off offset:16
	v_cvt_f64_f32_e32 v[40:41], v30
	v_cvt_f64_f32_e32 v[46:47], v35
	;; [unrolled: 1-line block ×4, first 2 shown]
	v_fma_f64 v[44:45], v[44:45], v[48:49], v[15:16]
	v_fma_f64 v[96:97], v[96:97], v[48:49], v[17:18]
	;; [unrolled: 1-line block ×4, first 2 shown]
	s_clause 0x3
	global_load_b128 v[15:18], v[21:22], off offset:6144
	global_load_b128 v[27:30], v[21:22], off offset:6160
	;; [unrolled: 1-line block ×4, first 2 shown]
	v_cvt_f64_f32_e32 v[100:101], v52
	v_cvt_f64_f32_e32 v[52:53], v53
	v_fma_f64 v[44:45], v[40:41], v[50:51], v[44:45]
	v_fma_f64 v[46:47], v[46:47], v[50:51], v[96:97]
	;; [unrolled: 1-line block ×4, first 2 shown]
	v_lshlrev_b64_e32 v[40:41], 3, v[110:111]
	v_cvt_f64_f32_e32 v[98:99], v58
	v_cvt_f64_f32_e32 v[102:103], v66
	s_delay_alu instid0(VALU_DEP_3) | instskip(SKIP_1) | instid1(VALU_DEP_4)
	v_add_co_u32 v50, vcc_lo, s4, v40
	s_wait_alu 0xfffd
	v_add_co_ci_u32_e64 v51, null, s5, v41, vcc_lo
	v_add_co_u32 v23, vcc_lo, 0x80, v23
	s_wait_alu 0xfffd
	v_add_co_ci_u32_e64 v24, null, 0, v24, vcc_lo
	global_load_b128 v[40:43], v[50:51], off
	v_add_co_u32 v21, vcc_lo, 0x2000, v21
	s_wait_alu 0xfffd
	v_add_co_ci_u32_e64 v22, null, 0, v22, vcc_lo
	v_cmp_ge_i64_e32 vcc_lo, v[23:24], v[4:5]
	s_wait_alu 0xfffe
	s_or_b32 s10, vcc_lo, s10
	s_wait_loadcnt 0xc
	v_fma_f64 v[44:45], v[100:101], v[68:69], v[44:45]
	v_fma_f64 v[46:47], v[104:105], v[68:69], v[46:47]
	;; [unrolled: 1-line block ×4, first 2 shown]
	v_cvt_f64_f32_e32 v[68:69], v54
	v_cvt_f64_f32_e32 v[100:101], v62
	v_fma_f64 v[52:53], v[52:53], v[70:71], v[44:45]
	v_fma_f64 v[56:57], v[56:57], v[70:71], v[46:47]
	v_fma_f64 v[60:61], v[60:61], v[70:71], v[96:97]
	v_fma_f64 v[48:49], v[64:65], v[70:71], v[48:49]
	global_load_b128 v[44:47], v[50:51], off offset:16
	v_cvt_f64_f32_e32 v[50:51], v55
	v_cvt_f64_f32_e32 v[54:55], v59
	v_cvt_f64_f32_e32 v[58:59], v63
	v_cvt_f64_f32_e32 v[62:63], v67
	s_wait_loadcnt 0xb
	v_cvt_f64_f32_e32 v[64:65], v76
	s_wait_loadcnt 0xa
	v_cvt_f64_f32_e32 v[66:67], v80
	;; [unrolled: 2-line block ×3, first 2 shown]
	v_fma_f64 v[52:53], v[68:69], v[72:73], v[52:53]
	v_fma_f64 v[56:57], v[98:99], v[72:73], v[56:57]
	;; [unrolled: 1-line block ×4, first 2 shown]
	v_cvt_f64_f32_e32 v[68:69], v84
	v_fma_f64 v[50:51], v[50:51], v[74:75], v[52:53]
	v_fma_f64 v[52:53], v[54:55], v[74:75], v[56:57]
	;; [unrolled: 1-line block ×4, first 2 shown]
	v_cvt_f64_f32_e32 v[56:57], v77
	v_cvt_f64_f32_e32 v[58:59], v81
	;; [unrolled: 1-line block ×4, first 2 shown]
	s_wait_loadcnt 0x7
	v_fma_f64 v[50:51], v[64:65], v[92:93], v[50:51]
	v_fma_f64 v[52:53], v[66:67], v[92:93], v[52:53]
	;; [unrolled: 1-line block ×4, first 2 shown]
	v_cvt_f64_f32_e32 v[64:65], v78
	v_cvt_f64_f32_e32 v[66:67], v82
	;; [unrolled: 1-line block ×4, first 2 shown]
	v_fma_f64 v[50:51], v[56:57], v[94:95], v[50:51]
	v_fma_f64 v[52:53], v[58:59], v[94:95], v[52:53]
	;; [unrolled: 1-line block ×4, first 2 shown]
	v_cvt_f64_f32_e32 v[56:57], v79
	v_cvt_f64_f32_e32 v[58:59], v83
	;; [unrolled: 1-line block ×4, first 2 shown]
	s_wait_loadcnt 0x6
	v_fma_f64 v[50:51], v[64:65], v[11:12], v[50:51]
	v_fma_f64 v[52:53], v[66:67], v[11:12], v[52:53]
	;; [unrolled: 1-line block ×4, first 2 shown]
	s_wait_loadcnt 0x5
	v_cvt_f64_f32_e32 v[48:49], v15
	s_wait_loadcnt 0x4
	v_cvt_f64_f32_e32 v[64:65], v27
	;; [unrolled: 2-line block ×4, first 2 shown]
	v_fma_f64 v[50:51], v[56:57], v[13:14], v[50:51]
	v_fma_f64 v[52:53], v[58:59], v[13:14], v[52:53]
	;; [unrolled: 1-line block ×4, first 2 shown]
	v_cvt_f64_f32_e32 v[13:14], v16
	v_cvt_f64_f32_e32 v[15:16], v28
	;; [unrolled: 1-line block ×5, first 2 shown]
	s_wait_loadcnt 0x1
	v_fma_f64 v[36:37], v[48:49], v[40:41], v[50:51]
	v_fma_f64 v[48:49], v[64:65], v[40:41], v[52:53]
	;; [unrolled: 1-line block ×4, first 2 shown]
	v_cvt_f64_f32_e32 v[40:41], v17
	v_cvt_f64_f32_e32 v[52:53], v29
	;; [unrolled: 1-line block ×5, first 2 shown]
	v_fma_f64 v[13:14], v[13:14], v[42:43], v[36:37]
	v_fma_f64 v[15:16], v[15:16], v[42:43], v[48:49]
	v_fma_f64 v[27:28], v[27:28], v[42:43], v[50:51]
	v_fma_f64 v[11:12], v[32:33], v[42:43], v[11:12]
	v_cvt_f64_f32_e32 v[32:33], v35
	v_cvt_f64_f32_e32 v[34:35], v39
	s_wait_loadcnt 0x0
	v_fma_f64 v[13:14], v[40:41], v[44:45], v[13:14]
	v_fma_f64 v[36:37], v[52:53], v[44:45], v[15:16]
	;; [unrolled: 1-line block ×4, first 2 shown]
	s_delay_alu instid0(VALU_DEP_4) | instskip(NEXT) | instid1(VALU_DEP_4)
	v_fma_f64 v[15:16], v[17:18], v[46:47], v[13:14]
	v_fma_f64 v[17:18], v[29:30], v[46:47], v[36:37]
	s_delay_alu instid0(VALU_DEP_4) | instskip(NEXT) | instid1(VALU_DEP_4)
	v_fma_f64 v[13:14], v[32:33], v[46:47], v[27:28]
	v_fma_f64 v[11:12], v[34:35], v[46:47], v[11:12]
	s_wait_alu 0xfffe
	s_and_not1_b32 exec_lo, exec_lo, s10
	s_cbranch_execnz .LBB158_21
; %bb.22:
	s_or_b32 exec_lo, exec_lo, s10
.LBB158_23:
	s_wait_alu 0xfffe
	s_or_b32 exec_lo, exec_lo, s7
.LBB158_24:
	s_wait_alu 0xfffe
	s_or_b32 exec_lo, exec_lo, s6
	s_cbranch_execz .LBB158_26
	s_branch .LBB158_37
.LBB158_25:
                                        ; implicit-def: $vgpr11_vgpr12
                                        ; implicit-def: $vgpr13_vgpr14
                                        ; implicit-def: $vgpr17_vgpr18
                                        ; implicit-def: $vgpr15_vgpr16
.LBB158_26:
	v_mov_b32_e32 v11, 0
	v_dual_mov_b32 v17, 0 :: v_dual_mov_b32 v12, 0
	v_dual_mov_b32 v13, 0 :: v_dual_mov_b32 v18, 0
	;; [unrolled: 1-line block ×3, first 2 shown]
	v_mov_b32_e32 v16, 0
	s_and_saveexec_b32 s3, s2
	s_cbranch_execz .LBB158_36
; %bb.27:
	v_or_b32_e32 v11, 32, v31
	v_not_b32_e32 v14, v19
	v_not_b32_e32 v13, v20
	s_delay_alu instid0(VALU_DEP_3) | instskip(SKIP_3) | instid1(VALU_DEP_3)
	v_sub_co_u32 v11, s2, v11, s12
	s_wait_alu 0xf1ff
	v_sub_co_ci_u32_e64 v12, null, 0, 0, s2
	v_sub_co_u32 v15, s2, s12, v31
	v_add_co_u32 v11, vcc_lo, v11, v19
	s_wait_alu 0xfffd
	s_delay_alu instid0(VALU_DEP_3) | instskip(SKIP_2) | instid1(VALU_DEP_2)
	v_add_co_ci_u32_e64 v12, null, v12, v20, vcc_lo
	s_wait_alu 0xf1ff
	v_sub_co_ci_u32_e64 v16, null, 0, 0, s2
	v_cmp_gt_i64_e32 vcc_lo, v[11:12], v[4:5]
	s_wait_alu 0xfffd
	v_cndmask_b32_e32 v17, v5, v12, vcc_lo
	v_cndmask_b32_e32 v11, v4, v11, vcc_lo
	v_add_co_u32 v12, vcc_lo, v15, v14
	s_wait_alu 0xfffd
	v_add_co_ci_u32_e64 v13, null, v16, v13, vcc_lo
	v_mov_b32_e32 v15, 0
	v_mov_b32_e32 v16, 0
	v_add_co_u32 v19, vcc_lo, v12, v11
	v_mov_b32_e32 v12, 0
	s_wait_alu 0xfffd
	v_add_co_ci_u32_e64 v20, null, v13, v17, vcc_lo
	s_delay_alu instid0(VALU_DEP_3) | instskip(SKIP_3) | instid1(VALU_DEP_4)
	v_and_b32_e32 v11, 0x60, v19
	v_mov_b32_e32 v17, 0
	v_dual_mov_b32 v18, 0 :: v_dual_mov_b32 v13, 0
	v_mov_b32_e32 v14, 0
	v_cmp_ne_u64_e32 vcc_lo, 0x60, v[11:12]
	v_mov_b32_e32 v11, 0
	v_mov_b32_e32 v12, 0
	s_and_saveexec_b32 s6, vcc_lo
	s_cbranch_execz .LBB158_31
; %bb.28:
	v_lshrrev_b32_e32 v11, 5, v19
	v_lshlrev_b64_e32 v[21:22], 2, v[0:1]
	v_mov_b32_e32 v13, 0
	v_mov_b32_e32 v17, 0
	;; [unrolled: 1-line block ×3, first 2 shown]
	v_add_nc_u32_e32 v23, 1, v11
	v_dual_mov_b32 v11, 0 :: v_dual_mov_b32 v14, 0
	v_mov_b32_e32 v12, 0
	v_add_co_u32 v21, vcc_lo, s8, v21
	s_delay_alu instid0(VALU_DEP_4) | instskip(SKIP_3) | instid1(VALU_DEP_3)
	v_dual_mov_b32 v18, 0 :: v_dual_and_b32 v23, 3, v23
	v_mov_b32_e32 v16, 0
	s_wait_alu 0xfffd
	v_add_co_ci_u32_e64 v22, null, s9, v22, vcc_lo
	v_sub_co_u32 v23, s2, 0, v23
	s_wait_alu 0xf1ff
	v_sub_co_ci_u32_e64 v24, null, 0, 0, s2
	s_mov_b32 s7, 0
.LBB158_29:                             ; =>This Inner Loop Header: Depth=1
	global_load_b32 v29, v[21:22], off
	s_clause 0x1
	global_load_b128 v[25:28], v[6:7], off
	global_load_b128 v[32:35], v[6:7], off offset:16
	v_add_co_u32 v21, s2, 0x80, v21
	s_wait_alu 0xf1ff
	v_add_co_ci_u32_e64 v22, null, 0, v22, s2
	s_wait_loadcnt 0x2
	v_subrev_nc_u32_e32 v29, s12, v29
	s_wait_loadcnt 0x1
	v_cvt_f64_f32_e32 v[52:53], v27
	v_cvt_f64_f32_e32 v[27:28], v28
	s_wait_loadcnt 0x0
	v_cvt_f64_f32_e32 v[54:55], v32
	v_cvt_f64_f32_e32 v[32:33], v33
	v_lshlrev_b32_e32 v29, 2, v29
	v_cvt_f64_f32_e32 v[56:57], v34
	v_cvt_f64_f32_e32 v[34:35], v35
	s_delay_alu instid0(VALU_DEP_3) | instskip(NEXT) | instid1(VALU_DEP_1)
	v_ashrrev_i32_e32 v30, 31, v29
	v_lshlrev_b64_e32 v[29:30], 3, v[29:30]
	s_wait_kmcnt 0x0
	s_delay_alu instid0(VALU_DEP_1) | instskip(SKIP_1) | instid1(VALU_DEP_2)
	v_add_co_u32 v29, vcc_lo, s4, v29
	s_wait_alu 0xfffd
	v_add_co_ci_u32_e64 v30, null, s5, v30, vcc_lo
	s_clause 0x1
	global_load_b128 v[36:39], v[29:30], off
	global_load_b128 v[40:43], v[29:30], off offset:16
	s_clause 0x1
	global_load_b128 v[44:47], v[6:7], off offset:32
	global_load_b128 v[48:51], v[6:7], off offset:48
	v_cvt_f64_f32_e32 v[29:30], v25
	v_cvt_f64_f32_e32 v[25:26], v26
	v_add_co_u32 v6, vcc_lo, 0x800, v6
	s_wait_alu 0xfffd
	v_add_co_ci_u32_e64 v7, null, 0, v7, vcc_lo
	v_add_co_u32 v23, vcc_lo, v23, 1
	s_wait_alu 0xfffd
	v_add_co_ci_u32_e64 v24, null, 0, v24, vcc_lo
	v_add_co_u32 v0, vcc_lo, v0, 32
	s_wait_alu 0xfffd
	v_add_co_ci_u32_e64 v1, null, 0, v1, vcc_lo
	s_delay_alu instid0(VALU_DEP_3)
	v_cmp_eq_u64_e32 vcc_lo, 0, v[23:24]
	s_wait_alu 0xfffe
	s_or_b32 s7, vcc_lo, s7
	s_wait_loadcnt 0x3
	v_fma_f64 v[15:16], v[29:30], v[36:37], v[15:16]
	v_fma_f64 v[17:18], v[25:26], v[36:37], v[17:18]
	;; [unrolled: 1-line block ×4, first 2 shown]
	s_wait_loadcnt 0x1
	v_cvt_f64_f32_e32 v[25:26], v44
	v_cvt_f64_f32_e32 v[27:28], v45
	;; [unrolled: 1-line block ×4, first 2 shown]
	s_wait_loadcnt 0x0
	v_cvt_f64_f32_e32 v[44:45], v51
	v_fma_f64 v[15:16], v[54:55], v[38:39], v[15:16]
	v_fma_f64 v[17:18], v[32:33], v[38:39], v[17:18]
	v_fma_f64 v[13:14], v[56:57], v[38:39], v[13:14]
	v_fma_f64 v[11:12], v[34:35], v[38:39], v[11:12]
	v_cvt_f64_f32_e32 v[32:33], v48
	v_cvt_f64_f32_e32 v[34:35], v49
	v_cvt_f64_f32_e32 v[38:39], v50
	v_fma_f64 v[15:16], v[25:26], v[40:41], v[15:16]
	v_fma_f64 v[17:18], v[27:28], v[40:41], v[17:18]
	;; [unrolled: 1-line block ×4, first 2 shown]
	s_delay_alu instid0(VALU_DEP_4) | instskip(NEXT) | instid1(VALU_DEP_4)
	v_fma_f64 v[15:16], v[32:33], v[42:43], v[15:16]
	v_fma_f64 v[17:18], v[34:35], v[42:43], v[17:18]
	s_delay_alu instid0(VALU_DEP_4) | instskip(NEXT) | instid1(VALU_DEP_4)
	v_fma_f64 v[13:14], v[38:39], v[42:43], v[13:14]
	v_fma_f64 v[11:12], v[44:45], v[42:43], v[11:12]
	s_wait_alu 0xfffe
	s_and_not1_b32 exec_lo, exec_lo, s7
	s_cbranch_execnz .LBB158_29
; %bb.30:
	s_or_b32 exec_lo, exec_lo, s7
.LBB158_31:
	s_wait_alu 0xfffe
	s_or_b32 exec_lo, exec_lo, s6
	s_delay_alu instid0(SALU_CYCLE_1)
	s_mov_b32 s6, exec_lo
	v_cmpx_lt_u64_e32 0x5f, v[19:20]
	s_cbranch_execz .LBB158_35
; %bb.32:
	v_lshlrev_b64_e32 v[19:20], 2, v[0:1]
	s_mov_b32 s7, 0
	s_delay_alu instid0(VALU_DEP_1) | instskip(SKIP_1) | instid1(VALU_DEP_2)
	v_add_co_u32 v19, vcc_lo, s8, v19
	s_wait_alu 0xfffd
	v_add_co_ci_u32_e64 v20, null, s9, v20, vcc_lo
	s_delay_alu instid0(VALU_DEP_2) | instskip(SKIP_1) | instid1(VALU_DEP_2)
	v_add_co_u32 v19, vcc_lo, 0x100, v19
	s_wait_alu 0xfffd
	v_add_co_ci_u32_e64 v20, null, 0, v20, vcc_lo
.LBB158_33:                             ; =>This Inner Loop Header: Depth=1
	s_clause 0x2
	global_load_b32 v25, v[19:20], off offset:-256
	global_load_b32 v52, v[19:20], off offset:-128
	global_load_b32 v76, v[19:20], off
	global_load_b128 v[21:24], v[6:7], off
	global_load_b32 v92, v[19:20], off offset:128
	v_add_co_u32 v19, s2, 0x200, v19
	s_wait_alu 0xf1ff
	v_add_co_ci_u32_e64 v20, null, 0, v20, s2
	s_wait_loadcnt 0x4
	v_subrev_nc_u32_e32 v25, s12, v25
	s_wait_loadcnt 0x2
	v_subrev_nc_u32_e32 v76, s12, v76
	s_wait_loadcnt 0x1
	v_cvt_f64_f32_e32 v[80:81], v22
	v_cvt_f64_f32_e32 v[82:83], v23
	v_lshlrev_b32_e32 v25, 2, v25
	v_cvt_f64_f32_e32 v[84:85], v24
	s_delay_alu instid0(VALU_DEP_2) | instskip(NEXT) | instid1(VALU_DEP_1)
	v_ashrrev_i32_e32 v26, 31, v25
	v_lshlrev_b64_e32 v[25:26], 3, v[25:26]
	s_wait_kmcnt 0x0
	s_delay_alu instid0(VALU_DEP_1) | instskip(SKIP_1) | instid1(VALU_DEP_2)
	v_add_co_u32 v29, vcc_lo, s4, v25
	s_wait_alu 0xfffd
	v_add_co_ci_u32_e64 v30, null, s5, v26, vcc_lo
	global_load_b128 v[25:28], v[6:7], off offset:16
	global_load_b128 v[32:35], v[29:30], off
	s_clause 0x1
	global_load_b128 v[36:39], v[6:7], off offset:32
	global_load_b128 v[40:43], v[6:7], off offset:48
	;; [unrolled: 1-line block ×4, first 2 shown]
	v_subrev_nc_u32_e32 v29, s12, v52
	s_delay_alu instid0(VALU_DEP_1) | instskip(NEXT) | instid1(VALU_DEP_1)
	v_lshlrev_b32_e32 v29, 2, v29
	v_ashrrev_i32_e32 v30, 31, v29
	s_delay_alu instid0(VALU_DEP_1) | instskip(NEXT) | instid1(VALU_DEP_1)
	v_lshlrev_b64_e32 v[29:30], 3, v[29:30]
	v_add_co_u32 v29, vcc_lo, s4, v29
	s_wait_alu 0xfffd
	s_delay_alu instid0(VALU_DEP_2)
	v_add_co_ci_u32_e64 v30, null, s5, v30, vcc_lo
	global_load_b128 v[52:55], v[6:7], off offset:2064
	global_load_b128 v[56:59], v[29:30], off
	s_clause 0x1
	global_load_b128 v[60:63], v[6:7], off offset:2080
	global_load_b128 v[64:67], v[6:7], off offset:2096
	global_load_b128 v[68:71], v[29:30], off offset:16
	global_load_b128 v[72:75], v[6:7], off offset:4096
	v_cvt_f64_f32_e32 v[29:30], v21
	v_lshlrev_b32_e32 v21, 2, v76
	s_delay_alu instid0(VALU_DEP_1) | instskip(NEXT) | instid1(VALU_DEP_1)
	v_ashrrev_i32_e32 v22, 31, v21
	v_lshlrev_b64_e32 v[21:22], 3, v[21:22]
	s_delay_alu instid0(VALU_DEP_1) | instskip(SKIP_1) | instid1(VALU_DEP_2)
	v_add_co_u32 v86, vcc_lo, s4, v21
	s_wait_alu 0xfffd
	v_add_co_ci_u32_e64 v87, null, s5, v22, vcc_lo
	global_load_b128 v[21:24], v[6:7], off offset:4112
	global_load_b128 v[76:79], v[86:87], off
	s_wait_loadcnt 0xd
	v_cvt_f64_f32_e32 v[88:89], v25
	v_cvt_f64_f32_e32 v[25:26], v26
	;; [unrolled: 1-line block ×4, first 2 shown]
	s_wait_loadcnt 0xc
	v_fma_f64 v[15:16], v[29:30], v[32:33], v[15:16]
	v_fma_f64 v[17:18], v[80:81], v[32:33], v[17:18]
	;; [unrolled: 1-line block ×4, first 2 shown]
	global_load_b128 v[11:14], v[6:7], off offset:4128
	s_wait_loadcnt 0xc
	v_cvt_f64_f32_e32 v[80:81], v36
	v_cvt_f64_f32_e32 v[36:37], v37
	;; [unrolled: 1-line block ×4, first 2 shown]
	v_fma_f64 v[84:85], v[88:89], v[34:35], v[15:16]
	v_fma_f64 v[88:89], v[25:26], v[34:35], v[17:18]
	;; [unrolled: 1-line block ×4, first 2 shown]
	global_load_b128 v[15:18], v[6:7], off offset:4144
	global_load_b128 v[25:28], v[86:87], off offset:16
	s_wait_loadcnt 0xd
	v_cvt_f64_f32_e32 v[86:87], v40
	v_cvt_f64_f32_e32 v[40:41], v41
	;; [unrolled: 1-line block ×4, first 2 shown]
	s_wait_loadcnt 0xc
	v_fma_f64 v[80:81], v[80:81], v[44:45], v[84:85]
	v_fma_f64 v[36:37], v[36:37], v[44:45], v[88:89]
	;; [unrolled: 1-line block ×4, first 2 shown]
	global_load_b128 v[32:35], v[6:7], off offset:6144
	v_subrev_nc_u32_e32 v84, s12, v92
	s_wait_loadcnt 0xc
	v_cvt_f64_f32_e32 v[44:45], v48
	v_cvt_f64_f32_e32 v[48:49], v49
	v_cvt_f64_f32_e32 v[82:83], v50
	v_cvt_f64_f32_e32 v[50:51], v51
	v_lshlrev_b32_e32 v84, 2, v84
	s_wait_loadcnt 0xb
	v_cvt_f64_f32_e32 v[88:89], v52
	v_cvt_f64_f32_e32 v[52:53], v53
	s_delay_alu instid0(VALU_DEP_3)
	v_ashrrev_i32_e32 v85, 31, v84
	v_fma_f64 v[80:81], v[86:87], v[46:47], v[80:81]
	v_fma_f64 v[86:87], v[40:41], v[46:47], v[36:37]
	v_fma_f64 v[29:30], v[90:91], v[46:47], v[29:30]
	v_fma_f64 v[46:47], v[42:43], v[46:47], v[38:39]
	v_lshlrev_b64_e32 v[36:37], 3, v[84:85]
	v_cvt_f64_f32_e32 v[90:91], v54
	v_cvt_f64_f32_e32 v[54:55], v55
	s_delay_alu instid0(VALU_DEP_3) | instskip(SKIP_1) | instid1(VALU_DEP_4)
	v_add_co_u32 v84, vcc_lo, s4, v36
	s_wait_alu 0xfffd
	v_add_co_ci_u32_e64 v85, null, s5, v37, vcc_lo
	global_load_b128 v[36:39], v[6:7], off offset:6160
	global_load_b128 v[40:43], v[84:85], off
	v_add_co_u32 v0, vcc_lo, 0x80, v0
	s_wait_alu 0xfffd
	v_add_co_ci_u32_e64 v1, null, 0, v1, vcc_lo
	s_wait_loadcnt 0xc
	v_fma_f64 v[80:81], v[44:45], v[56:57], v[80:81]
	v_fma_f64 v[48:49], v[48:49], v[56:57], v[86:87]
	;; [unrolled: 1-line block ×4, first 2 shown]
	global_load_b128 v[44:47], v[6:7], off offset:6176
	s_wait_loadcnt 0xc
	v_cvt_f64_f32_e32 v[56:57], v60
	v_cvt_f64_f32_e32 v[60:61], v61
	;; [unrolled: 1-line block ×4, first 2 shown]
	v_fma_f64 v[80:81], v[88:89], v[58:59], v[80:81]
	v_fma_f64 v[86:87], v[52:53], v[58:59], v[48:49]
	;; [unrolled: 1-line block ×4, first 2 shown]
	global_load_b128 v[48:51], v[6:7], off offset:6192
	global_load_b128 v[52:55], v[84:85], off offset:16
	s_wait_loadcnt 0xd
	v_cvt_f64_f32_e32 v[84:85], v64
	v_cvt_f64_f32_e32 v[64:65], v65
	;; [unrolled: 1-line block ×4, first 2 shown]
	v_add_co_u32 v6, vcc_lo, 0x2000, v6
	s_wait_alu 0xfffd
	v_add_co_ci_u32_e64 v7, null, 0, v7, vcc_lo
	v_cmp_ge_i64_e32 vcc_lo, v[0:1], v[4:5]
	s_wait_alu 0xfffe
	s_or_b32 s7, vcc_lo, s7
	s_wait_loadcnt 0xc
	v_fma_f64 v[56:57], v[56:57], v[68:69], v[80:81]
	v_fma_f64 v[60:61], v[60:61], v[68:69], v[86:87]
	v_fma_f64 v[29:30], v[82:83], v[68:69], v[29:30]
	v_fma_f64 v[58:59], v[62:63], v[68:69], v[58:59]
	s_wait_loadcnt 0xb
	v_cvt_f64_f32_e32 v[62:63], v72
	v_cvt_f64_f32_e32 v[68:69], v73
	v_cvt_f64_f32_e32 v[72:73], v74
	v_cvt_f64_f32_e32 v[74:75], v75
	v_fma_f64 v[56:57], v[84:85], v[70:71], v[56:57]
	v_fma_f64 v[60:61], v[64:65], v[70:71], v[60:61]
	v_fma_f64 v[29:30], v[88:89], v[70:71], v[29:30]
	v_fma_f64 v[58:59], v[66:67], v[70:71], v[58:59]
	s_wait_loadcnt 0xa
	v_cvt_f64_f32_e32 v[64:65], v21
	v_cvt_f64_f32_e32 v[21:22], v22
	v_cvt_f64_f32_e32 v[66:67], v23
	v_cvt_f64_f32_e32 v[23:24], v24
	s_wait_loadcnt 0x9
	v_fma_f64 v[56:57], v[62:63], v[76:77], v[56:57]
	v_fma_f64 v[60:61], v[68:69], v[76:77], v[60:61]
	v_fma_f64 v[29:30], v[72:73], v[76:77], v[29:30]
	v_fma_f64 v[58:59], v[74:75], v[76:77], v[58:59]
	s_wait_loadcnt 0x8
	v_cvt_f64_f32_e32 v[62:63], v11
	v_cvt_f64_f32_e32 v[11:12], v12
	v_cvt_f64_f32_e32 v[68:69], v13
	v_cvt_f64_f32_e32 v[13:14], v14
	v_fma_f64 v[56:57], v[64:65], v[78:79], v[56:57]
	v_fma_f64 v[21:22], v[21:22], v[78:79], v[60:61]
	v_fma_f64 v[29:30], v[66:67], v[78:79], v[29:30]
	v_fma_f64 v[23:24], v[23:24], v[78:79], v[58:59]
	s_wait_loadcnt 0x7
	v_cvt_f64_f32_e32 v[58:59], v15
	v_cvt_f64_f32_e32 v[15:16], v16
	v_cvt_f64_f32_e32 v[60:61], v17
	v_cvt_f64_f32_e32 v[17:18], v18
	;; [unrolled: 19-line block ×4, first 2 shown]
	s_wait_loadcnt 0x0
	v_fma_f64 v[17:18], v[25:26], v[52:53], v[17:18]
	v_fma_f64 v[11:12], v[29:30], v[52:53], v[11:12]
	v_fma_f64 v[25:26], v[32:33], v[52:53], v[15:16]
	v_fma_f64 v[29:30], v[34:35], v[52:53], v[13:14]
	s_delay_alu instid0(VALU_DEP_4) | instskip(NEXT) | instid1(VALU_DEP_4)
	v_fma_f64 v[15:16], v[21:22], v[54:55], v[17:18]
	v_fma_f64 v[17:18], v[23:24], v[54:55], v[11:12]
	s_delay_alu instid0(VALU_DEP_4) | instskip(NEXT) | instid1(VALU_DEP_4)
	v_fma_f64 v[13:14], v[27:28], v[54:55], v[25:26]
	v_fma_f64 v[11:12], v[36:37], v[54:55], v[29:30]
	s_wait_alu 0xfffe
	s_and_not1_b32 exec_lo, exec_lo, s7
	s_cbranch_execnz .LBB158_33
; %bb.34:
	s_or_b32 exec_lo, exec_lo, s7
.LBB158_35:
	s_wait_alu 0xfffe
	s_or_b32 exec_lo, exec_lo, s6
.LBB158_36:
	s_wait_alu 0xfffe
	s_or_b32 exec_lo, exec_lo, s3
.LBB158_37:
	v_mbcnt_lo_u32_b32 v23, -1, 0
	s_delay_alu instid0(VALU_DEP_1) | instskip(NEXT) | instid1(VALU_DEP_1)
	v_xor_b32_e32 v0, 16, v23
	v_cmp_gt_i32_e32 vcc_lo, 32, v0
	s_wait_alu 0xfffd
	v_cndmask_b32_e32 v0, v23, v0, vcc_lo
	s_delay_alu instid0(VALU_DEP_1)
	v_lshlrev_b32_e32 v20, 2, v0
	ds_bpermute_b32 v6, v20, v13
	ds_bpermute_b32 v7, v20, v14
	s_wait_dscnt 0x0
	v_add_f64_e32 v[6:7], v[13:14], v[6:7]
	v_xor_b32_e32 v13, 8, v23
	s_delay_alu instid0(VALU_DEP_1)
	v_cmp_gt_i32_e32 vcc_lo, 32, v13
	s_wait_alu 0xfffd
	v_cndmask_b32_e32 v13, v23, v13, vcc_lo
	ds_bpermute_b32 v0, v20, v15
	ds_bpermute_b32 v1, v20, v16
	;; [unrolled: 1-line block ×6, first 2 shown]
	s_wait_dscnt 0x4
	v_add_f64_e32 v[0:1], v[15:16], v[0:1]
	s_wait_dscnt 0x2
	v_add_f64_e32 v[4:5], v[17:18], v[4:5]
	;; [unrolled: 2-line block ×3, first 2 shown]
	v_lshlrev_b32_e32 v20, 2, v13
	ds_bpermute_b32 v17, v20, v6
	ds_bpermute_b32 v18, v20, v7
	s_wait_dscnt 0x0
	v_add_f64_e32 v[6:7], v[6:7], v[17:18]
	ds_bpermute_b32 v13, v20, v0
	ds_bpermute_b32 v14, v20, v1
	;; [unrolled: 1-line block ×6, first 2 shown]
	s_wait_dscnt 0x4
	v_add_f64_e32 v[0:1], v[0:1], v[13:14]
	v_xor_b32_e32 v13, 4, v23
	s_wait_dscnt 0x2
	v_add_f64_e32 v[4:5], v[4:5], v[15:16]
	s_wait_dscnt 0x0
	v_add_f64_e32 v[11:12], v[11:12], v[19:20]
	v_cmp_gt_i32_e32 vcc_lo, 32, v13
	s_wait_alu 0xfffd
	v_cndmask_b32_e32 v13, v23, v13, vcc_lo
	s_delay_alu instid0(VALU_DEP_1)
	v_lshlrev_b32_e32 v20, 2, v13
	ds_bpermute_b32 v17, v20, v6
	ds_bpermute_b32 v18, v20, v7
	;; [unrolled: 1-line block ×8, first 2 shown]
	s_wait_dscnt 0x4
	v_add_f64_e32 v[0:1], v[0:1], v[13:14]
	v_add_f64_e32 v[13:14], v[6:7], v[17:18]
	s_wait_dscnt 0x2
	v_add_f64_e32 v[4:5], v[4:5], v[15:16]
	v_xor_b32_e32 v6, 2, v23
	s_wait_dscnt 0x0
	v_add_f64_e32 v[15:16], v[11:12], v[19:20]
	s_delay_alu instid0(VALU_DEP_2) | instskip(SKIP_2) | instid1(VALU_DEP_1)
	v_cmp_gt_i32_e32 vcc_lo, 32, v6
	s_wait_alu 0xfffd
	v_cndmask_b32_e32 v6, v23, v6, vcc_lo
	v_lshlrev_b32_e32 v11, 2, v6
	ds_bpermute_b32 v6, v11, v0
	ds_bpermute_b32 v7, v11, v1
	;; [unrolled: 1-line block ×8, first 2 shown]
	s_wait_dscnt 0x6
	v_add_f64_e32 v[11:12], v[0:1], v[6:7]
	s_wait_dscnt 0x4
	v_add_f64_e32 v[6:7], v[4:5], v[17:18]
	;; [unrolled: 2-line block ×3, first 2 shown]
	v_xor_b32_e32 v13, 1, v23
	s_wait_dscnt 0x0
	v_add_f64_e32 v[4:5], v[15:16], v[21:22]
	s_delay_alu instid0(VALU_DEP_2) | instskip(SKIP_3) | instid1(VALU_DEP_2)
	v_cmp_gt_i32_e32 vcc_lo, 32, v13
	s_wait_alu 0xfffd
	v_cndmask_b32_e32 v13, v23, v13, vcc_lo
	v_cmp_eq_u32_e32 vcc_lo, 31, v31
	v_lshlrev_b32_e32 v14, 2, v13
	ds_bpermute_b32 v19, v14, v11
	ds_bpermute_b32 v20, v14, v12
	;; [unrolled: 1-line block ×8, first 2 shown]
	s_and_b32 exec_lo, exec_lo, vcc_lo
	s_cbranch_execz .LBB158_10
; %bb.38:
	s_wait_dscnt 0x6
	v_add_f64_e32 v[11:12], v[11:12], v[19:20]
	s_wait_dscnt 0x4
	v_add_f64_e32 v[6:7], v[6:7], v[17:18]
	;; [unrolled: 2-line block ×4, first 2 shown]
	s_load_b64 s[0:1], s[0:1], 0x50
	v_lshlrev_b32_e32 v10, 2, v10
	s_mov_b32 s2, exec_lo
	v_mul_f64_e32 v[4:5], v[2:3], v[11:12]
	v_mul_f64_e32 v[6:7], v[2:3], v[6:7]
	;; [unrolled: 1-line block ×4, first 2 shown]
	v_cmpx_eq_f64_e32 0, v[8:9]
	s_wait_alu 0xfffe
	s_xor_b32 s2, exec_lo, s2
	s_cbranch_execz .LBB158_40
; %bb.39:
	v_ashrrev_i32_e32 v11, 31, v10
	s_delay_alu instid0(VALU_DEP_1) | instskip(SKIP_1) | instid1(VALU_DEP_1)
	v_lshlrev_b64_e32 v[8:9], 3, v[10:11]
                                        ; implicit-def: $vgpr10
	s_wait_kmcnt 0x0
	v_add_co_u32 v8, vcc_lo, s0, v8
	s_wait_alu 0xfffd
	s_delay_alu instid0(VALU_DEP_2)
	v_add_co_ci_u32_e64 v9, null, s1, v9, vcc_lo
	s_clause 0x1
	global_store_b128 v[8:9], v[4:7], off
	global_store_b128 v[8:9], v[0:3], off offset:16
                                        ; implicit-def: $vgpr8_vgpr9
                                        ; implicit-def: $vgpr4_vgpr5
                                        ; implicit-def: $vgpr0_vgpr1
.LBB158_40:
	s_wait_alu 0xfffe
	s_and_not1_saveexec_b32 s2, s2
	s_cbranch_execz .LBB158_10
; %bb.41:
	v_ashrrev_i32_e32 v11, 31, v10
	s_delay_alu instid0(VALU_DEP_1) | instskip(SKIP_1) | instid1(VALU_DEP_1)
	v_lshlrev_b64_e32 v[10:11], 3, v[10:11]
	s_wait_kmcnt 0x0
	v_add_co_u32 v18, vcc_lo, s0, v10
	s_wait_alu 0xfffd
	s_delay_alu instid0(VALU_DEP_2)
	v_add_co_ci_u32_e64 v19, null, s1, v11, vcc_lo
	s_clause 0x1
	global_load_b128 v[10:13], v[18:19], off
	global_load_b128 v[14:17], v[18:19], off offset:16
	s_wait_loadcnt 0x1
	v_fma_f64 v[4:5], v[8:9], v[10:11], v[4:5]
	v_fma_f64 v[6:7], v[8:9], v[12:13], v[6:7]
	s_wait_loadcnt 0x0
	v_fma_f64 v[0:1], v[8:9], v[14:15], v[0:1]
	v_fma_f64 v[2:3], v[8:9], v[16:17], v[2:3]
	s_clause 0x1
	global_store_b128 v[18:19], v[4:7], off
	global_store_b128 v[18:19], v[0:3], off offset:16
	s_nop 0
	s_sendmsg sendmsg(MSG_DEALLOC_VGPRS)
	s_endpgm
	.section	.rodata,"a",@progbits
	.p2align	6, 0x0
	.amdhsa_kernel _ZN9rocsparseL18bsrxmvn_4x4_kernelILj128ELj32EdlifddEEvT3_20rocsparse_direction_NS_24const_host_device_scalarIT1_EES1_PKS1_PKT2_SA_S7_PKT4_PKT5_S5_PT6_21rocsparse_index_base_b
		.amdhsa_group_segment_fixed_size 0
		.amdhsa_private_segment_fixed_size 0
		.amdhsa_kernarg_size 96
		.amdhsa_user_sgpr_count 2
		.amdhsa_user_sgpr_dispatch_ptr 0
		.amdhsa_user_sgpr_queue_ptr 0
		.amdhsa_user_sgpr_kernarg_segment_ptr 1
		.amdhsa_user_sgpr_dispatch_id 0
		.amdhsa_user_sgpr_private_segment_size 0
		.amdhsa_wavefront_size32 1
		.amdhsa_uses_dynamic_stack 0
		.amdhsa_enable_private_segment 0
		.amdhsa_system_sgpr_workgroup_id_x 1
		.amdhsa_system_sgpr_workgroup_id_y 0
		.amdhsa_system_sgpr_workgroup_id_z 0
		.amdhsa_system_sgpr_workgroup_info 0
		.amdhsa_system_vgpr_workitem_id 0
		.amdhsa_next_free_vgpr 112
		.amdhsa_next_free_sgpr 14
		.amdhsa_reserve_vcc 1
		.amdhsa_float_round_mode_32 0
		.amdhsa_float_round_mode_16_64 0
		.amdhsa_float_denorm_mode_32 3
		.amdhsa_float_denorm_mode_16_64 3
		.amdhsa_fp16_overflow 0
		.amdhsa_workgroup_processor_mode 1
		.amdhsa_memory_ordered 1
		.amdhsa_forward_progress 1
		.amdhsa_inst_pref_size 51
		.amdhsa_round_robin_scheduling 0
		.amdhsa_exception_fp_ieee_invalid_op 0
		.amdhsa_exception_fp_denorm_src 0
		.amdhsa_exception_fp_ieee_div_zero 0
		.amdhsa_exception_fp_ieee_overflow 0
		.amdhsa_exception_fp_ieee_underflow 0
		.amdhsa_exception_fp_ieee_inexact 0
		.amdhsa_exception_int_div_zero 0
	.end_amdhsa_kernel
	.section	.text._ZN9rocsparseL18bsrxmvn_4x4_kernelILj128ELj32EdlifddEEvT3_20rocsparse_direction_NS_24const_host_device_scalarIT1_EES1_PKS1_PKT2_SA_S7_PKT4_PKT5_S5_PT6_21rocsparse_index_base_b,"axG",@progbits,_ZN9rocsparseL18bsrxmvn_4x4_kernelILj128ELj32EdlifddEEvT3_20rocsparse_direction_NS_24const_host_device_scalarIT1_EES1_PKS1_PKT2_SA_S7_PKT4_PKT5_S5_PT6_21rocsparse_index_base_b,comdat
.Lfunc_end158:
	.size	_ZN9rocsparseL18bsrxmvn_4x4_kernelILj128ELj32EdlifddEEvT3_20rocsparse_direction_NS_24const_host_device_scalarIT1_EES1_PKS1_PKT2_SA_S7_PKT4_PKT5_S5_PT6_21rocsparse_index_base_b, .Lfunc_end158-_ZN9rocsparseL18bsrxmvn_4x4_kernelILj128ELj32EdlifddEEvT3_20rocsparse_direction_NS_24const_host_device_scalarIT1_EES1_PKS1_PKT2_SA_S7_PKT4_PKT5_S5_PT6_21rocsparse_index_base_b
                                        ; -- End function
	.set _ZN9rocsparseL18bsrxmvn_4x4_kernelILj128ELj32EdlifddEEvT3_20rocsparse_direction_NS_24const_host_device_scalarIT1_EES1_PKS1_PKT2_SA_S7_PKT4_PKT5_S5_PT6_21rocsparse_index_base_b.num_vgpr, 112
	.set _ZN9rocsparseL18bsrxmvn_4x4_kernelILj128ELj32EdlifddEEvT3_20rocsparse_direction_NS_24const_host_device_scalarIT1_EES1_PKS1_PKT2_SA_S7_PKT4_PKT5_S5_PT6_21rocsparse_index_base_b.num_agpr, 0
	.set _ZN9rocsparseL18bsrxmvn_4x4_kernelILj128ELj32EdlifddEEvT3_20rocsparse_direction_NS_24const_host_device_scalarIT1_EES1_PKS1_PKT2_SA_S7_PKT4_PKT5_S5_PT6_21rocsparse_index_base_b.numbered_sgpr, 14
	.set _ZN9rocsparseL18bsrxmvn_4x4_kernelILj128ELj32EdlifddEEvT3_20rocsparse_direction_NS_24const_host_device_scalarIT1_EES1_PKS1_PKT2_SA_S7_PKT4_PKT5_S5_PT6_21rocsparse_index_base_b.num_named_barrier, 0
	.set _ZN9rocsparseL18bsrxmvn_4x4_kernelILj128ELj32EdlifddEEvT3_20rocsparse_direction_NS_24const_host_device_scalarIT1_EES1_PKS1_PKT2_SA_S7_PKT4_PKT5_S5_PT6_21rocsparse_index_base_b.private_seg_size, 0
	.set _ZN9rocsparseL18bsrxmvn_4x4_kernelILj128ELj32EdlifddEEvT3_20rocsparse_direction_NS_24const_host_device_scalarIT1_EES1_PKS1_PKT2_SA_S7_PKT4_PKT5_S5_PT6_21rocsparse_index_base_b.uses_vcc, 1
	.set _ZN9rocsparseL18bsrxmvn_4x4_kernelILj128ELj32EdlifddEEvT3_20rocsparse_direction_NS_24const_host_device_scalarIT1_EES1_PKS1_PKT2_SA_S7_PKT4_PKT5_S5_PT6_21rocsparse_index_base_b.uses_flat_scratch, 0
	.set _ZN9rocsparseL18bsrxmvn_4x4_kernelILj128ELj32EdlifddEEvT3_20rocsparse_direction_NS_24const_host_device_scalarIT1_EES1_PKS1_PKT2_SA_S7_PKT4_PKT5_S5_PT6_21rocsparse_index_base_b.has_dyn_sized_stack, 0
	.set _ZN9rocsparseL18bsrxmvn_4x4_kernelILj128ELj32EdlifddEEvT3_20rocsparse_direction_NS_24const_host_device_scalarIT1_EES1_PKS1_PKT2_SA_S7_PKT4_PKT5_S5_PT6_21rocsparse_index_base_b.has_recursion, 0
	.set _ZN9rocsparseL18bsrxmvn_4x4_kernelILj128ELj32EdlifddEEvT3_20rocsparse_direction_NS_24const_host_device_scalarIT1_EES1_PKS1_PKT2_SA_S7_PKT4_PKT5_S5_PT6_21rocsparse_index_base_b.has_indirect_call, 0
	.section	.AMDGPU.csdata,"",@progbits
; Kernel info:
; codeLenInByte = 6436
; TotalNumSgprs: 16
; NumVgprs: 112
; ScratchSize: 0
; MemoryBound: 0
; FloatMode: 240
; IeeeMode: 1
; LDSByteSize: 0 bytes/workgroup (compile time only)
; SGPRBlocks: 0
; VGPRBlocks: 13
; NumSGPRsForWavesPerEU: 16
; NumVGPRsForWavesPerEU: 112
; Occupancy: 12
; WaveLimiterHint : 1
; COMPUTE_PGM_RSRC2:SCRATCH_EN: 0
; COMPUTE_PGM_RSRC2:USER_SGPR: 2
; COMPUTE_PGM_RSRC2:TRAP_HANDLER: 0
; COMPUTE_PGM_RSRC2:TGID_X_EN: 1
; COMPUTE_PGM_RSRC2:TGID_Y_EN: 0
; COMPUTE_PGM_RSRC2:TGID_Z_EN: 0
; COMPUTE_PGM_RSRC2:TIDIG_COMP_CNT: 0
	.section	.text._ZN9rocsparseL18bsrxmvn_4x4_kernelILj128ELj64EdlifddEEvT3_20rocsparse_direction_NS_24const_host_device_scalarIT1_EES1_PKS1_PKT2_SA_S7_PKT4_PKT5_S5_PT6_21rocsparse_index_base_b,"axG",@progbits,_ZN9rocsparseL18bsrxmvn_4x4_kernelILj128ELj64EdlifddEEvT3_20rocsparse_direction_NS_24const_host_device_scalarIT1_EES1_PKS1_PKT2_SA_S7_PKT4_PKT5_S5_PT6_21rocsparse_index_base_b,comdat
	.globl	_ZN9rocsparseL18bsrxmvn_4x4_kernelILj128ELj64EdlifddEEvT3_20rocsparse_direction_NS_24const_host_device_scalarIT1_EES1_PKS1_PKT2_SA_S7_PKT4_PKT5_S5_PT6_21rocsparse_index_base_b ; -- Begin function _ZN9rocsparseL18bsrxmvn_4x4_kernelILj128ELj64EdlifddEEvT3_20rocsparse_direction_NS_24const_host_device_scalarIT1_EES1_PKS1_PKT2_SA_S7_PKT4_PKT5_S5_PT6_21rocsparse_index_base_b
	.p2align	8
	.type	_ZN9rocsparseL18bsrxmvn_4x4_kernelILj128ELj64EdlifddEEvT3_20rocsparse_direction_NS_24const_host_device_scalarIT1_EES1_PKS1_PKT2_SA_S7_PKT4_PKT5_S5_PT6_21rocsparse_index_base_b,@function
_ZN9rocsparseL18bsrxmvn_4x4_kernelILj128ELj64EdlifddEEvT3_20rocsparse_direction_NS_24const_host_device_scalarIT1_EES1_PKS1_PKT2_SA_S7_PKT4_PKT5_S5_PT6_21rocsparse_index_base_b: ; @_ZN9rocsparseL18bsrxmvn_4x4_kernelILj128ELj64EdlifddEEvT3_20rocsparse_direction_NS_24const_host_device_scalarIT1_EES1_PKS1_PKT2_SA_S7_PKT4_PKT5_S5_PT6_21rocsparse_index_base_b
; %bb.0:
	s_clause 0x2
	s_load_b64 s[12:13], s[0:1], 0x58
	s_load_b64 s[4:5], s[0:1], 0x8
	s_load_b64 s[2:3], s[0:1], 0x48
	s_wait_kmcnt 0x0
	s_bitcmp1_b32 s13, 0
	v_dual_mov_b32 v2, s4 :: v_dual_mov_b32 v3, s5
	s_cselect_b32 s6, -1, 0
	s_delay_alu instid0(SALU_CYCLE_1)
	s_and_b32 vcc_lo, exec_lo, s6
	s_xor_b32 s6, s6, -1
	s_cbranch_vccnz .LBB159_2
; %bb.1:
	v_dual_mov_b32 v1, s4 :: v_dual_mov_b32 v2, s5
	flat_load_b64 v[2:3], v[1:2]
.LBB159_2:
	v_dual_mov_b32 v9, s3 :: v_dual_mov_b32 v8, s2
	s_and_not1_b32 vcc_lo, exec_lo, s6
	s_cbranch_vccnz .LBB159_4
; %bb.3:
	v_dual_mov_b32 v5, s3 :: v_dual_mov_b32 v4, s2
	flat_load_b64 v[8:9], v[4:5]
.LBB159_4:
	s_wait_loadcnt_dscnt 0x0
	v_cmp_neq_f64_e32 vcc_lo, 0, v[2:3]
	v_cmp_neq_f64_e64 s2, 1.0, v[8:9]
	s_or_b32 s2, vcc_lo, s2
	s_wait_alu 0xfffe
	s_and_saveexec_b32 s3, s2
	s_cbranch_execz .LBB159_10
; %bb.5:
	s_clause 0x1
	s_load_b64 s[4:5], s[0:1], 0x18
	s_load_b64 s[2:3], s[0:1], 0x0
	v_lshrrev_b32_e32 v1, 6, v0
	s_delay_alu instid0(VALU_DEP_1)
	v_lshl_or_b32 v10, ttmp9, 1, v1
	s_wait_kmcnt 0x0
	s_cmp_lg_u64 s[4:5], 0
	s_cbranch_scc0 .LBB159_11
; %bb.6:
	s_load_b32 s6, s[0:1], 0x10
	s_mov_b32 s7, 0
                                        ; implicit-def: $vgpr1
	s_wait_kmcnt 0x0
	v_cmp_gt_i32_e32 vcc_lo, s6, v10
	s_mov_b32 s6, 0
	s_and_saveexec_b32 s8, vcc_lo
	s_delay_alu instid0(SALU_CYCLE_1)
	s_xor_b32 s8, exec_lo, s8
	s_cbranch_execz .LBB159_8
; %bb.7:
	v_ashrrev_i32_e32 v11, 31, v10
	s_mov_b32 s6, exec_lo
	s_delay_alu instid0(VALU_DEP_1) | instskip(NEXT) | instid1(VALU_DEP_1)
	v_lshlrev_b64_e32 v[4:5], 2, v[10:11]
	v_add_co_u32 v4, vcc_lo, s4, v4
	s_delay_alu instid0(VALU_DEP_1)
	v_add_co_ci_u32_e64 v5, null, s5, v5, vcc_lo
	global_load_b32 v1, v[4:5], off
	s_wait_loadcnt 0x0
	v_subrev_nc_u32_e32 v1, s12, v1
.LBB159_8:
	s_or_b32 exec_lo, exec_lo, s8
	s_delay_alu instid0(SALU_CYCLE_1)
	s_and_b32 vcc_lo, exec_lo, s7
	s_wait_alu 0xfffe
	s_cbranch_vccz .LBB159_12
.LBB159_9:
	v_cmp_gt_i32_e32 vcc_lo, s2, v10
	s_and_not1_b32 s2, s6, exec_lo
	s_and_b32 s4, vcc_lo, exec_lo
	s_wait_alu 0xfffe
	s_or_b32 s6, s2, s4
	s_wait_alu 0xfffe
	s_and_b32 exec_lo, exec_lo, s6
	s_cbranch_execnz .LBB159_13
.LBB159_10:
	s_nop 0
	s_sendmsg sendmsg(MSG_DEALLOC_VGPRS)
	s_endpgm
.LBB159_11:
	s_mov_b32 s6, 0
                                        ; implicit-def: $vgpr1
	s_cbranch_execnz .LBB159_9
.LBB159_12:
	v_mov_b32_e32 v10, v1
	s_and_b32 exec_lo, exec_lo, s6
	s_cbranch_execz .LBB159_10
.LBB159_13:
	s_load_b256 s[4:11], s[0:1], 0x20
	s_delay_alu instid0(VALU_DEP_1) | instskip(SKIP_1) | instid1(VALU_DEP_2)
	v_ashrrev_i32_e32 v11, 31, v10
	v_and_b32_e32 v31, 63, v0
	v_lshlrev_b64_e32 v[4:5], 3, v[10:11]
	s_wait_kmcnt 0x0
	s_delay_alu instid0(VALU_DEP_1) | instskip(SKIP_1) | instid1(VALU_DEP_2)
	v_add_co_u32 v6, vcc_lo, s4, v4
	s_wait_alu 0xfffd
	v_add_co_ci_u32_e64 v7, null, s5, v5, vcc_lo
	v_add_co_u32 v1, vcc_lo, s6, v4
	s_wait_alu 0xfffd
	v_add_co_ci_u32_e64 v4, null, s7, v5, vcc_lo
	v_add_co_u32 v11, vcc_lo, v6, 8
	global_load_b64 v[19:20], v[6:7], off
	s_wait_alu 0xfffd
	v_add_co_ci_u32_e64 v5, null, 0, v7, vcc_lo
	s_cmp_eq_u64 s[6:7], 0
	s_load_b64 s[4:5], s[0:1], 0x40
	s_cselect_b32 vcc_lo, -1, 0
	s_cmp_eq_u32 s3, 1
	s_wait_alu 0xfffe
	v_dual_cndmask_b32 v5, v4, v5 :: v_dual_cndmask_b32 v4, v1, v11
	global_load_b64 v[4:5], v[4:5], off
	s_wait_loadcnt 0x1
	v_sub_co_u32 v0, vcc_lo, v19, s12
	s_wait_alu 0xfffd
	v_subrev_co_ci_u32_e64 v1, null, 0, v20, vcc_lo
	s_delay_alu instid0(VALU_DEP_2) | instskip(SKIP_1) | instid1(VALU_DEP_2)
	v_add_co_u32 v0, vcc_lo, v0, v31
	s_wait_alu 0xfffd
	v_add_co_ci_u32_e64 v1, null, 0, v1, vcc_lo
	s_delay_alu instid0(VALU_DEP_1) | instskip(SKIP_4) | instid1(VALU_DEP_3)
	v_lshlrev_b64_e32 v[6:7], 6, v[0:1]
	s_wait_loadcnt 0x0
	v_sub_co_u32 v4, vcc_lo, v4, s12
	s_wait_alu 0xfffd
	v_subrev_co_ci_u32_e64 v5, null, 0, v5, vcc_lo
	v_add_co_u32 v6, vcc_lo, s10, v6
	s_delay_alu instid0(VALU_DEP_2)
	v_cmp_lt_i64_e64 s2, v[0:1], v[4:5]
	s_wait_alu 0xfffd
	v_add_co_ci_u32_e64 v7, null, s11, v7, vcc_lo
	s_cbranch_scc1 .LBB159_25
; %bb.14:
	v_mov_b32_e32 v11, 0
	v_dual_mov_b32 v17, 0 :: v_dual_mov_b32 v12, 0
	v_dual_mov_b32 v13, 0 :: v_dual_mov_b32 v18, 0
	;; [unrolled: 1-line block ×3, first 2 shown]
	v_mov_b32_e32 v16, 0
	s_and_saveexec_b32 s6, s2
	s_cbranch_execz .LBB159_24
; %bb.15:
	v_or_b32_e32 v11, 64, v31
	v_not_b32_e32 v14, v19
	v_not_b32_e32 v13, v20
	v_dual_mov_b32 v24, v1 :: v_dual_mov_b32 v23, v0
	s_delay_alu instid0(VALU_DEP_4) | instskip(SKIP_3) | instid1(VALU_DEP_3)
	v_sub_co_u32 v11, s3, v11, s12
	s_wait_alu 0xf1ff
	v_sub_co_ci_u32_e64 v12, null, 0, 0, s3
	v_sub_co_u32 v15, s3, s12, v31
	v_add_co_u32 v11, vcc_lo, v11, v19
	s_wait_alu 0xfffd
	s_delay_alu instid0(VALU_DEP_3) | instskip(SKIP_3) | instid1(VALU_DEP_3)
	v_add_co_ci_u32_e64 v12, null, v12, v20, vcc_lo
	s_wait_alu 0xf1ff
	v_sub_co_ci_u32_e64 v16, null, 0, 0, s3
	v_mov_b32_e32 v17, 0
	v_cmp_gt_i64_e32 vcc_lo, v[11:12], v[4:5]
	v_mov_b32_e32 v18, 0
	s_wait_alu 0xfffd
	v_dual_cndmask_b32 v12, v5, v12 :: v_dual_cndmask_b32 v11, v4, v11
	v_add_co_u32 v14, vcc_lo, v15, v14
	s_wait_alu 0xfffd
	v_add_co_ci_u32_e64 v13, null, v16, v13, vcc_lo
	v_mov_b32_e32 v15, 0
	s_delay_alu instid0(VALU_DEP_3) | instskip(SKIP_3) | instid1(VALU_DEP_3)
	v_add_co_u32 v25, vcc_lo, v14, v11
	v_mov_b32_e32 v22, 0
	s_wait_alu 0xfffd
	v_add_co_ci_u32_e64 v26, null, v13, v12, vcc_lo
	v_and_b32_e32 v21, 0xc0, v25
	v_dual_mov_b32 v13, 0 :: v_dual_mov_b32 v16, 0
	v_dual_mov_b32 v14, 0 :: v_dual_mov_b32 v11, 0
	s_delay_alu instid0(VALU_DEP_3)
	v_cmp_ne_u64_e32 vcc_lo, 0xc0, v[21:22]
	v_mov_b32_e32 v12, 0
	v_dual_mov_b32 v22, v7 :: v_dual_mov_b32 v21, v6
	s_and_saveexec_b32 s7, vcc_lo
	s_cbranch_execz .LBB159_19
; %bb.16:
	v_lshrrev_b32_e32 v11, 6, v25
	v_lshlrev_b64_e32 v[15:16], 2, v[0:1]
	v_mov_b32_e32 v13, 0
	v_mov_b32_e32 v17, 0
	s_delay_alu instid0(VALU_DEP_4) | instskip(SKIP_3) | instid1(VALU_DEP_4)
	v_dual_mov_b32 v18, 0 :: v_dual_add_nc_u32 v23, 1, v11
	v_dual_mov_b32 v11, 0 :: v_dual_mov_b32 v22, v7
	v_mov_b32_e32 v12, 0
	v_add_co_u32 v27, vcc_lo, s8, v15
	v_and_b32_e32 v23, 3, v23
	s_wait_alu 0xfffd
	v_add_co_ci_u32_e64 v28, null, s9, v16, vcc_lo
	v_mov_b32_e32 v15, 0
	v_dual_mov_b32 v21, v6 :: v_dual_mov_b32 v14, 0
	v_sub_co_u32 v29, s3, 0, v23
	v_mov_b32_e32 v24, v1
	s_wait_alu 0xf1ff
	v_sub_co_ci_u32_e64 v30, null, 0, 0, s3
	v_dual_mov_b32 v16, 0 :: v_dual_mov_b32 v23, v0
	s_mov_b32 s10, 0
.LBB159_17:                             ; =>This Inner Loop Header: Depth=1
	global_load_b32 v48, v[27:28], off
	s_clause 0x3
	global_load_b128 v[32:35], v[21:22], off
	global_load_b128 v[36:39], v[21:22], off offset:16
	global_load_b128 v[40:43], v[21:22], off offset:32
	;; [unrolled: 1-line block ×3, first 2 shown]
	v_add_co_u32 v27, s3, 0x100, v27
	s_wait_alu 0xf1ff
	v_add_co_ci_u32_e64 v28, null, 0, v28, s3
	s_wait_loadcnt 0x4
	v_subrev_nc_u32_e32 v48, s12, v48
	s_wait_loadcnt 0x3
	v_cvt_f64_f32_e32 v[56:57], v32
	s_wait_loadcnt 0x2
	v_cvt_f64_f32_e32 v[58:59], v36
	;; [unrolled: 2-line block ×4, first 2 shown]
	v_lshlrev_b32_e32 v48, 2, v48
	v_cvt_f64_f32_e32 v[32:33], v33
	v_cvt_f64_f32_e32 v[36:37], v37
	;; [unrolled: 1-line block ×4, first 2 shown]
	v_ashrrev_i32_e32 v49, 31, v48
	s_delay_alu instid0(VALU_DEP_1) | instskip(SKIP_1) | instid1(VALU_DEP_1)
	v_lshlrev_b64_e32 v[48:49], 3, v[48:49]
	s_wait_kmcnt 0x0
	v_add_co_u32 v52, vcc_lo, s4, v48
	s_wait_alu 0xfffd
	s_delay_alu instid0(VALU_DEP_2)
	v_add_co_ci_u32_e64 v53, null, s5, v49, vcc_lo
	v_add_co_u32 v21, vcc_lo, 0x1000, v21
	s_wait_alu 0xfffd
	v_add_co_ci_u32_e64 v22, null, 0, v22, vcc_lo
	s_clause 0x1
	global_load_b128 v[48:51], v[52:53], off
	global_load_b128 v[52:55], v[52:53], off offset:16
	v_add_co_u32 v29, vcc_lo, v29, 1
	s_wait_alu 0xfffd
	v_add_co_ci_u32_e64 v30, null, 0, v30, vcc_lo
	v_add_co_u32 v23, vcc_lo, v23, 64
	s_wait_alu 0xfffd
	v_add_co_ci_u32_e64 v24, null, 0, v24, vcc_lo
	s_delay_alu instid0(VALU_DEP_3)
	v_cmp_eq_u64_e32 vcc_lo, 0, v[29:30]
	s_wait_alu 0xfffe
	s_or_b32 s10, vcc_lo, s10
	s_wait_loadcnt 0x1
	v_fma_f64 v[15:16], v[56:57], v[48:49], v[15:16]
	v_fma_f64 v[17:18], v[58:59], v[48:49], v[17:18]
	;; [unrolled: 1-line block ×4, first 2 shown]
	v_cvt_f64_f32_e32 v[48:49], v34
	v_cvt_f64_f32_e32 v[56:57], v38
	;; [unrolled: 1-line block ×4, first 2 shown]
	v_fma_f64 v[15:16], v[32:33], v[50:51], v[15:16]
	v_fma_f64 v[17:18], v[36:37], v[50:51], v[17:18]
	;; [unrolled: 1-line block ×4, first 2 shown]
	v_cvt_f64_f32_e32 v[32:33], v35
	v_cvt_f64_f32_e32 v[34:35], v39
	;; [unrolled: 1-line block ×4, first 2 shown]
	s_wait_loadcnt 0x0
	v_fma_f64 v[15:16], v[48:49], v[52:53], v[15:16]
	v_fma_f64 v[17:18], v[56:57], v[52:53], v[17:18]
	;; [unrolled: 1-line block ×4, first 2 shown]
	s_delay_alu instid0(VALU_DEP_4) | instskip(NEXT) | instid1(VALU_DEP_4)
	v_fma_f64 v[15:16], v[32:33], v[54:55], v[15:16]
	v_fma_f64 v[17:18], v[34:35], v[54:55], v[17:18]
	s_delay_alu instid0(VALU_DEP_4) | instskip(NEXT) | instid1(VALU_DEP_4)
	v_fma_f64 v[13:14], v[36:37], v[54:55], v[13:14]
	v_fma_f64 v[11:12], v[38:39], v[54:55], v[11:12]
	s_wait_alu 0xfffe
	s_and_not1_b32 exec_lo, exec_lo, s10
	s_cbranch_execnz .LBB159_17
; %bb.18:
	s_or_b32 exec_lo, exec_lo, s10
.LBB159_19:
	s_wait_alu 0xfffe
	s_or_b32 exec_lo, exec_lo, s7
	s_delay_alu instid0(SALU_CYCLE_1)
	s_mov_b32 s7, exec_lo
	v_cmpx_lt_u64_e32 0xbf, v[25:26]
	s_cbranch_execz .LBB159_23
; %bb.20:
	v_lshlrev_b64_e32 v[25:26], 2, v[23:24]
	s_mov_b32 s10, 0
	s_delay_alu instid0(VALU_DEP_1) | instskip(SKIP_1) | instid1(VALU_DEP_2)
	v_add_co_u32 v25, vcc_lo, s8, v25
	s_wait_alu 0xfffd
	v_add_co_ci_u32_e64 v26, null, s9, v26, vcc_lo
	s_delay_alu instid0(VALU_DEP_2) | instskip(SKIP_1) | instid1(VALU_DEP_2)
	v_add_co_u32 v25, vcc_lo, 0x200, v25
	s_wait_alu 0xfffd
	v_add_co_ci_u32_e64 v26, null, 0, v26, vcc_lo
.LBB159_21:                             ; =>This Inner Loop Header: Depth=1
	s_clause 0x2
	global_load_b32 v44, v[25:26], off offset:-512
	global_load_b32 v68, v[25:26], off offset:-256
	global_load_b32 v92, v[25:26], off
	s_clause 0x3
	global_load_b128 v[27:30], v[21:22], off
	global_load_b128 v[32:35], v[21:22], off offset:16
	global_load_b128 v[36:39], v[21:22], off offset:32
	;; [unrolled: 1-line block ×3, first 2 shown]
	global_load_b32 v106, v[25:26], off offset:256
	v_add_co_u32 v25, s3, 0x400, v25
	s_wait_alu 0xf1ff
	v_add_co_ci_u32_e64 v26, null, 0, v26, s3
	s_wait_loadcnt 0x7
	v_subrev_nc_u32_e32 v44, s12, v44
	s_wait_loadcnt 0x6
	v_subrev_nc_u32_e32 v68, s12, v68
	;; [unrolled: 2-line block ×3, first 2 shown]
	s_wait_loadcnt 0x4
	v_cvt_f64_f32_e32 v[96:97], v27
	s_wait_loadcnt 0x3
	v_cvt_f64_f32_e32 v[98:99], v32
	v_lshlrev_b32_e32 v44, 2, v44
	v_lshlrev_b32_e32 v68, 2, v68
	;; [unrolled: 1-line block ×3, first 2 shown]
	s_wait_loadcnt 0x2
	v_cvt_f64_f32_e32 v[100:101], v36
	s_wait_loadcnt 0x1
	v_cvt_f64_f32_e32 v[102:103], v40
	v_ashrrev_i32_e32 v45, 31, v44
	v_ashrrev_i32_e32 v69, 31, v68
	;; [unrolled: 1-line block ×3, first 2 shown]
	v_cvt_f64_f32_e32 v[27:28], v28
	v_cvt_f64_f32_e32 v[32:33], v33
	v_lshlrev_b64_e32 v[44:45], 3, v[44:45]
	v_lshlrev_b64_e32 v[68:69], 3, v[68:69]
	v_lshlrev_b64_e32 v[92:93], 3, v[92:93]
	v_cvt_f64_f32_e32 v[36:37], v37
	v_cvt_f64_f32_e32 v[40:41], v41
	s_wait_loadcnt 0x0
	v_subrev_nc_u32_e32 v110, s12, v106
	s_wait_kmcnt 0x0
	v_add_co_u32 v48, vcc_lo, s4, v44
	s_wait_alu 0xfffd
	v_add_co_ci_u32_e64 v49, null, s5, v45, vcc_lo
	v_add_co_u32 v72, vcc_lo, s4, v68
	s_wait_alu 0xfffd
	v_add_co_ci_u32_e64 v73, null, s5, v69, vcc_lo
	s_clause 0x1
	global_load_b128 v[44:47], v[48:49], off
	global_load_b128 v[48:51], v[48:49], off offset:16
	s_clause 0x3
	global_load_b128 v[52:55], v[21:22], off offset:4096
	global_load_b128 v[56:59], v[21:22], off offset:4112
	;; [unrolled: 1-line block ×4, first 2 shown]
	s_clause 0x1
	global_load_b128 v[68:71], v[72:73], off
	global_load_b128 v[72:75], v[72:73], off offset:16
	s_clause 0x3
	global_load_b128 v[76:79], v[21:22], off offset:8192
	global_load_b128 v[80:83], v[21:22], off offset:8208
	;; [unrolled: 1-line block ×4, first 2 shown]
	v_add_co_u32 v104, vcc_lo, s4, v92
	s_wait_alu 0xfffd
	v_add_co_ci_u32_e64 v105, null, s5, v93, vcc_lo
	v_lshlrev_b32_e32 v110, 2, v110
	global_load_b128 v[92:95], v[104:105], off
	v_ashrrev_i32_e32 v111, 31, v110
	s_wait_loadcnt 0xc
	v_fma_f64 v[15:16], v[96:97], v[44:45], v[15:16]
	v_fma_f64 v[17:18], v[98:99], v[44:45], v[17:18]
	;; [unrolled: 1-line block ×4, first 2 shown]
	v_cvt_f64_f32_e32 v[44:45], v29
	v_cvt_f64_f32_e32 v[96:97], v34
	;; [unrolled: 1-line block ×6, first 2 shown]
	s_wait_loadcnt 0x8
	v_cvt_f64_f32_e32 v[106:107], v60
	s_wait_loadcnt 0x7
	v_cvt_f64_f32_e32 v[108:109], v64
	v_cvt_f64_f32_e32 v[60:61], v61
	;; [unrolled: 1-line block ×3, first 2 shown]
	v_fma_f64 v[15:16], v[27:28], v[46:47], v[15:16]
	v_fma_f64 v[17:18], v[32:33], v[46:47], v[17:18]
	;; [unrolled: 1-line block ×4, first 2 shown]
	global_load_b128 v[11:14], v[104:105], off offset:16
	v_cvt_f64_f32_e32 v[40:41], v30
	v_cvt_f64_f32_e32 v[46:47], v35
	;; [unrolled: 1-line block ×4, first 2 shown]
	v_fma_f64 v[44:45], v[44:45], v[48:49], v[15:16]
	v_fma_f64 v[96:97], v[96:97], v[48:49], v[17:18]
	;; [unrolled: 1-line block ×4, first 2 shown]
	s_clause 0x3
	global_load_b128 v[15:18], v[21:22], off offset:12288
	global_load_b128 v[27:30], v[21:22], off offset:12304
	;; [unrolled: 1-line block ×4, first 2 shown]
	v_cvt_f64_f32_e32 v[100:101], v52
	v_cvt_f64_f32_e32 v[52:53], v53
	v_fma_f64 v[44:45], v[40:41], v[50:51], v[44:45]
	v_fma_f64 v[46:47], v[46:47], v[50:51], v[96:97]
	;; [unrolled: 1-line block ×4, first 2 shown]
	v_lshlrev_b64_e32 v[40:41], 3, v[110:111]
	v_cvt_f64_f32_e32 v[98:99], v58
	v_cvt_f64_f32_e32 v[102:103], v66
	s_delay_alu instid0(VALU_DEP_3) | instskip(SKIP_1) | instid1(VALU_DEP_4)
	v_add_co_u32 v50, vcc_lo, s4, v40
	s_wait_alu 0xfffd
	v_add_co_ci_u32_e64 v51, null, s5, v41, vcc_lo
	v_add_co_u32 v23, vcc_lo, 0x100, v23
	s_wait_alu 0xfffd
	v_add_co_ci_u32_e64 v24, null, 0, v24, vcc_lo
	global_load_b128 v[40:43], v[50:51], off
	v_add_co_u32 v21, vcc_lo, 0x4000, v21
	s_wait_alu 0xfffd
	v_add_co_ci_u32_e64 v22, null, 0, v22, vcc_lo
	v_cmp_ge_i64_e32 vcc_lo, v[23:24], v[4:5]
	s_wait_alu 0xfffe
	s_or_b32 s10, vcc_lo, s10
	s_wait_loadcnt 0xc
	v_fma_f64 v[44:45], v[100:101], v[68:69], v[44:45]
	v_fma_f64 v[46:47], v[104:105], v[68:69], v[46:47]
	;; [unrolled: 1-line block ×4, first 2 shown]
	v_cvt_f64_f32_e32 v[68:69], v54
	v_cvt_f64_f32_e32 v[100:101], v62
	v_fma_f64 v[52:53], v[52:53], v[70:71], v[44:45]
	v_fma_f64 v[56:57], v[56:57], v[70:71], v[46:47]
	;; [unrolled: 1-line block ×4, first 2 shown]
	global_load_b128 v[44:47], v[50:51], off offset:16
	v_cvt_f64_f32_e32 v[50:51], v55
	v_cvt_f64_f32_e32 v[54:55], v59
	;; [unrolled: 1-line block ×4, first 2 shown]
	s_wait_loadcnt 0xb
	v_cvt_f64_f32_e32 v[64:65], v76
	s_wait_loadcnt 0xa
	v_cvt_f64_f32_e32 v[66:67], v80
	s_wait_loadcnt 0x8
	v_cvt_f64_f32_e32 v[70:71], v88
	v_fma_f64 v[52:53], v[68:69], v[72:73], v[52:53]
	v_fma_f64 v[56:57], v[98:99], v[72:73], v[56:57]
	;; [unrolled: 1-line block ×4, first 2 shown]
	v_cvt_f64_f32_e32 v[68:69], v84
	v_fma_f64 v[50:51], v[50:51], v[74:75], v[52:53]
	v_fma_f64 v[52:53], v[54:55], v[74:75], v[56:57]
	;; [unrolled: 1-line block ×4, first 2 shown]
	v_cvt_f64_f32_e32 v[56:57], v77
	v_cvt_f64_f32_e32 v[58:59], v81
	v_cvt_f64_f32_e32 v[60:61], v85
	v_cvt_f64_f32_e32 v[62:63], v89
	s_wait_loadcnt 0x7
	v_fma_f64 v[50:51], v[64:65], v[92:93], v[50:51]
	v_fma_f64 v[52:53], v[66:67], v[92:93], v[52:53]
	;; [unrolled: 1-line block ×4, first 2 shown]
	v_cvt_f64_f32_e32 v[64:65], v78
	v_cvt_f64_f32_e32 v[66:67], v82
	;; [unrolled: 1-line block ×4, first 2 shown]
	v_fma_f64 v[50:51], v[56:57], v[94:95], v[50:51]
	v_fma_f64 v[52:53], v[58:59], v[94:95], v[52:53]
	;; [unrolled: 1-line block ×4, first 2 shown]
	v_cvt_f64_f32_e32 v[56:57], v79
	v_cvt_f64_f32_e32 v[58:59], v83
	;; [unrolled: 1-line block ×4, first 2 shown]
	s_wait_loadcnt 0x6
	v_fma_f64 v[50:51], v[64:65], v[11:12], v[50:51]
	v_fma_f64 v[52:53], v[66:67], v[11:12], v[52:53]
	;; [unrolled: 1-line block ×4, first 2 shown]
	s_wait_loadcnt 0x5
	v_cvt_f64_f32_e32 v[48:49], v15
	s_wait_loadcnt 0x4
	v_cvt_f64_f32_e32 v[64:65], v27
	;; [unrolled: 2-line block ×4, first 2 shown]
	v_fma_f64 v[50:51], v[56:57], v[13:14], v[50:51]
	v_fma_f64 v[52:53], v[58:59], v[13:14], v[52:53]
	;; [unrolled: 1-line block ×4, first 2 shown]
	v_cvt_f64_f32_e32 v[13:14], v16
	v_cvt_f64_f32_e32 v[15:16], v28
	;; [unrolled: 1-line block ×5, first 2 shown]
	s_wait_loadcnt 0x1
	v_fma_f64 v[36:37], v[48:49], v[40:41], v[50:51]
	v_fma_f64 v[48:49], v[64:65], v[40:41], v[52:53]
	;; [unrolled: 1-line block ×4, first 2 shown]
	v_cvt_f64_f32_e32 v[40:41], v17
	v_cvt_f64_f32_e32 v[52:53], v29
	;; [unrolled: 1-line block ×5, first 2 shown]
	v_fma_f64 v[13:14], v[13:14], v[42:43], v[36:37]
	v_fma_f64 v[15:16], v[15:16], v[42:43], v[48:49]
	;; [unrolled: 1-line block ×4, first 2 shown]
	v_cvt_f64_f32_e32 v[32:33], v35
	v_cvt_f64_f32_e32 v[34:35], v39
	s_wait_loadcnt 0x0
	v_fma_f64 v[13:14], v[40:41], v[44:45], v[13:14]
	v_fma_f64 v[36:37], v[52:53], v[44:45], v[15:16]
	;; [unrolled: 1-line block ×4, first 2 shown]
	s_delay_alu instid0(VALU_DEP_4) | instskip(NEXT) | instid1(VALU_DEP_4)
	v_fma_f64 v[15:16], v[17:18], v[46:47], v[13:14]
	v_fma_f64 v[17:18], v[29:30], v[46:47], v[36:37]
	s_delay_alu instid0(VALU_DEP_4) | instskip(NEXT) | instid1(VALU_DEP_4)
	v_fma_f64 v[13:14], v[32:33], v[46:47], v[27:28]
	v_fma_f64 v[11:12], v[34:35], v[46:47], v[11:12]
	s_wait_alu 0xfffe
	s_and_not1_b32 exec_lo, exec_lo, s10
	s_cbranch_execnz .LBB159_21
; %bb.22:
	s_or_b32 exec_lo, exec_lo, s10
.LBB159_23:
	s_wait_alu 0xfffe
	s_or_b32 exec_lo, exec_lo, s7
.LBB159_24:
	s_wait_alu 0xfffe
	s_or_b32 exec_lo, exec_lo, s6
	s_cbranch_execz .LBB159_26
	s_branch .LBB159_37
.LBB159_25:
                                        ; implicit-def: $vgpr11_vgpr12
                                        ; implicit-def: $vgpr13_vgpr14
                                        ; implicit-def: $vgpr17_vgpr18
                                        ; implicit-def: $vgpr15_vgpr16
.LBB159_26:
	v_mov_b32_e32 v11, 0
	v_dual_mov_b32 v17, 0 :: v_dual_mov_b32 v12, 0
	v_dual_mov_b32 v13, 0 :: v_dual_mov_b32 v18, 0
	;; [unrolled: 1-line block ×3, first 2 shown]
	v_mov_b32_e32 v16, 0
	s_and_saveexec_b32 s3, s2
	s_cbranch_execz .LBB159_36
; %bb.27:
	v_or_b32_e32 v11, 64, v31
	v_not_b32_e32 v14, v19
	v_not_b32_e32 v13, v20
	s_delay_alu instid0(VALU_DEP_3) | instskip(SKIP_3) | instid1(VALU_DEP_3)
	v_sub_co_u32 v11, s2, v11, s12
	s_wait_alu 0xf1ff
	v_sub_co_ci_u32_e64 v12, null, 0, 0, s2
	v_sub_co_u32 v15, s2, s12, v31
	v_add_co_u32 v11, vcc_lo, v11, v19
	s_wait_alu 0xfffd
	s_delay_alu instid0(VALU_DEP_3) | instskip(SKIP_2) | instid1(VALU_DEP_2)
	v_add_co_ci_u32_e64 v12, null, v12, v20, vcc_lo
	s_wait_alu 0xf1ff
	v_sub_co_ci_u32_e64 v16, null, 0, 0, s2
	v_cmp_gt_i64_e32 vcc_lo, v[11:12], v[4:5]
	s_wait_alu 0xfffd
	v_cndmask_b32_e32 v17, v5, v12, vcc_lo
	v_cndmask_b32_e32 v11, v4, v11, vcc_lo
	v_add_co_u32 v12, vcc_lo, v15, v14
	s_wait_alu 0xfffd
	v_add_co_ci_u32_e64 v13, null, v16, v13, vcc_lo
	v_mov_b32_e32 v15, 0
	v_mov_b32_e32 v16, 0
	v_add_co_u32 v19, vcc_lo, v12, v11
	v_mov_b32_e32 v12, 0
	s_wait_alu 0xfffd
	v_add_co_ci_u32_e64 v20, null, v13, v17, vcc_lo
	s_delay_alu instid0(VALU_DEP_3) | instskip(SKIP_3) | instid1(VALU_DEP_4)
	v_and_b32_e32 v11, 0xc0, v19
	v_mov_b32_e32 v17, 0
	v_dual_mov_b32 v18, 0 :: v_dual_mov_b32 v13, 0
	v_mov_b32_e32 v14, 0
	v_cmp_ne_u64_e32 vcc_lo, 0xc0, v[11:12]
	v_mov_b32_e32 v11, 0
	v_mov_b32_e32 v12, 0
	s_and_saveexec_b32 s6, vcc_lo
	s_cbranch_execz .LBB159_31
; %bb.28:
	v_lshrrev_b32_e32 v11, 6, v19
	v_lshlrev_b64_e32 v[21:22], 2, v[0:1]
	v_mov_b32_e32 v13, 0
	v_mov_b32_e32 v17, 0
	;; [unrolled: 1-line block ×3, first 2 shown]
	v_add_nc_u32_e32 v23, 1, v11
	v_dual_mov_b32 v11, 0 :: v_dual_mov_b32 v14, 0
	v_mov_b32_e32 v12, 0
	v_add_co_u32 v21, vcc_lo, s8, v21
	s_delay_alu instid0(VALU_DEP_4) | instskip(SKIP_3) | instid1(VALU_DEP_3)
	v_dual_mov_b32 v18, 0 :: v_dual_and_b32 v23, 3, v23
	v_mov_b32_e32 v16, 0
	s_wait_alu 0xfffd
	v_add_co_ci_u32_e64 v22, null, s9, v22, vcc_lo
	v_sub_co_u32 v23, s2, 0, v23
	s_wait_alu 0xf1ff
	v_sub_co_ci_u32_e64 v24, null, 0, 0, s2
	s_mov_b32 s7, 0
.LBB159_29:                             ; =>This Inner Loop Header: Depth=1
	global_load_b32 v29, v[21:22], off
	s_clause 0x1
	global_load_b128 v[25:28], v[6:7], off
	global_load_b128 v[32:35], v[6:7], off offset:16
	v_add_co_u32 v21, s2, 0x100, v21
	s_wait_alu 0xf1ff
	v_add_co_ci_u32_e64 v22, null, 0, v22, s2
	s_wait_loadcnt 0x2
	v_subrev_nc_u32_e32 v29, s12, v29
	s_wait_loadcnt 0x1
	v_cvt_f64_f32_e32 v[52:53], v27
	v_cvt_f64_f32_e32 v[27:28], v28
	s_wait_loadcnt 0x0
	v_cvt_f64_f32_e32 v[54:55], v32
	v_cvt_f64_f32_e32 v[32:33], v33
	v_lshlrev_b32_e32 v29, 2, v29
	v_cvt_f64_f32_e32 v[56:57], v34
	v_cvt_f64_f32_e32 v[34:35], v35
	s_delay_alu instid0(VALU_DEP_3) | instskip(NEXT) | instid1(VALU_DEP_1)
	v_ashrrev_i32_e32 v30, 31, v29
	v_lshlrev_b64_e32 v[29:30], 3, v[29:30]
	s_wait_kmcnt 0x0
	s_delay_alu instid0(VALU_DEP_1) | instskip(SKIP_1) | instid1(VALU_DEP_2)
	v_add_co_u32 v29, vcc_lo, s4, v29
	s_wait_alu 0xfffd
	v_add_co_ci_u32_e64 v30, null, s5, v30, vcc_lo
	s_clause 0x1
	global_load_b128 v[36:39], v[29:30], off
	global_load_b128 v[40:43], v[29:30], off offset:16
	s_clause 0x1
	global_load_b128 v[44:47], v[6:7], off offset:32
	global_load_b128 v[48:51], v[6:7], off offset:48
	v_cvt_f64_f32_e32 v[29:30], v25
	v_cvt_f64_f32_e32 v[25:26], v26
	v_add_co_u32 v6, vcc_lo, 0x1000, v6
	s_wait_alu 0xfffd
	v_add_co_ci_u32_e64 v7, null, 0, v7, vcc_lo
	v_add_co_u32 v23, vcc_lo, v23, 1
	s_wait_alu 0xfffd
	v_add_co_ci_u32_e64 v24, null, 0, v24, vcc_lo
	;; [unrolled: 3-line block ×3, first 2 shown]
	s_delay_alu instid0(VALU_DEP_3)
	v_cmp_eq_u64_e32 vcc_lo, 0, v[23:24]
	s_wait_alu 0xfffe
	s_or_b32 s7, vcc_lo, s7
	s_wait_loadcnt 0x3
	v_fma_f64 v[15:16], v[29:30], v[36:37], v[15:16]
	v_fma_f64 v[17:18], v[25:26], v[36:37], v[17:18]
	;; [unrolled: 1-line block ×4, first 2 shown]
	s_wait_loadcnt 0x1
	v_cvt_f64_f32_e32 v[25:26], v44
	v_cvt_f64_f32_e32 v[27:28], v45
	;; [unrolled: 1-line block ×4, first 2 shown]
	s_wait_loadcnt 0x0
	v_cvt_f64_f32_e32 v[44:45], v51
	v_fma_f64 v[15:16], v[54:55], v[38:39], v[15:16]
	v_fma_f64 v[17:18], v[32:33], v[38:39], v[17:18]
	v_fma_f64 v[13:14], v[56:57], v[38:39], v[13:14]
	v_fma_f64 v[11:12], v[34:35], v[38:39], v[11:12]
	v_cvt_f64_f32_e32 v[32:33], v48
	v_cvt_f64_f32_e32 v[34:35], v49
	;; [unrolled: 1-line block ×3, first 2 shown]
	v_fma_f64 v[15:16], v[25:26], v[40:41], v[15:16]
	v_fma_f64 v[17:18], v[27:28], v[40:41], v[17:18]
	;; [unrolled: 1-line block ×4, first 2 shown]
	s_delay_alu instid0(VALU_DEP_4) | instskip(NEXT) | instid1(VALU_DEP_4)
	v_fma_f64 v[15:16], v[32:33], v[42:43], v[15:16]
	v_fma_f64 v[17:18], v[34:35], v[42:43], v[17:18]
	s_delay_alu instid0(VALU_DEP_4) | instskip(NEXT) | instid1(VALU_DEP_4)
	v_fma_f64 v[13:14], v[38:39], v[42:43], v[13:14]
	v_fma_f64 v[11:12], v[44:45], v[42:43], v[11:12]
	s_wait_alu 0xfffe
	s_and_not1_b32 exec_lo, exec_lo, s7
	s_cbranch_execnz .LBB159_29
; %bb.30:
	s_or_b32 exec_lo, exec_lo, s7
.LBB159_31:
	s_wait_alu 0xfffe
	s_or_b32 exec_lo, exec_lo, s6
	s_delay_alu instid0(SALU_CYCLE_1)
	s_mov_b32 s6, exec_lo
	v_cmpx_lt_u64_e32 0xbf, v[19:20]
	s_cbranch_execz .LBB159_35
; %bb.32:
	v_lshlrev_b64_e32 v[19:20], 2, v[0:1]
	s_mov_b32 s7, 0
	s_delay_alu instid0(VALU_DEP_1) | instskip(SKIP_1) | instid1(VALU_DEP_2)
	v_add_co_u32 v19, vcc_lo, s8, v19
	s_wait_alu 0xfffd
	v_add_co_ci_u32_e64 v20, null, s9, v20, vcc_lo
	s_delay_alu instid0(VALU_DEP_2) | instskip(SKIP_1) | instid1(VALU_DEP_2)
	v_add_co_u32 v19, vcc_lo, 0x200, v19
	s_wait_alu 0xfffd
	v_add_co_ci_u32_e64 v20, null, 0, v20, vcc_lo
.LBB159_33:                             ; =>This Inner Loop Header: Depth=1
	s_clause 0x2
	global_load_b32 v25, v[19:20], off offset:-512
	global_load_b32 v52, v[19:20], off offset:-256
	global_load_b32 v76, v[19:20], off
	global_load_b128 v[21:24], v[6:7], off
	global_load_b32 v92, v[19:20], off offset:256
	v_add_co_u32 v19, s2, 0x400, v19
	s_wait_alu 0xf1ff
	v_add_co_ci_u32_e64 v20, null, 0, v20, s2
	s_wait_loadcnt 0x4
	v_subrev_nc_u32_e32 v25, s12, v25
	s_wait_loadcnt 0x2
	v_subrev_nc_u32_e32 v76, s12, v76
	s_wait_loadcnt 0x1
	v_cvt_f64_f32_e32 v[80:81], v22
	v_cvt_f64_f32_e32 v[82:83], v23
	v_lshlrev_b32_e32 v25, 2, v25
	v_cvt_f64_f32_e32 v[84:85], v24
	s_delay_alu instid0(VALU_DEP_2) | instskip(NEXT) | instid1(VALU_DEP_1)
	v_ashrrev_i32_e32 v26, 31, v25
	v_lshlrev_b64_e32 v[25:26], 3, v[25:26]
	s_wait_kmcnt 0x0
	s_delay_alu instid0(VALU_DEP_1) | instskip(SKIP_1) | instid1(VALU_DEP_2)
	v_add_co_u32 v29, vcc_lo, s4, v25
	s_wait_alu 0xfffd
	v_add_co_ci_u32_e64 v30, null, s5, v26, vcc_lo
	global_load_b128 v[25:28], v[6:7], off offset:16
	global_load_b128 v[32:35], v[29:30], off
	s_clause 0x1
	global_load_b128 v[36:39], v[6:7], off offset:32
	global_load_b128 v[40:43], v[6:7], off offset:48
	;; [unrolled: 1-line block ×4, first 2 shown]
	v_subrev_nc_u32_e32 v29, s12, v52
	s_delay_alu instid0(VALU_DEP_1) | instskip(NEXT) | instid1(VALU_DEP_1)
	v_lshlrev_b32_e32 v29, 2, v29
	v_ashrrev_i32_e32 v30, 31, v29
	s_delay_alu instid0(VALU_DEP_1) | instskip(NEXT) | instid1(VALU_DEP_1)
	v_lshlrev_b64_e32 v[29:30], 3, v[29:30]
	v_add_co_u32 v29, vcc_lo, s4, v29
	s_wait_alu 0xfffd
	s_delay_alu instid0(VALU_DEP_2)
	v_add_co_ci_u32_e64 v30, null, s5, v30, vcc_lo
	global_load_b128 v[52:55], v[6:7], off offset:4112
	global_load_b128 v[56:59], v[29:30], off
	s_clause 0x1
	global_load_b128 v[60:63], v[6:7], off offset:4128
	global_load_b128 v[64:67], v[6:7], off offset:4144
	;; [unrolled: 1-line block ×4, first 2 shown]
	v_cvt_f64_f32_e32 v[29:30], v21
	v_lshlrev_b32_e32 v21, 2, v76
	s_delay_alu instid0(VALU_DEP_1) | instskip(NEXT) | instid1(VALU_DEP_1)
	v_ashrrev_i32_e32 v22, 31, v21
	v_lshlrev_b64_e32 v[21:22], 3, v[21:22]
	s_delay_alu instid0(VALU_DEP_1) | instskip(SKIP_1) | instid1(VALU_DEP_2)
	v_add_co_u32 v86, vcc_lo, s4, v21
	s_wait_alu 0xfffd
	v_add_co_ci_u32_e64 v87, null, s5, v22, vcc_lo
	global_load_b128 v[21:24], v[6:7], off offset:8208
	global_load_b128 v[76:79], v[86:87], off
	s_wait_loadcnt 0xd
	v_cvt_f64_f32_e32 v[88:89], v25
	v_cvt_f64_f32_e32 v[25:26], v26
	;; [unrolled: 1-line block ×4, first 2 shown]
	s_wait_loadcnt 0xc
	v_fma_f64 v[15:16], v[29:30], v[32:33], v[15:16]
	v_fma_f64 v[17:18], v[80:81], v[32:33], v[17:18]
	;; [unrolled: 1-line block ×4, first 2 shown]
	global_load_b128 v[11:14], v[6:7], off offset:8224
	s_wait_loadcnt 0xc
	v_cvt_f64_f32_e32 v[80:81], v36
	v_cvt_f64_f32_e32 v[36:37], v37
	;; [unrolled: 1-line block ×4, first 2 shown]
	v_fma_f64 v[84:85], v[88:89], v[34:35], v[15:16]
	v_fma_f64 v[88:89], v[25:26], v[34:35], v[17:18]
	;; [unrolled: 1-line block ×4, first 2 shown]
	global_load_b128 v[15:18], v[6:7], off offset:8240
	global_load_b128 v[25:28], v[86:87], off offset:16
	s_wait_loadcnt 0xd
	v_cvt_f64_f32_e32 v[86:87], v40
	v_cvt_f64_f32_e32 v[40:41], v41
	;; [unrolled: 1-line block ×4, first 2 shown]
	s_wait_loadcnt 0xc
	v_fma_f64 v[80:81], v[80:81], v[44:45], v[84:85]
	v_fma_f64 v[36:37], v[36:37], v[44:45], v[88:89]
	;; [unrolled: 1-line block ×4, first 2 shown]
	global_load_b128 v[32:35], v[6:7], off offset:12288
	v_subrev_nc_u32_e32 v84, s12, v92
	s_wait_loadcnt 0xc
	v_cvt_f64_f32_e32 v[44:45], v48
	v_cvt_f64_f32_e32 v[48:49], v49
	v_cvt_f64_f32_e32 v[82:83], v50
	v_cvt_f64_f32_e32 v[50:51], v51
	v_lshlrev_b32_e32 v84, 2, v84
	s_wait_loadcnt 0xb
	v_cvt_f64_f32_e32 v[88:89], v52
	v_cvt_f64_f32_e32 v[52:53], v53
	s_delay_alu instid0(VALU_DEP_3)
	v_ashrrev_i32_e32 v85, 31, v84
	v_fma_f64 v[80:81], v[86:87], v[46:47], v[80:81]
	v_fma_f64 v[86:87], v[40:41], v[46:47], v[36:37]
	;; [unrolled: 1-line block ×4, first 2 shown]
	v_lshlrev_b64_e32 v[36:37], 3, v[84:85]
	v_cvt_f64_f32_e32 v[90:91], v54
	v_cvt_f64_f32_e32 v[54:55], v55
	s_delay_alu instid0(VALU_DEP_3) | instskip(SKIP_1) | instid1(VALU_DEP_4)
	v_add_co_u32 v84, vcc_lo, s4, v36
	s_wait_alu 0xfffd
	v_add_co_ci_u32_e64 v85, null, s5, v37, vcc_lo
	global_load_b128 v[36:39], v[6:7], off offset:12304
	global_load_b128 v[40:43], v[84:85], off
	v_add_co_u32 v0, vcc_lo, 0x100, v0
	s_wait_alu 0xfffd
	v_add_co_ci_u32_e64 v1, null, 0, v1, vcc_lo
	s_wait_loadcnt 0xc
	v_fma_f64 v[80:81], v[44:45], v[56:57], v[80:81]
	v_fma_f64 v[48:49], v[48:49], v[56:57], v[86:87]
	;; [unrolled: 1-line block ×4, first 2 shown]
	global_load_b128 v[44:47], v[6:7], off offset:12320
	s_wait_loadcnt 0xc
	v_cvt_f64_f32_e32 v[56:57], v60
	v_cvt_f64_f32_e32 v[60:61], v61
	;; [unrolled: 1-line block ×4, first 2 shown]
	v_fma_f64 v[80:81], v[88:89], v[58:59], v[80:81]
	v_fma_f64 v[86:87], v[52:53], v[58:59], v[48:49]
	;; [unrolled: 1-line block ×4, first 2 shown]
	global_load_b128 v[48:51], v[6:7], off offset:12336
	global_load_b128 v[52:55], v[84:85], off offset:16
	s_wait_loadcnt 0xd
	v_cvt_f64_f32_e32 v[84:85], v64
	v_cvt_f64_f32_e32 v[64:65], v65
	;; [unrolled: 1-line block ×4, first 2 shown]
	v_add_co_u32 v6, vcc_lo, 0x4000, v6
	s_wait_alu 0xfffd
	v_add_co_ci_u32_e64 v7, null, 0, v7, vcc_lo
	v_cmp_ge_i64_e32 vcc_lo, v[0:1], v[4:5]
	s_wait_alu 0xfffe
	s_or_b32 s7, vcc_lo, s7
	s_wait_loadcnt 0xc
	v_fma_f64 v[56:57], v[56:57], v[68:69], v[80:81]
	v_fma_f64 v[60:61], v[60:61], v[68:69], v[86:87]
	v_fma_f64 v[29:30], v[82:83], v[68:69], v[29:30]
	v_fma_f64 v[58:59], v[62:63], v[68:69], v[58:59]
	s_wait_loadcnt 0xb
	v_cvt_f64_f32_e32 v[62:63], v72
	v_cvt_f64_f32_e32 v[68:69], v73
	v_cvt_f64_f32_e32 v[72:73], v74
	v_cvt_f64_f32_e32 v[74:75], v75
	v_fma_f64 v[56:57], v[84:85], v[70:71], v[56:57]
	v_fma_f64 v[60:61], v[64:65], v[70:71], v[60:61]
	v_fma_f64 v[29:30], v[88:89], v[70:71], v[29:30]
	v_fma_f64 v[58:59], v[66:67], v[70:71], v[58:59]
	s_wait_loadcnt 0xa
	v_cvt_f64_f32_e32 v[64:65], v21
	v_cvt_f64_f32_e32 v[21:22], v22
	v_cvt_f64_f32_e32 v[66:67], v23
	v_cvt_f64_f32_e32 v[23:24], v24
	s_wait_loadcnt 0x9
	v_fma_f64 v[56:57], v[62:63], v[76:77], v[56:57]
	v_fma_f64 v[60:61], v[68:69], v[76:77], v[60:61]
	v_fma_f64 v[29:30], v[72:73], v[76:77], v[29:30]
	v_fma_f64 v[58:59], v[74:75], v[76:77], v[58:59]
	s_wait_loadcnt 0x8
	v_cvt_f64_f32_e32 v[62:63], v11
	v_cvt_f64_f32_e32 v[11:12], v12
	v_cvt_f64_f32_e32 v[68:69], v13
	v_cvt_f64_f32_e32 v[13:14], v14
	v_fma_f64 v[56:57], v[64:65], v[78:79], v[56:57]
	v_fma_f64 v[21:22], v[21:22], v[78:79], v[60:61]
	v_fma_f64 v[29:30], v[66:67], v[78:79], v[29:30]
	v_fma_f64 v[23:24], v[23:24], v[78:79], v[58:59]
	s_wait_loadcnt 0x7
	v_cvt_f64_f32_e32 v[58:59], v15
	v_cvt_f64_f32_e32 v[15:16], v16
	v_cvt_f64_f32_e32 v[60:61], v17
	v_cvt_f64_f32_e32 v[17:18], v18
	;; [unrolled: 19-line block ×4, first 2 shown]
	s_wait_loadcnt 0x0
	v_fma_f64 v[17:18], v[25:26], v[52:53], v[17:18]
	v_fma_f64 v[11:12], v[29:30], v[52:53], v[11:12]
	;; [unrolled: 1-line block ×4, first 2 shown]
	s_delay_alu instid0(VALU_DEP_4) | instskip(NEXT) | instid1(VALU_DEP_4)
	v_fma_f64 v[15:16], v[21:22], v[54:55], v[17:18]
	v_fma_f64 v[17:18], v[23:24], v[54:55], v[11:12]
	s_delay_alu instid0(VALU_DEP_4) | instskip(NEXT) | instid1(VALU_DEP_4)
	v_fma_f64 v[13:14], v[27:28], v[54:55], v[25:26]
	v_fma_f64 v[11:12], v[36:37], v[54:55], v[29:30]
	s_wait_alu 0xfffe
	s_and_not1_b32 exec_lo, exec_lo, s7
	s_cbranch_execnz .LBB159_33
; %bb.34:
	s_or_b32 exec_lo, exec_lo, s7
.LBB159_35:
	s_wait_alu 0xfffe
	s_or_b32 exec_lo, exec_lo, s6
.LBB159_36:
	s_wait_alu 0xfffe
	s_or_b32 exec_lo, exec_lo, s3
.LBB159_37:
	v_mbcnt_lo_u32_b32 v23, -1, 0
	s_delay_alu instid0(VALU_DEP_1) | instskip(NEXT) | instid1(VALU_DEP_1)
	v_or_b32_e32 v0, 32, v23
	v_cmp_gt_i32_e32 vcc_lo, 32, v0
	s_wait_alu 0xfffd
	v_cndmask_b32_e32 v0, v23, v0, vcc_lo
	s_delay_alu instid0(VALU_DEP_1)
	v_lshlrev_b32_e32 v20, 2, v0
	ds_bpermute_b32 v6, v20, v13
	ds_bpermute_b32 v7, v20, v14
	s_wait_dscnt 0x0
	v_add_f64_e32 v[6:7], v[13:14], v[6:7]
	v_xor_b32_e32 v13, 16, v23
	s_delay_alu instid0(VALU_DEP_1)
	v_cmp_gt_i32_e32 vcc_lo, 32, v13
	s_wait_alu 0xfffd
	v_cndmask_b32_e32 v13, v23, v13, vcc_lo
	ds_bpermute_b32 v0, v20, v15
	ds_bpermute_b32 v1, v20, v16
	ds_bpermute_b32 v4, v20, v17
	ds_bpermute_b32 v5, v20, v18
	ds_bpermute_b32 v19, v20, v11
	ds_bpermute_b32 v20, v20, v12
	s_wait_dscnt 0x4
	v_add_f64_e32 v[0:1], v[15:16], v[0:1]
	s_wait_dscnt 0x2
	v_add_f64_e32 v[4:5], v[17:18], v[4:5]
	;; [unrolled: 2-line block ×3, first 2 shown]
	v_lshlrev_b32_e32 v20, 2, v13
	ds_bpermute_b32 v17, v20, v6
	ds_bpermute_b32 v18, v20, v7
	s_wait_dscnt 0x0
	v_add_f64_e32 v[6:7], v[6:7], v[17:18]
	ds_bpermute_b32 v13, v20, v0
	ds_bpermute_b32 v14, v20, v1
	;; [unrolled: 1-line block ×6, first 2 shown]
	s_wait_dscnt 0x4
	v_add_f64_e32 v[0:1], v[0:1], v[13:14]
	v_xor_b32_e32 v13, 8, v23
	s_wait_dscnt 0x2
	v_add_f64_e32 v[4:5], v[4:5], v[15:16]
	s_wait_dscnt 0x0
	v_add_f64_e32 v[11:12], v[11:12], v[19:20]
	v_cmp_gt_i32_e32 vcc_lo, 32, v13
	s_wait_alu 0xfffd
	v_cndmask_b32_e32 v13, v23, v13, vcc_lo
	s_delay_alu instid0(VALU_DEP_1)
	v_lshlrev_b32_e32 v20, 2, v13
	ds_bpermute_b32 v17, v20, v6
	ds_bpermute_b32 v18, v20, v7
	;; [unrolled: 1-line block ×8, first 2 shown]
	s_wait_dscnt 0x6
	v_add_f64_e32 v[6:7], v[6:7], v[17:18]
	s_wait_dscnt 0x4
	v_add_f64_e32 v[0:1], v[0:1], v[13:14]
	v_xor_b32_e32 v13, 4, v23
	s_wait_dscnt 0x2
	v_add_f64_e32 v[4:5], v[4:5], v[15:16]
	s_wait_dscnt 0x0
	v_add_f64_e32 v[11:12], v[11:12], v[19:20]
	v_cmp_gt_i32_e32 vcc_lo, 32, v13
	s_wait_alu 0xfffd
	v_cndmask_b32_e32 v13, v23, v13, vcc_lo
	s_delay_alu instid0(VALU_DEP_1)
	v_lshlrev_b32_e32 v20, 2, v13
	ds_bpermute_b32 v17, v20, v6
	ds_bpermute_b32 v18, v20, v7
	ds_bpermute_b32 v13, v20, v0
	ds_bpermute_b32 v14, v20, v1
	ds_bpermute_b32 v15, v20, v4
	ds_bpermute_b32 v16, v20, v5
	ds_bpermute_b32 v19, v20, v11
	ds_bpermute_b32 v20, v20, v12
	s_wait_dscnt 0x4
	v_add_f64_e32 v[0:1], v[0:1], v[13:14]
	v_add_f64_e32 v[13:14], v[6:7], v[17:18]
	s_wait_dscnt 0x2
	v_add_f64_e32 v[4:5], v[4:5], v[15:16]
	v_xor_b32_e32 v6, 2, v23
	s_wait_dscnt 0x0
	v_add_f64_e32 v[15:16], v[11:12], v[19:20]
	s_delay_alu instid0(VALU_DEP_2) | instskip(SKIP_2) | instid1(VALU_DEP_1)
	v_cmp_gt_i32_e32 vcc_lo, 32, v6
	s_wait_alu 0xfffd
	v_cndmask_b32_e32 v6, v23, v6, vcc_lo
	v_lshlrev_b32_e32 v11, 2, v6
	ds_bpermute_b32 v6, v11, v0
	ds_bpermute_b32 v7, v11, v1
	;; [unrolled: 1-line block ×8, first 2 shown]
	s_wait_dscnt 0x6
	v_add_f64_e32 v[11:12], v[0:1], v[6:7]
	s_wait_dscnt 0x4
	v_add_f64_e32 v[6:7], v[4:5], v[17:18]
	;; [unrolled: 2-line block ×3, first 2 shown]
	v_xor_b32_e32 v13, 1, v23
	s_wait_dscnt 0x0
	v_add_f64_e32 v[4:5], v[15:16], v[21:22]
	s_delay_alu instid0(VALU_DEP_2) | instskip(SKIP_3) | instid1(VALU_DEP_2)
	v_cmp_gt_i32_e32 vcc_lo, 32, v13
	s_wait_alu 0xfffd
	v_cndmask_b32_e32 v13, v23, v13, vcc_lo
	v_cmp_eq_u32_e32 vcc_lo, 63, v31
	v_lshlrev_b32_e32 v14, 2, v13
	ds_bpermute_b32 v19, v14, v11
	ds_bpermute_b32 v20, v14, v12
	;; [unrolled: 1-line block ×8, first 2 shown]
	s_and_b32 exec_lo, exec_lo, vcc_lo
	s_cbranch_execz .LBB159_10
; %bb.38:
	s_wait_dscnt 0x6
	v_add_f64_e32 v[11:12], v[11:12], v[19:20]
	s_wait_dscnt 0x4
	v_add_f64_e32 v[6:7], v[6:7], v[17:18]
	;; [unrolled: 2-line block ×4, first 2 shown]
	s_load_b64 s[0:1], s[0:1], 0x50
	v_lshlrev_b32_e32 v10, 2, v10
	s_mov_b32 s2, exec_lo
	v_mul_f64_e32 v[4:5], v[2:3], v[11:12]
	v_mul_f64_e32 v[6:7], v[2:3], v[6:7]
	;; [unrolled: 1-line block ×4, first 2 shown]
	v_cmpx_eq_f64_e32 0, v[8:9]
	s_wait_alu 0xfffe
	s_xor_b32 s2, exec_lo, s2
	s_cbranch_execz .LBB159_40
; %bb.39:
	v_ashrrev_i32_e32 v11, 31, v10
	s_delay_alu instid0(VALU_DEP_1) | instskip(SKIP_1) | instid1(VALU_DEP_1)
	v_lshlrev_b64_e32 v[8:9], 3, v[10:11]
                                        ; implicit-def: $vgpr10
	s_wait_kmcnt 0x0
	v_add_co_u32 v8, vcc_lo, s0, v8
	s_wait_alu 0xfffd
	s_delay_alu instid0(VALU_DEP_2)
	v_add_co_ci_u32_e64 v9, null, s1, v9, vcc_lo
	s_clause 0x1
	global_store_b128 v[8:9], v[4:7], off
	global_store_b128 v[8:9], v[0:3], off offset:16
                                        ; implicit-def: $vgpr8_vgpr9
                                        ; implicit-def: $vgpr4_vgpr5
                                        ; implicit-def: $vgpr0_vgpr1
.LBB159_40:
	s_wait_alu 0xfffe
	s_and_not1_saveexec_b32 s2, s2
	s_cbranch_execz .LBB159_10
; %bb.41:
	v_ashrrev_i32_e32 v11, 31, v10
	s_delay_alu instid0(VALU_DEP_1) | instskip(SKIP_1) | instid1(VALU_DEP_1)
	v_lshlrev_b64_e32 v[10:11], 3, v[10:11]
	s_wait_kmcnt 0x0
	v_add_co_u32 v18, vcc_lo, s0, v10
	s_wait_alu 0xfffd
	s_delay_alu instid0(VALU_DEP_2)
	v_add_co_ci_u32_e64 v19, null, s1, v11, vcc_lo
	s_clause 0x1
	global_load_b128 v[10:13], v[18:19], off
	global_load_b128 v[14:17], v[18:19], off offset:16
	s_wait_loadcnt 0x1
	v_fma_f64 v[4:5], v[8:9], v[10:11], v[4:5]
	v_fma_f64 v[6:7], v[8:9], v[12:13], v[6:7]
	s_wait_loadcnt 0x0
	v_fma_f64 v[0:1], v[8:9], v[14:15], v[0:1]
	v_fma_f64 v[2:3], v[8:9], v[16:17], v[2:3]
	s_clause 0x1
	global_store_b128 v[18:19], v[4:7], off
	global_store_b128 v[18:19], v[0:3], off offset:16
	s_nop 0
	s_sendmsg sendmsg(MSG_DEALLOC_VGPRS)
	s_endpgm
	.section	.rodata,"a",@progbits
	.p2align	6, 0x0
	.amdhsa_kernel _ZN9rocsparseL18bsrxmvn_4x4_kernelILj128ELj64EdlifddEEvT3_20rocsparse_direction_NS_24const_host_device_scalarIT1_EES1_PKS1_PKT2_SA_S7_PKT4_PKT5_S5_PT6_21rocsparse_index_base_b
		.amdhsa_group_segment_fixed_size 0
		.amdhsa_private_segment_fixed_size 0
		.amdhsa_kernarg_size 96
		.amdhsa_user_sgpr_count 2
		.amdhsa_user_sgpr_dispatch_ptr 0
		.amdhsa_user_sgpr_queue_ptr 0
		.amdhsa_user_sgpr_kernarg_segment_ptr 1
		.amdhsa_user_sgpr_dispatch_id 0
		.amdhsa_user_sgpr_private_segment_size 0
		.amdhsa_wavefront_size32 1
		.amdhsa_uses_dynamic_stack 0
		.amdhsa_enable_private_segment 0
		.amdhsa_system_sgpr_workgroup_id_x 1
		.amdhsa_system_sgpr_workgroup_id_y 0
		.amdhsa_system_sgpr_workgroup_id_z 0
		.amdhsa_system_sgpr_workgroup_info 0
		.amdhsa_system_vgpr_workitem_id 0
		.amdhsa_next_free_vgpr 112
		.amdhsa_next_free_sgpr 14
		.amdhsa_reserve_vcc 1
		.amdhsa_float_round_mode_32 0
		.amdhsa_float_round_mode_16_64 0
		.amdhsa_float_denorm_mode_32 3
		.amdhsa_float_denorm_mode_16_64 3
		.amdhsa_fp16_overflow 0
		.amdhsa_workgroup_processor_mode 1
		.amdhsa_memory_ordered 1
		.amdhsa_forward_progress 1
		.amdhsa_inst_pref_size 52
		.amdhsa_round_robin_scheduling 0
		.amdhsa_exception_fp_ieee_invalid_op 0
		.amdhsa_exception_fp_denorm_src 0
		.amdhsa_exception_fp_ieee_div_zero 0
		.amdhsa_exception_fp_ieee_overflow 0
		.amdhsa_exception_fp_ieee_underflow 0
		.amdhsa_exception_fp_ieee_inexact 0
		.amdhsa_exception_int_div_zero 0
	.end_amdhsa_kernel
	.section	.text._ZN9rocsparseL18bsrxmvn_4x4_kernelILj128ELj64EdlifddEEvT3_20rocsparse_direction_NS_24const_host_device_scalarIT1_EES1_PKS1_PKT2_SA_S7_PKT4_PKT5_S5_PT6_21rocsparse_index_base_b,"axG",@progbits,_ZN9rocsparseL18bsrxmvn_4x4_kernelILj128ELj64EdlifddEEvT3_20rocsparse_direction_NS_24const_host_device_scalarIT1_EES1_PKS1_PKT2_SA_S7_PKT4_PKT5_S5_PT6_21rocsparse_index_base_b,comdat
.Lfunc_end159:
	.size	_ZN9rocsparseL18bsrxmvn_4x4_kernelILj128ELj64EdlifddEEvT3_20rocsparse_direction_NS_24const_host_device_scalarIT1_EES1_PKS1_PKT2_SA_S7_PKT4_PKT5_S5_PT6_21rocsparse_index_base_b, .Lfunc_end159-_ZN9rocsparseL18bsrxmvn_4x4_kernelILj128ELj64EdlifddEEvT3_20rocsparse_direction_NS_24const_host_device_scalarIT1_EES1_PKS1_PKT2_SA_S7_PKT4_PKT5_S5_PT6_21rocsparse_index_base_b
                                        ; -- End function
	.set _ZN9rocsparseL18bsrxmvn_4x4_kernelILj128ELj64EdlifddEEvT3_20rocsparse_direction_NS_24const_host_device_scalarIT1_EES1_PKS1_PKT2_SA_S7_PKT4_PKT5_S5_PT6_21rocsparse_index_base_b.num_vgpr, 112
	.set _ZN9rocsparseL18bsrxmvn_4x4_kernelILj128ELj64EdlifddEEvT3_20rocsparse_direction_NS_24const_host_device_scalarIT1_EES1_PKS1_PKT2_SA_S7_PKT4_PKT5_S5_PT6_21rocsparse_index_base_b.num_agpr, 0
	.set _ZN9rocsparseL18bsrxmvn_4x4_kernelILj128ELj64EdlifddEEvT3_20rocsparse_direction_NS_24const_host_device_scalarIT1_EES1_PKS1_PKT2_SA_S7_PKT4_PKT5_S5_PT6_21rocsparse_index_base_b.numbered_sgpr, 14
	.set _ZN9rocsparseL18bsrxmvn_4x4_kernelILj128ELj64EdlifddEEvT3_20rocsparse_direction_NS_24const_host_device_scalarIT1_EES1_PKS1_PKT2_SA_S7_PKT4_PKT5_S5_PT6_21rocsparse_index_base_b.num_named_barrier, 0
	.set _ZN9rocsparseL18bsrxmvn_4x4_kernelILj128ELj64EdlifddEEvT3_20rocsparse_direction_NS_24const_host_device_scalarIT1_EES1_PKS1_PKT2_SA_S7_PKT4_PKT5_S5_PT6_21rocsparse_index_base_b.private_seg_size, 0
	.set _ZN9rocsparseL18bsrxmvn_4x4_kernelILj128ELj64EdlifddEEvT3_20rocsparse_direction_NS_24const_host_device_scalarIT1_EES1_PKS1_PKT2_SA_S7_PKT4_PKT5_S5_PT6_21rocsparse_index_base_b.uses_vcc, 1
	.set _ZN9rocsparseL18bsrxmvn_4x4_kernelILj128ELj64EdlifddEEvT3_20rocsparse_direction_NS_24const_host_device_scalarIT1_EES1_PKS1_PKT2_SA_S7_PKT4_PKT5_S5_PT6_21rocsparse_index_base_b.uses_flat_scratch, 0
	.set _ZN9rocsparseL18bsrxmvn_4x4_kernelILj128ELj64EdlifddEEvT3_20rocsparse_direction_NS_24const_host_device_scalarIT1_EES1_PKS1_PKT2_SA_S7_PKT4_PKT5_S5_PT6_21rocsparse_index_base_b.has_dyn_sized_stack, 0
	.set _ZN9rocsparseL18bsrxmvn_4x4_kernelILj128ELj64EdlifddEEvT3_20rocsparse_direction_NS_24const_host_device_scalarIT1_EES1_PKS1_PKT2_SA_S7_PKT4_PKT5_S5_PT6_21rocsparse_index_base_b.has_recursion, 0
	.set _ZN9rocsparseL18bsrxmvn_4x4_kernelILj128ELj64EdlifddEEvT3_20rocsparse_direction_NS_24const_host_device_scalarIT1_EES1_PKS1_PKT2_SA_S7_PKT4_PKT5_S5_PT6_21rocsparse_index_base_b.has_indirect_call, 0
	.section	.AMDGPU.csdata,"",@progbits
; Kernel info:
; codeLenInByte = 6556
; TotalNumSgprs: 16
; NumVgprs: 112
; ScratchSize: 0
; MemoryBound: 0
; FloatMode: 240
; IeeeMode: 1
; LDSByteSize: 0 bytes/workgroup (compile time only)
; SGPRBlocks: 0
; VGPRBlocks: 13
; NumSGPRsForWavesPerEU: 16
; NumVGPRsForWavesPerEU: 112
; Occupancy: 12
; WaveLimiterHint : 1
; COMPUTE_PGM_RSRC2:SCRATCH_EN: 0
; COMPUTE_PGM_RSRC2:USER_SGPR: 2
; COMPUTE_PGM_RSRC2:TRAP_HANDLER: 0
; COMPUTE_PGM_RSRC2:TGID_X_EN: 1
; COMPUTE_PGM_RSRC2:TGID_Y_EN: 0
; COMPUTE_PGM_RSRC2:TGID_Z_EN: 0
; COMPUTE_PGM_RSRC2:TIDIG_COMP_CNT: 0
	.section	.text._ZN9rocsparseL18bsrxmvn_4x4_kernelILj128ELj4EdllfddEEvT3_20rocsparse_direction_NS_24const_host_device_scalarIT1_EES1_PKS1_PKT2_SA_S7_PKT4_PKT5_S5_PT6_21rocsparse_index_base_b,"axG",@progbits,_ZN9rocsparseL18bsrxmvn_4x4_kernelILj128ELj4EdllfddEEvT3_20rocsparse_direction_NS_24const_host_device_scalarIT1_EES1_PKS1_PKT2_SA_S7_PKT4_PKT5_S5_PT6_21rocsparse_index_base_b,comdat
	.globl	_ZN9rocsparseL18bsrxmvn_4x4_kernelILj128ELj4EdllfddEEvT3_20rocsparse_direction_NS_24const_host_device_scalarIT1_EES1_PKS1_PKT2_SA_S7_PKT4_PKT5_S5_PT6_21rocsparse_index_base_b ; -- Begin function _ZN9rocsparseL18bsrxmvn_4x4_kernelILj128ELj4EdllfddEEvT3_20rocsparse_direction_NS_24const_host_device_scalarIT1_EES1_PKS1_PKT2_SA_S7_PKT4_PKT5_S5_PT6_21rocsparse_index_base_b
	.p2align	8
	.type	_ZN9rocsparseL18bsrxmvn_4x4_kernelILj128ELj4EdllfddEEvT3_20rocsparse_direction_NS_24const_host_device_scalarIT1_EES1_PKS1_PKT2_SA_S7_PKT4_PKT5_S5_PT6_21rocsparse_index_base_b,@function
_ZN9rocsparseL18bsrxmvn_4x4_kernelILj128ELj4EdllfddEEvT3_20rocsparse_direction_NS_24const_host_device_scalarIT1_EES1_PKS1_PKT2_SA_S7_PKT4_PKT5_S5_PT6_21rocsparse_index_base_b: ; @_ZN9rocsparseL18bsrxmvn_4x4_kernelILj128ELj4EdllfddEEvT3_20rocsparse_direction_NS_24const_host_device_scalarIT1_EES1_PKS1_PKT2_SA_S7_PKT4_PKT5_S5_PT6_21rocsparse_index_base_b
; %bb.0:
	s_clause 0x2
	s_load_b64 s[8:9], s[0:1], 0x60
	s_load_b128 s[4:7], s[0:1], 0x10
	s_load_b64 s[2:3], s[0:1], 0x50
	s_wait_kmcnt 0x0
	s_bitcmp1_b32 s9, 0
	v_dual_mov_b32 v2, s4 :: v_dual_mov_b32 v3, s5
	s_cselect_b32 s9, -1, 0
	s_delay_alu instid0(SALU_CYCLE_1)
	s_and_b32 vcc_lo, exec_lo, s9
	s_xor_b32 s9, s9, -1
	s_cbranch_vccnz .LBB160_2
; %bb.1:
	v_dual_mov_b32 v1, s4 :: v_dual_mov_b32 v2, s5
	flat_load_b64 v[2:3], v[1:2]
.LBB160_2:
	v_dual_mov_b32 v9, s3 :: v_dual_mov_b32 v8, s2
	s_and_not1_b32 vcc_lo, exec_lo, s9
	s_cbranch_vccnz .LBB160_4
; %bb.3:
	v_dual_mov_b32 v5, s3 :: v_dual_mov_b32 v4, s2
	flat_load_b64 v[8:9], v[4:5]
.LBB160_4:
	s_wait_loadcnt_dscnt 0x0
	v_cmp_neq_f64_e32 vcc_lo, 0, v[2:3]
	v_cmp_neq_f64_e64 s2, 1.0, v[8:9]
	s_or_b32 s2, vcc_lo, s2
	s_wait_alu 0xfffe
	s_and_saveexec_b32 s3, s2
	s_cbranch_execz .LBB160_10
; %bb.5:
	s_load_b64 s[2:3], s[0:1], 0x20
	v_lshrrev_b32_e32 v1, 2, v0
	v_mov_b32_e32 v7, 0
	s_delay_alu instid0(VALU_DEP_2)
	v_lshl_or_b32 v6, ttmp9, 5, v1
	s_wait_kmcnt 0x0
	s_cmp_lg_u64 s[2:3], 0
	s_cbranch_scc0 .LBB160_11
; %bb.6:
	s_delay_alu instid0(VALU_DEP_1)
	v_cmp_gt_i64_e32 vcc_lo, s[6:7], v[6:7]
	s_mov_b32 s5, 0
	s_mov_b32 s4, 0
                                        ; implicit-def: $vgpr10_vgpr11
                                        ; implicit-def: $vgpr4_vgpr5
	s_and_saveexec_b32 s6, vcc_lo
	s_wait_alu 0xfffe
	s_xor_b32 s6, exec_lo, s6
	s_cbranch_execz .LBB160_8
; %bb.7:
	v_lshlrev_b64_e32 v[4:5], 3, v[6:7]
	s_mov_b32 s9, 0
	s_mov_b32 s4, exec_lo
	s_delay_alu instid0(VALU_DEP_1) | instskip(NEXT) | instid1(VALU_DEP_1)
	v_add_co_u32 v4, vcc_lo, s2, v4
	v_add_co_ci_u32_e64 v5, null, s3, v5, vcc_lo
	global_load_b64 v[4:5], v[4:5], off
	s_wait_loadcnt 0x0
	v_sub_co_u32 v10, vcc_lo, v4, s8
	s_wait_alu 0xfffd
	v_subrev_co_ci_u32_e64 v11, null, 0, v5, vcc_lo
	v_dual_mov_b32 v4, s8 :: v_dual_mov_b32 v5, s9
.LBB160_8:
	s_wait_alu 0xfffe
	s_or_b32 exec_lo, exec_lo, s6
	s_delay_alu instid0(SALU_CYCLE_1)
	s_and_b32 vcc_lo, exec_lo, s5
	s_wait_alu 0xfffe
	s_cbranch_vccnz .LBB160_12
.LBB160_9:
	s_wait_alu 0xfffe
	s_and_b32 exec_lo, exec_lo, s4
	s_cbranch_execnz .LBB160_15
.LBB160_10:
	s_nop 0
	s_sendmsg sendmsg(MSG_DEALLOC_VGPRS)
	s_endpgm
.LBB160_11:
	s_mov_b32 s4, 0
                                        ; implicit-def: $vgpr10_vgpr11
                                        ; implicit-def: $vgpr4_vgpr5
	s_cbranch_execz .LBB160_9
.LBB160_12:
	s_load_b64 s[2:3], s[0:1], 0x0
	s_wait_kmcnt 0x0
	v_cmp_gt_i64_e32 vcc_lo, s[2:3], v[6:7]
	s_and_saveexec_b32 s2, vcc_lo
; %bb.13:
	s_mov_b32 s9, 0
	s_or_b32 s4, s4, exec_lo
; %bb.14:
	s_wait_alu 0xfffe
	s_or_b32 exec_lo, exec_lo, s2
	v_dual_mov_b32 v4, s8 :: v_dual_mov_b32 v5, s9
	v_dual_mov_b32 v11, v7 :: v_dual_mov_b32 v10, v6
	s_and_b32 exec_lo, exec_lo, s4
	s_cbranch_execz .LBB160_10
.LBB160_15:
	s_load_b256 s[4:11], s[0:1], 0x28
	s_delay_alu instid0(VALU_DEP_1) | instskip(SKIP_3) | instid1(VALU_DEP_2)
	v_lshlrev_b64_e32 v[6:7], 3, v[10:11]
	v_and_b32_e32 v34, 3, v0
	s_load_b32 s3, s[0:1], 0x8
	s_wait_kmcnt 0x0
	v_add_co_u32 v12, vcc_lo, s4, v6
	s_wait_alu 0xfffd
	v_add_co_ci_u32_e64 v13, null, s5, v7, vcc_lo
	v_add_co_u32 v1, vcc_lo, s6, v6
	s_wait_alu 0xfffd
	v_add_co_ci_u32_e64 v6, null, s7, v7, vcc_lo
	v_add_co_u32 v14, vcc_lo, v12, 8
	global_load_b64 v[22:23], v[12:13], off
	s_wait_alu 0xfffd
	v_add_co_ci_u32_e64 v7, null, 0, v13, vcc_lo
	s_cmp_eq_u64 s[6:7], 0
	s_load_b64 s[4:5], s[0:1], 0x48
	s_cselect_b32 vcc_lo, -1, 0
	s_cmp_eq_u32 s3, 1
	s_wait_alu 0xfffe
	v_dual_cndmask_b32 v7, v6, v7 :: v_dual_cndmask_b32 v6, v1, v14
	global_load_b64 v[6:7], v[6:7], off
	s_wait_loadcnt 0x1
	v_sub_co_u32 v0, vcc_lo, v22, v4
	s_wait_alu 0xfffd
	v_sub_co_ci_u32_e64 v1, null, v23, v5, vcc_lo
	s_delay_alu instid0(VALU_DEP_2) | instskip(SKIP_1) | instid1(VALU_DEP_2)
	v_add_co_u32 v0, vcc_lo, v0, v34
	s_wait_alu 0xfffd
	v_add_co_ci_u32_e64 v1, null, 0, v1, vcc_lo
	s_delay_alu instid0(VALU_DEP_1) | instskip(SKIP_4) | instid1(VALU_DEP_3)
	v_lshlrev_b64_e32 v[12:13], 6, v[0:1]
	s_wait_loadcnt 0x0
	v_sub_co_u32 v6, vcc_lo, v6, v4
	s_wait_alu 0xfffd
	v_sub_co_ci_u32_e64 v7, null, v7, v5, vcc_lo
	v_add_co_u32 v12, vcc_lo, s10, v12
	s_delay_alu instid0(VALU_DEP_2)
	v_cmp_lt_i64_e64 s2, v[0:1], v[6:7]
	s_wait_alu 0xfffd
	v_add_co_ci_u32_e64 v13, null, s11, v13, vcc_lo
	s_cbranch_scc1 .LBB160_27
; %bb.16:
	v_mov_b32_e32 v14, 0
	v_dual_mov_b32 v20, 0 :: v_dual_mov_b32 v15, 0
	v_dual_mov_b32 v16, 0 :: v_dual_mov_b32 v21, 0
	;; [unrolled: 1-line block ×3, first 2 shown]
	v_mov_b32_e32 v19, 0
	s_and_saveexec_b32 s6, s2
	s_cbranch_execz .LBB160_26
; %bb.17:
	v_or_b32_e32 v14, 4, v34
	v_not_b32_e32 v17, v22
	v_sub_co_u32 v18, s3, v4, v34
	v_not_b32_e32 v16, v23
	s_delay_alu instid0(VALU_DEP_4)
	v_sub_co_u32 v14, vcc_lo, v14, v4
	s_wait_alu 0xfffd
	v_sub_co_ci_u32_e64 v15, null, 0, v5, vcc_lo
	s_wait_alu 0xf1ff
	v_subrev_co_ci_u32_e64 v19, null, 0, v5, s3
	v_add_co_u32 v14, vcc_lo, v14, v22
	s_wait_alu 0xfffd
	v_add_co_ci_u32_e64 v15, null, v15, v23, vcc_lo
	v_dual_mov_b32 v27, v1 :: v_dual_mov_b32 v26, v0
	v_mov_b32_e32 v20, 0
	s_delay_alu instid0(VALU_DEP_3)
	v_cmp_gt_i64_e32 vcc_lo, v[14:15], v[6:7]
	v_mov_b32_e32 v21, 0
	s_wait_alu 0xfffd
	v_dual_cndmask_b32 v15, v7, v15 :: v_dual_cndmask_b32 v14, v6, v14
	v_add_co_u32 v17, vcc_lo, v18, v17
	s_wait_alu 0xfffd
	v_add_co_ci_u32_e64 v16, null, v19, v16, vcc_lo
	v_mov_b32_e32 v18, 0
	s_delay_alu instid0(VALU_DEP_3) | instskip(SKIP_3) | instid1(VALU_DEP_3)
	v_add_co_u32 v28, vcc_lo, v17, v14
	v_mov_b32_e32 v25, 0
	s_wait_alu 0xfffd
	v_add_co_ci_u32_e64 v29, null, v16, v15, vcc_lo
	v_and_b32_e32 v24, 12, v28
	v_dual_mov_b32 v16, 0 :: v_dual_mov_b32 v19, 0
	v_dual_mov_b32 v17, 0 :: v_dual_mov_b32 v14, 0
	s_delay_alu instid0(VALU_DEP_3)
	v_cmp_ne_u64_e32 vcc_lo, 12, v[24:25]
	v_mov_b32_e32 v15, 0
	v_dual_mov_b32 v25, v13 :: v_dual_mov_b32 v24, v12
	s_and_saveexec_b32 s7, vcc_lo
	s_cbranch_execz .LBB160_21
; %bb.18:
	v_lshrrev_b32_e32 v14, 2, v28
	v_lshlrev_b64_e32 v[18:19], 3, v[0:1]
	v_mov_b32_e32 v16, 0
	v_mov_b32_e32 v20, 0
	s_delay_alu instid0(VALU_DEP_4) | instskip(SKIP_3) | instid1(VALU_DEP_4)
	v_dual_mov_b32 v21, 0 :: v_dual_add_nc_u32 v26, 1, v14
	v_dual_mov_b32 v14, 0 :: v_dual_mov_b32 v25, v13
	v_mov_b32_e32 v15, 0
	v_add_co_u32 v30, vcc_lo, s8, v18
	v_and_b32_e32 v26, 3, v26
	s_wait_alu 0xfffd
	v_add_co_ci_u32_e64 v31, null, s9, v19, vcc_lo
	v_mov_b32_e32 v18, 0
	v_dual_mov_b32 v24, v12 :: v_dual_mov_b32 v17, 0
	v_sub_co_u32 v32, s3, 0, v26
	v_mov_b32_e32 v27, v1
	s_wait_alu 0xf1ff
	v_sub_co_ci_u32_e64 v33, null, 0, 0, s3
	v_dual_mov_b32 v19, 0 :: v_dual_mov_b32 v26, v0
	s_mov_b32 s10, 0
.LBB160_19:                             ; =>This Inner Loop Header: Depth=1
	global_load_b64 v[51:52], v[30:31], off
	s_clause 0x3
	global_load_b128 v[35:38], v[24:25], off
	global_load_b128 v[39:42], v[24:25], off offset:16
	global_load_b128 v[43:46], v[24:25], off offset:32
	;; [unrolled: 1-line block ×3, first 2 shown]
	v_add_co_u32 v30, s3, v30, 32
	s_wait_alu 0xf1ff
	v_add_co_ci_u32_e64 v31, null, 0, v31, s3
	s_wait_loadcnt 0x4
	v_sub_co_u32 v51, vcc_lo, v51, v4
	s_wait_alu 0xfffd
	v_sub_co_ci_u32_e64 v52, null, v52, v5, vcc_lo
	s_wait_loadcnt 0x3
	v_cvt_f64_f32_e32 v[59:60], v35
	s_wait_loadcnt 0x2
	v_cvt_f64_f32_e32 v[61:62], v39
	;; [unrolled: 2-line block ×3, first 2 shown]
	v_lshlrev_b64_e32 v[51:52], 5, v[51:52]
	s_wait_loadcnt 0x0
	v_cvt_f64_f32_e32 v[65:66], v47
	v_cvt_f64_f32_e32 v[35:36], v36
	;; [unrolled: 1-line block ×5, first 2 shown]
	s_wait_kmcnt 0x0
	v_add_co_u32 v55, vcc_lo, s4, v51
	s_wait_alu 0xfffd
	v_add_co_ci_u32_e64 v56, null, s5, v52, vcc_lo
	v_add_co_u32 v24, vcc_lo, 0x100, v24
	s_wait_alu 0xfffd
	v_add_co_ci_u32_e64 v25, null, 0, v25, vcc_lo
	s_clause 0x1
	global_load_b128 v[51:54], v[55:56], off
	global_load_b128 v[55:58], v[55:56], off offset:16
	v_add_co_u32 v32, vcc_lo, v32, 1
	s_wait_alu 0xfffd
	v_add_co_ci_u32_e64 v33, null, 0, v33, vcc_lo
	v_add_co_u32 v26, vcc_lo, v26, 4
	s_wait_alu 0xfffd
	v_add_co_ci_u32_e64 v27, null, 0, v27, vcc_lo
	s_delay_alu instid0(VALU_DEP_3)
	v_cmp_eq_u64_e32 vcc_lo, 0, v[32:33]
	s_wait_alu 0xfffe
	s_or_b32 s10, vcc_lo, s10
	s_wait_loadcnt 0x1
	v_fma_f64 v[18:19], v[59:60], v[51:52], v[18:19]
	v_fma_f64 v[20:21], v[61:62], v[51:52], v[20:21]
	;; [unrolled: 1-line block ×4, first 2 shown]
	v_cvt_f64_f32_e32 v[51:52], v37
	v_cvt_f64_f32_e32 v[59:60], v41
	;; [unrolled: 1-line block ×4, first 2 shown]
	v_fma_f64 v[18:19], v[35:36], v[53:54], v[18:19]
	v_fma_f64 v[20:21], v[39:40], v[53:54], v[20:21]
	;; [unrolled: 1-line block ×4, first 2 shown]
	v_cvt_f64_f32_e32 v[35:36], v38
	v_cvt_f64_f32_e32 v[37:38], v42
	;; [unrolled: 1-line block ×4, first 2 shown]
	s_wait_loadcnt 0x0
	v_fma_f64 v[18:19], v[51:52], v[55:56], v[18:19]
	v_fma_f64 v[20:21], v[59:60], v[55:56], v[20:21]
	;; [unrolled: 1-line block ×4, first 2 shown]
	s_delay_alu instid0(VALU_DEP_4) | instskip(NEXT) | instid1(VALU_DEP_4)
	v_fma_f64 v[18:19], v[35:36], v[57:58], v[18:19]
	v_fma_f64 v[20:21], v[37:38], v[57:58], v[20:21]
	s_delay_alu instid0(VALU_DEP_4) | instskip(NEXT) | instid1(VALU_DEP_4)
	v_fma_f64 v[16:17], v[39:40], v[57:58], v[16:17]
	v_fma_f64 v[14:15], v[41:42], v[57:58], v[14:15]
	s_wait_alu 0xfffe
	s_and_not1_b32 exec_lo, exec_lo, s10
	s_cbranch_execnz .LBB160_19
; %bb.20:
	s_or_b32 exec_lo, exec_lo, s10
.LBB160_21:
	s_wait_alu 0xfffe
	s_or_b32 exec_lo, exec_lo, s7
	s_delay_alu instid0(SALU_CYCLE_1)
	s_mov_b32 s7, exec_lo
	v_cmpx_lt_u64_e32 11, v[28:29]
	s_cbranch_execz .LBB160_25
; %bb.22:
	v_lshlrev_b64_e32 v[28:29], 3, v[26:27]
	s_mov_b32 s10, 0
	s_delay_alu instid0(VALU_DEP_1) | instskip(SKIP_1) | instid1(VALU_DEP_2)
	v_add_co_u32 v28, vcc_lo, s8, v28
	s_wait_alu 0xfffd
	v_add_co_ci_u32_e64 v29, null, s9, v29, vcc_lo
	s_delay_alu instid0(VALU_DEP_2) | instskip(SKIP_1) | instid1(VALU_DEP_2)
	v_add_co_u32 v28, vcc_lo, v28, 64
	s_wait_alu 0xfffd
	v_add_co_ci_u32_e64 v29, null, 0, v29, vcc_lo
.LBB160_23:                             ; =>This Inner Loop Header: Depth=1
	s_clause 0x1
	global_load_b64 v[47:48], v[28:29], off offset:-64
	global_load_b64 v[71:72], v[28:29], off offset:-32
	s_clause 0x3
	global_load_b128 v[30:33], v[24:25], off
	global_load_b128 v[35:38], v[24:25], off offset:16
	global_load_b128 v[39:42], v[24:25], off offset:32
	;; [unrolled: 1-line block ×3, first 2 shown]
	s_clause 0x1
	global_load_b64 v[95:96], v[28:29], off
	global_load_b64 v[99:100], v[28:29], off offset:32
	v_add_co_u32 v28, s3, 0x80, v28
	s_wait_alu 0xf1ff
	v_add_co_ci_u32_e64 v29, null, 0, v29, s3
	s_wait_loadcnt 0x7
	v_sub_co_u32 v47, vcc_lo, v47, v4
	s_wait_alu 0xfffd
	v_sub_co_ci_u32_e64 v48, null, v48, v5, vcc_lo
	s_wait_loadcnt 0x5
	v_cvt_f64_f32_e32 v[101:102], v30
	s_wait_loadcnt 0x4
	v_cvt_f64_f32_e32 v[103:104], v35
	;; [unrolled: 2-line block ×3, first 2 shown]
	v_lshlrev_b64_e32 v[47:48], 5, v[47:48]
	s_wait_loadcnt 0x2
	v_cvt_f64_f32_e32 v[107:108], v43
	v_cvt_f64_f32_e32 v[30:31], v31
	;; [unrolled: 1-line block ×5, first 2 shown]
	s_wait_kmcnt 0x0
	v_add_co_u32 v51, vcc_lo, s4, v47
	s_wait_alu 0xfffd
	v_add_co_ci_u32_e64 v52, null, s5, v48, vcc_lo
	v_sub_co_u32 v71, vcc_lo, v71, v4
	s_wait_alu 0xfffd
	v_sub_co_ci_u32_e64 v72, null, v72, v5, vcc_lo
	s_clause 0x1
	global_load_b128 v[47:50], v[51:52], off
	global_load_b128 v[51:54], v[51:52], off offset:16
	s_clause 0x3
	global_load_b128 v[55:58], v[24:25], off offset:256
	global_load_b128 v[59:62], v[24:25], off offset:272
	;; [unrolled: 1-line block ×4, first 2 shown]
	v_lshlrev_b64_e32 v[71:72], 5, v[71:72]
	s_delay_alu instid0(VALU_DEP_1) | instskip(SKIP_1) | instid1(VALU_DEP_2)
	v_add_co_u32 v75, vcc_lo, s4, v71
	s_wait_alu 0xfffd
	v_add_co_ci_u32_e64 v76, null, s5, v72, vcc_lo
	s_wait_loadcnt 0x7
	v_sub_co_u32 v95, vcc_lo, v95, v4
	s_clause 0x1
	global_load_b128 v[71:74], v[75:76], off
	global_load_b128 v[75:78], v[75:76], off offset:16
	s_clause 0x3
	global_load_b128 v[79:82], v[24:25], off offset:512
	global_load_b128 v[83:86], v[24:25], off offset:528
	global_load_b128 v[87:90], v[24:25], off offset:544
	global_load_b128 v[91:94], v[24:25], off offset:560
	s_wait_alu 0xfffd
	v_sub_co_ci_u32_e64 v96, null, v96, v5, vcc_lo
	s_delay_alu instid0(VALU_DEP_1) | instskip(NEXT) | instid1(VALU_DEP_1)
	v_lshlrev_b64_e32 v[95:96], 5, v[95:96]
	v_add_co_u32 v109, vcc_lo, s4, v95
	s_wait_alu 0xfffd
	s_delay_alu instid0(VALU_DEP_2)
	v_add_co_ci_u32_e64 v110, null, s5, v96, vcc_lo
	s_wait_loadcnt 0xc
	v_sub_co_u32 v99, vcc_lo, v99, v4
	s_wait_alu 0xfffd
	v_sub_co_ci_u32_e64 v100, null, v100, v5, vcc_lo
	global_load_b128 v[95:98], v[109:110], off
	s_wait_loadcnt 0xc
	v_fma_f64 v[18:19], v[101:102], v[47:48], v[18:19]
	v_fma_f64 v[20:21], v[103:104], v[47:48], v[20:21]
	;; [unrolled: 1-line block ×4, first 2 shown]
	v_cvt_f64_f32_e32 v[47:48], v32
	v_cvt_f64_f32_e32 v[101:102], v37
	;; [unrolled: 1-line block ×6, first 2 shown]
	s_wait_loadcnt 0x8
	v_cvt_f64_f32_e32 v[111:112], v63
	s_wait_loadcnt 0x7
	v_cvt_f64_f32_e32 v[113:114], v67
	v_cvt_f64_f32_e32 v[63:64], v64
	;; [unrolled: 1-line block ×3, first 2 shown]
	v_fma_f64 v[18:19], v[30:31], v[49:50], v[18:19]
	v_fma_f64 v[20:21], v[35:36], v[49:50], v[20:21]
	;; [unrolled: 1-line block ×4, first 2 shown]
	global_load_b128 v[14:17], v[109:110], off offset:16
	v_cvt_f64_f32_e32 v[43:44], v33
	v_cvt_f64_f32_e32 v[49:50], v38
	;; [unrolled: 1-line block ×4, first 2 shown]
	v_fma_f64 v[47:48], v[47:48], v[51:52], v[18:19]
	v_fma_f64 v[101:102], v[101:102], v[51:52], v[20:21]
	;; [unrolled: 1-line block ×4, first 2 shown]
	s_clause 0x3
	global_load_b128 v[18:21], v[24:25], off offset:768
	global_load_b128 v[30:33], v[24:25], off offset:784
	global_load_b128 v[35:38], v[24:25], off offset:800
	global_load_b128 v[39:42], v[24:25], off offset:816
	v_cvt_f64_f32_e32 v[105:106], v55
	v_cvt_f64_f32_e32 v[55:56], v56
	v_fma_f64 v[47:48], v[43:44], v[53:54], v[47:48]
	v_fma_f64 v[49:50], v[49:50], v[53:54], v[101:102]
	;; [unrolled: 1-line block ×4, first 2 shown]
	v_lshlrev_b64_e32 v[43:44], 5, v[99:100]
	v_cvt_f64_f32_e32 v[103:104], v65
	s_delay_alu instid0(VALU_DEP_2) | instskip(SKIP_1) | instid1(VALU_DEP_3)
	v_add_co_u32 v53, vcc_lo, s4, v43
	s_wait_alu 0xfffd
	v_add_co_ci_u32_e64 v54, null, s5, v44, vcc_lo
	v_add_co_u32 v26, vcc_lo, v26, 16
	s_wait_alu 0xfffd
	v_add_co_ci_u32_e64 v27, null, 0, v27, vcc_lo
	global_load_b128 v[43:46], v[53:54], off
	v_add_co_u32 v24, vcc_lo, 0x400, v24
	s_wait_alu 0xfffd
	v_add_co_ci_u32_e64 v25, null, 0, v25, vcc_lo
	v_cmp_ge_i64_e32 vcc_lo, v[26:27], v[6:7]
	s_wait_alu 0xfffe
	s_or_b32 s10, vcc_lo, s10
	s_wait_loadcnt 0xc
	v_fma_f64 v[47:48], v[105:106], v[71:72], v[47:48]
	v_fma_f64 v[49:50], v[109:110], v[71:72], v[49:50]
	;; [unrolled: 1-line block ×4, first 2 shown]
	v_cvt_f64_f32_e32 v[71:72], v57
	v_cvt_f64_f32_e32 v[101:102], v61
	;; [unrolled: 1-line block ×3, first 2 shown]
	v_fma_f64 v[55:56], v[55:56], v[73:74], v[47:48]
	v_fma_f64 v[59:60], v[59:60], v[73:74], v[49:50]
	;; [unrolled: 1-line block ×4, first 2 shown]
	global_load_b128 v[47:50], v[53:54], off offset:16
	v_cvt_f64_f32_e32 v[53:54], v58
	v_cvt_f64_f32_e32 v[57:58], v62
	;; [unrolled: 1-line block ×4, first 2 shown]
	s_wait_loadcnt 0xb
	v_cvt_f64_f32_e32 v[67:68], v79
	s_wait_loadcnt 0xa
	v_cvt_f64_f32_e32 v[69:70], v83
	;; [unrolled: 2-line block ×3, first 2 shown]
	v_fma_f64 v[55:56], v[71:72], v[75:76], v[55:56]
	v_fma_f64 v[59:60], v[101:102], v[75:76], v[59:60]
	;; [unrolled: 1-line block ×4, first 2 shown]
	v_cvt_f64_f32_e32 v[71:72], v87
	v_fma_f64 v[53:54], v[53:54], v[77:78], v[55:56]
	v_fma_f64 v[55:56], v[57:58], v[77:78], v[59:60]
	;; [unrolled: 1-line block ×4, first 2 shown]
	v_cvt_f64_f32_e32 v[59:60], v80
	v_cvt_f64_f32_e32 v[61:62], v84
	;; [unrolled: 1-line block ×4, first 2 shown]
	s_wait_loadcnt 0x7
	v_fma_f64 v[53:54], v[67:68], v[95:96], v[53:54]
	v_fma_f64 v[55:56], v[69:70], v[95:96], v[55:56]
	;; [unrolled: 1-line block ×4, first 2 shown]
	v_cvt_f64_f32_e32 v[67:68], v81
	v_cvt_f64_f32_e32 v[69:70], v85
	;; [unrolled: 1-line block ×4, first 2 shown]
	v_fma_f64 v[53:54], v[59:60], v[97:98], v[53:54]
	v_fma_f64 v[55:56], v[61:62], v[97:98], v[55:56]
	v_fma_f64 v[57:58], v[63:64], v[97:98], v[57:58]
	v_fma_f64 v[51:52], v[65:66], v[97:98], v[51:52]
	v_cvt_f64_f32_e32 v[59:60], v82
	v_cvt_f64_f32_e32 v[61:62], v86
	;; [unrolled: 1-line block ×4, first 2 shown]
	s_wait_loadcnt 0x6
	v_fma_f64 v[53:54], v[67:68], v[14:15], v[53:54]
	v_fma_f64 v[55:56], v[69:70], v[14:15], v[55:56]
	;; [unrolled: 1-line block ×4, first 2 shown]
	s_wait_loadcnt 0x5
	v_cvt_f64_f32_e32 v[51:52], v18
	s_wait_loadcnt 0x4
	v_cvt_f64_f32_e32 v[67:68], v30
	;; [unrolled: 2-line block ×4, first 2 shown]
	v_fma_f64 v[53:54], v[59:60], v[16:17], v[53:54]
	v_fma_f64 v[55:56], v[61:62], v[16:17], v[55:56]
	;; [unrolled: 1-line block ×4, first 2 shown]
	v_cvt_f64_f32_e32 v[16:17], v19
	v_cvt_f64_f32_e32 v[18:19], v31
	;; [unrolled: 1-line block ×5, first 2 shown]
	s_wait_loadcnt 0x1
	v_fma_f64 v[39:40], v[51:52], v[43:44], v[53:54]
	v_fma_f64 v[51:52], v[67:68], v[43:44], v[55:56]
	;; [unrolled: 1-line block ×4, first 2 shown]
	v_cvt_f64_f32_e32 v[43:44], v20
	v_cvt_f64_f32_e32 v[55:56], v32
	;; [unrolled: 1-line block ×5, first 2 shown]
	v_fma_f64 v[16:17], v[16:17], v[45:46], v[39:40]
	v_fma_f64 v[18:19], v[18:19], v[45:46], v[51:52]
	;; [unrolled: 1-line block ×4, first 2 shown]
	v_cvt_f64_f32_e32 v[35:36], v38
	v_cvt_f64_f32_e32 v[37:38], v42
	s_wait_loadcnt 0x0
	v_fma_f64 v[16:17], v[43:44], v[47:48], v[16:17]
	v_fma_f64 v[39:40], v[55:56], v[47:48], v[18:19]
	;; [unrolled: 1-line block ×4, first 2 shown]
	s_delay_alu instid0(VALU_DEP_4) | instskip(NEXT) | instid1(VALU_DEP_4)
	v_fma_f64 v[18:19], v[20:21], v[49:50], v[16:17]
	v_fma_f64 v[20:21], v[32:33], v[49:50], v[39:40]
	s_delay_alu instid0(VALU_DEP_4) | instskip(NEXT) | instid1(VALU_DEP_4)
	v_fma_f64 v[16:17], v[35:36], v[49:50], v[30:31]
	v_fma_f64 v[14:15], v[37:38], v[49:50], v[14:15]
	s_wait_alu 0xfffe
	s_and_not1_b32 exec_lo, exec_lo, s10
	s_cbranch_execnz .LBB160_23
; %bb.24:
	s_or_b32 exec_lo, exec_lo, s10
.LBB160_25:
	s_wait_alu 0xfffe
	s_or_b32 exec_lo, exec_lo, s7
.LBB160_26:
	s_wait_alu 0xfffe
	s_or_b32 exec_lo, exec_lo, s6
	s_cbranch_execz .LBB160_28
	s_branch .LBB160_39
.LBB160_27:
                                        ; implicit-def: $vgpr14_vgpr15
                                        ; implicit-def: $vgpr16_vgpr17
                                        ; implicit-def: $vgpr20_vgpr21
                                        ; implicit-def: $vgpr18_vgpr19
.LBB160_28:
	v_mov_b32_e32 v14, 0
	v_dual_mov_b32 v20, 0 :: v_dual_mov_b32 v15, 0
	v_dual_mov_b32 v16, 0 :: v_dual_mov_b32 v21, 0
	;; [unrolled: 1-line block ×3, first 2 shown]
	v_mov_b32_e32 v19, 0
	s_and_saveexec_b32 s3, s2
	s_cbranch_execz .LBB160_38
; %bb.29:
	v_or_b32_e32 v14, 4, v34
	v_not_b32_e32 v17, v22
	v_sub_co_u32 v18, s2, v4, v34
	v_not_b32_e32 v16, v23
	s_delay_alu instid0(VALU_DEP_4)
	v_sub_co_u32 v14, vcc_lo, v14, v4
	s_wait_alu 0xfffd
	v_sub_co_ci_u32_e64 v15, null, 0, v5, vcc_lo
	s_wait_alu 0xf1ff
	v_subrev_co_ci_u32_e64 v19, null, 0, v5, s2
	v_add_co_u32 v14, vcc_lo, v14, v22
	s_wait_alu 0xfffd
	v_add_co_ci_u32_e64 v15, null, v15, v23, vcc_lo
	s_delay_alu instid0(VALU_DEP_1)
	v_cmp_gt_i64_e32 vcc_lo, v[14:15], v[6:7]
	s_wait_alu 0xfffd
	v_cndmask_b32_e32 v20, v7, v15, vcc_lo
	v_cndmask_b32_e32 v14, v6, v14, vcc_lo
	v_add_co_u32 v15, vcc_lo, v18, v17
	s_wait_alu 0xfffd
	v_add_co_ci_u32_e64 v16, null, v19, v16, vcc_lo
	v_mov_b32_e32 v18, 0
	v_mov_b32_e32 v19, 0
	v_add_co_u32 v22, vcc_lo, v15, v14
	v_mov_b32_e32 v15, 0
	s_wait_alu 0xfffd
	v_add_co_ci_u32_e64 v23, null, v16, v20, vcc_lo
	s_delay_alu instid0(VALU_DEP_3) | instskip(SKIP_3) | instid1(VALU_DEP_4)
	v_and_b32_e32 v14, 12, v22
	v_mov_b32_e32 v20, 0
	v_dual_mov_b32 v21, 0 :: v_dual_mov_b32 v16, 0
	v_mov_b32_e32 v17, 0
	v_cmp_ne_u64_e32 vcc_lo, 12, v[14:15]
	v_mov_b32_e32 v14, 0
	v_mov_b32_e32 v15, 0
	s_and_saveexec_b32 s6, vcc_lo
	s_cbranch_execz .LBB160_33
; %bb.30:
	v_lshrrev_b32_e32 v14, 2, v22
	v_lshlrev_b64_e32 v[24:25], 3, v[0:1]
	v_mov_b32_e32 v16, 0
	v_mov_b32_e32 v20, 0
	;; [unrolled: 1-line block ×3, first 2 shown]
	v_add_nc_u32_e32 v26, 1, v14
	v_dual_mov_b32 v14, 0 :: v_dual_mov_b32 v17, 0
	v_mov_b32_e32 v15, 0
	v_add_co_u32 v24, vcc_lo, s8, v24
	s_delay_alu instid0(VALU_DEP_4) | instskip(SKIP_3) | instid1(VALU_DEP_3)
	v_dual_mov_b32 v21, 0 :: v_dual_and_b32 v26, 3, v26
	v_mov_b32_e32 v19, 0
	s_wait_alu 0xfffd
	v_add_co_ci_u32_e64 v25, null, s9, v25, vcc_lo
	v_sub_co_u32 v26, s2, 0, v26
	s_wait_alu 0xf1ff
	v_sub_co_ci_u32_e64 v27, null, 0, 0, s2
	s_mov_b32 s7, 0
.LBB160_31:                             ; =>This Inner Loop Header: Depth=1
	global_load_b64 v[32:33], v[24:25], off
	s_clause 0x1
	global_load_b128 v[28:31], v[12:13], off
	global_load_b128 v[35:38], v[12:13], off offset:16
	v_add_co_u32 v24, s2, v24, 32
	s_wait_alu 0xf1ff
	v_add_co_ci_u32_e64 v25, null, 0, v25, s2
	s_wait_loadcnt 0x2
	v_sub_co_u32 v32, vcc_lo, v32, v4
	s_wait_alu 0xfffd
	v_sub_co_ci_u32_e64 v33, null, v33, v5, vcc_lo
	s_wait_loadcnt 0x1
	v_cvt_f64_f32_e32 v[55:56], v30
	v_cvt_f64_f32_e32 v[30:31], v31
	s_wait_loadcnt 0x0
	v_cvt_f64_f32_e32 v[57:58], v35
	v_lshlrev_b64_e32 v[32:33], 5, v[32:33]
	v_cvt_f64_f32_e32 v[35:36], v36
	v_cvt_f64_f32_e32 v[59:60], v37
	;; [unrolled: 1-line block ×3, first 2 shown]
	s_wait_kmcnt 0x0
	s_delay_alu instid0(VALU_DEP_4)
	v_add_co_u32 v32, vcc_lo, s4, v32
	s_wait_alu 0xfffd
	v_add_co_ci_u32_e64 v33, null, s5, v33, vcc_lo
	s_clause 0x1
	global_load_b128 v[39:42], v[32:33], off
	global_load_b128 v[43:46], v[32:33], off offset:16
	s_clause 0x1
	global_load_b128 v[47:50], v[12:13], off offset:32
	global_load_b128 v[51:54], v[12:13], off offset:48
	v_cvt_f64_f32_e32 v[32:33], v28
	v_cvt_f64_f32_e32 v[28:29], v29
	v_add_co_u32 v12, vcc_lo, 0x100, v12
	s_wait_alu 0xfffd
	v_add_co_ci_u32_e64 v13, null, 0, v13, vcc_lo
	v_add_co_u32 v26, vcc_lo, v26, 1
	s_wait_alu 0xfffd
	v_add_co_ci_u32_e64 v27, null, 0, v27, vcc_lo
	;; [unrolled: 3-line block ×3, first 2 shown]
	s_delay_alu instid0(VALU_DEP_3)
	v_cmp_eq_u64_e32 vcc_lo, 0, v[26:27]
	s_wait_alu 0xfffe
	s_or_b32 s7, vcc_lo, s7
	s_wait_loadcnt 0x3
	v_fma_f64 v[18:19], v[32:33], v[39:40], v[18:19]
	v_fma_f64 v[20:21], v[28:29], v[39:40], v[20:21]
	;; [unrolled: 1-line block ×4, first 2 shown]
	s_wait_loadcnt 0x1
	v_cvt_f64_f32_e32 v[28:29], v47
	v_cvt_f64_f32_e32 v[30:31], v48
	;; [unrolled: 1-line block ×4, first 2 shown]
	s_wait_loadcnt 0x0
	v_cvt_f64_f32_e32 v[47:48], v54
	v_fma_f64 v[18:19], v[57:58], v[41:42], v[18:19]
	v_fma_f64 v[20:21], v[35:36], v[41:42], v[20:21]
	;; [unrolled: 1-line block ×4, first 2 shown]
	v_cvt_f64_f32_e32 v[35:36], v51
	v_cvt_f64_f32_e32 v[37:38], v52
	;; [unrolled: 1-line block ×3, first 2 shown]
	v_fma_f64 v[18:19], v[28:29], v[43:44], v[18:19]
	v_fma_f64 v[20:21], v[30:31], v[43:44], v[20:21]
	;; [unrolled: 1-line block ×4, first 2 shown]
	s_delay_alu instid0(VALU_DEP_4) | instskip(NEXT) | instid1(VALU_DEP_4)
	v_fma_f64 v[18:19], v[35:36], v[45:46], v[18:19]
	v_fma_f64 v[20:21], v[37:38], v[45:46], v[20:21]
	s_delay_alu instid0(VALU_DEP_4) | instskip(NEXT) | instid1(VALU_DEP_4)
	v_fma_f64 v[16:17], v[41:42], v[45:46], v[16:17]
	v_fma_f64 v[14:15], v[47:48], v[45:46], v[14:15]
	s_wait_alu 0xfffe
	s_and_not1_b32 exec_lo, exec_lo, s7
	s_cbranch_execnz .LBB160_31
; %bb.32:
	s_or_b32 exec_lo, exec_lo, s7
.LBB160_33:
	s_wait_alu 0xfffe
	s_or_b32 exec_lo, exec_lo, s6
	s_delay_alu instid0(SALU_CYCLE_1)
	s_mov_b32 s6, exec_lo
	v_cmpx_lt_u64_e32 11, v[22:23]
	s_cbranch_execz .LBB160_37
; %bb.34:
	v_lshlrev_b64_e32 v[22:23], 3, v[0:1]
	s_mov_b32 s7, 0
	s_delay_alu instid0(VALU_DEP_1) | instskip(SKIP_1) | instid1(VALU_DEP_2)
	v_add_co_u32 v22, vcc_lo, s8, v22
	s_wait_alu 0xfffd
	v_add_co_ci_u32_e64 v23, null, s9, v23, vcc_lo
	s_delay_alu instid0(VALU_DEP_2) | instskip(SKIP_1) | instid1(VALU_DEP_2)
	v_add_co_u32 v22, vcc_lo, v22, 64
	s_wait_alu 0xfffd
	v_add_co_ci_u32_e64 v23, null, 0, v23, vcc_lo
.LBB160_35:                             ; =>This Inner Loop Header: Depth=1
	s_clause 0x1
	global_load_b64 v[32:33], v[22:23], off offset:-64
	global_load_b64 v[55:56], v[22:23], off offset:-32
	global_load_b128 v[24:27], v[12:13], off
	global_load_b64 v[79:80], v[22:23], off
	global_load_b128 v[28:31], v[12:13], off offset:16
	global_load_b64 v[83:84], v[22:23], off offset:32
	v_add_co_u32 v22, s2, 0x80, v22
	s_wait_alu 0xf1ff
	v_add_co_ci_u32_e64 v23, null, 0, v23, s2
	s_wait_loadcnt 0x5
	v_sub_co_u32 v32, vcc_lo, v32, v4
	s_wait_alu 0xfffd
	v_sub_co_ci_u32_e64 v33, null, v33, v5, vcc_lo
	s_wait_loadcnt 0x3
	v_cvt_f64_f32_e32 v[85:86], v25
	v_cvt_f64_f32_e32 v[87:88], v26
	;; [unrolled: 1-line block ×3, first 2 shown]
	v_lshlrev_b64_e32 v[32:33], 5, v[32:33]
	s_wait_loadcnt 0x1
	v_cvt_f64_f32_e32 v[93:94], v28
	v_cvt_f64_f32_e32 v[28:29], v29
	;; [unrolled: 1-line block ×4, first 2 shown]
	s_wait_kmcnt 0x0
	v_add_co_u32 v32, vcc_lo, s4, v32
	s_wait_alu 0xfffd
	v_add_co_ci_u32_e64 v33, null, s5, v33, vcc_lo
	global_load_b128 v[35:38], v[32:33], off
	s_clause 0x1
	global_load_b128 v[39:42], v[12:13], off offset:32
	global_load_b128 v[43:46], v[12:13], off offset:48
	;; [unrolled: 1-line block ×4, first 2 shown]
	v_sub_co_u32 v32, vcc_lo, v55, v4
	s_wait_alu 0xfffd
	v_sub_co_ci_u32_e64 v33, null, v56, v5, vcc_lo
	s_delay_alu instid0(VALU_DEP_1) | instskip(NEXT) | instid1(VALU_DEP_1)
	v_lshlrev_b64_e32 v[32:33], 5, v[32:33]
	v_add_co_u32 v32, vcc_lo, s4, v32
	s_wait_alu 0xfffd
	s_delay_alu instid0(VALU_DEP_2)
	v_add_co_ci_u32_e64 v33, null, s5, v33, vcc_lo
	global_load_b128 v[55:58], v[12:13], off offset:272
	global_load_b128 v[59:62], v[32:33], off
	s_clause 0x1
	global_load_b128 v[63:66], v[12:13], off offset:288
	global_load_b128 v[67:70], v[12:13], off offset:304
	;; [unrolled: 1-line block ×4, first 2 shown]
	v_cvt_f64_f32_e32 v[32:33], v24
	v_sub_co_u32 v24, vcc_lo, v79, v4
	s_wait_alu 0xfffd
	v_sub_co_ci_u32_e64 v25, null, v80, v5, vcc_lo
	s_delay_alu instid0(VALU_DEP_1) | instskip(NEXT) | instid1(VALU_DEP_1)
	v_lshlrev_b64_e32 v[24:25], 5, v[24:25]
	v_add_co_u32 v91, vcc_lo, s4, v24
	s_wait_alu 0xfffd
	s_delay_alu instid0(VALU_DEP_2)
	v_add_co_ci_u32_e64 v92, null, s5, v25, vcc_lo
	global_load_b128 v[24:27], v[12:13], off offset:528
	global_load_b128 v[79:82], v[91:92], off
	s_wait_loadcnt 0xd
	v_sub_co_u32 v83, vcc_lo, v83, v4
	s_wait_alu 0xfffd
	v_sub_co_ci_u32_e64 v84, null, v84, v5, vcc_lo
	s_wait_loadcnt 0xc
	v_fma_f64 v[18:19], v[32:33], v[35:36], v[18:19]
	v_fma_f64 v[20:21], v[85:86], v[35:36], v[20:21]
	;; [unrolled: 1-line block ×4, first 2 shown]
	global_load_b128 v[14:17], v[12:13], off offset:544
	s_wait_loadcnt 0xc
	v_cvt_f64_f32_e32 v[85:86], v39
	v_cvt_f64_f32_e32 v[39:40], v40
	;; [unrolled: 1-line block ×4, first 2 shown]
	v_fma_f64 v[89:90], v[93:94], v[37:38], v[18:19]
	v_fma_f64 v[93:94], v[28:29], v[37:38], v[20:21]
	;; [unrolled: 1-line block ×4, first 2 shown]
	global_load_b128 v[18:21], v[12:13], off offset:560
	global_load_b128 v[28:31], v[91:92], off offset:16
	s_wait_loadcnt 0xd
	v_cvt_f64_f32_e32 v[91:92], v43
	v_cvt_f64_f32_e32 v[43:44], v44
	v_cvt_f64_f32_e32 v[95:96], v45
	v_cvt_f64_f32_e32 v[45:46], v46
	s_wait_loadcnt 0xc
	v_fma_f64 v[85:86], v[85:86], v[47:48], v[89:90]
	v_fma_f64 v[39:40], v[39:40], v[47:48], v[93:94]
	;; [unrolled: 1-line block ×4, first 2 shown]
	global_load_b128 v[35:38], v[12:13], off offset:768
	s_wait_loadcnt 0xc
	v_cvt_f64_f32_e32 v[47:48], v51
	v_cvt_f64_f32_e32 v[51:52], v52
	;; [unrolled: 1-line block ×4, first 2 shown]
	s_wait_loadcnt 0xb
	v_cvt_f64_f32_e32 v[93:94], v57
	v_cvt_f64_f32_e32 v[57:58], v58
	v_fma_f64 v[85:86], v[91:92], v[49:50], v[85:86]
	v_fma_f64 v[89:90], v[43:44], v[49:50], v[39:40]
	v_fma_f64 v[32:33], v[95:96], v[49:50], v[32:33]
	v_fma_f64 v[49:50], v[45:46], v[49:50], v[41:42]
	v_lshlrev_b64_e32 v[39:40], 5, v[83:84]
	v_cvt_f64_f32_e32 v[91:92], v55
	v_cvt_f64_f32_e32 v[55:56], v56
	s_delay_alu instid0(VALU_DEP_3) | instskip(SKIP_1) | instid1(VALU_DEP_4)
	v_add_co_u32 v83, vcc_lo, s4, v39
	s_wait_alu 0xfffd
	v_add_co_ci_u32_e64 v84, null, s5, v40, vcc_lo
	global_load_b128 v[39:42], v[12:13], off offset:784
	global_load_b128 v[43:46], v[83:84], off
	v_add_co_u32 v0, vcc_lo, v0, 16
	s_wait_alu 0xfffd
	v_add_co_ci_u32_e64 v1, null, 0, v1, vcc_lo
	s_wait_loadcnt 0xc
	v_fma_f64 v[85:86], v[47:48], v[59:60], v[85:86]
	v_fma_f64 v[51:52], v[51:52], v[59:60], v[89:90]
	;; [unrolled: 1-line block ×4, first 2 shown]
	global_load_b128 v[47:50], v[12:13], off offset:800
	s_wait_loadcnt 0xc
	v_cvt_f64_f32_e32 v[59:60], v63
	v_cvt_f64_f32_e32 v[63:64], v64
	;; [unrolled: 1-line block ×4, first 2 shown]
	v_fma_f64 v[85:86], v[91:92], v[61:62], v[85:86]
	v_fma_f64 v[89:90], v[55:56], v[61:62], v[51:52]
	;; [unrolled: 1-line block ×4, first 2 shown]
	global_load_b128 v[51:54], v[12:13], off offset:816
	global_load_b128 v[55:58], v[83:84], off offset:16
	s_wait_loadcnt 0xd
	v_cvt_f64_f32_e32 v[83:84], v67
	v_cvt_f64_f32_e32 v[67:68], v68
	;; [unrolled: 1-line block ×4, first 2 shown]
	v_add_co_u32 v12, vcc_lo, 0x400, v12
	s_wait_alu 0xfffd
	v_add_co_ci_u32_e64 v13, null, 0, v13, vcc_lo
	v_cmp_ge_i64_e32 vcc_lo, v[0:1], v[6:7]
	s_wait_alu 0xfffe
	s_or_b32 s7, vcc_lo, s7
	s_wait_loadcnt 0xc
	v_fma_f64 v[59:60], v[59:60], v[71:72], v[85:86]
	v_fma_f64 v[63:64], v[63:64], v[71:72], v[89:90]
	v_fma_f64 v[32:33], v[87:88], v[71:72], v[32:33]
	v_fma_f64 v[61:62], v[65:66], v[71:72], v[61:62]
	s_wait_loadcnt 0xb
	v_cvt_f64_f32_e32 v[65:66], v75
	v_cvt_f64_f32_e32 v[71:72], v76
	v_cvt_f64_f32_e32 v[75:76], v77
	v_cvt_f64_f32_e32 v[77:78], v78
	v_fma_f64 v[59:60], v[83:84], v[73:74], v[59:60]
	v_fma_f64 v[63:64], v[67:68], v[73:74], v[63:64]
	v_fma_f64 v[32:33], v[91:92], v[73:74], v[32:33]
	v_fma_f64 v[61:62], v[69:70], v[73:74], v[61:62]
	s_wait_loadcnt 0xa
	v_cvt_f64_f32_e32 v[67:68], v24
	v_cvt_f64_f32_e32 v[24:25], v25
	v_cvt_f64_f32_e32 v[69:70], v26
	v_cvt_f64_f32_e32 v[26:27], v27
	s_wait_loadcnt 0x9
	v_fma_f64 v[59:60], v[65:66], v[79:80], v[59:60]
	v_fma_f64 v[63:64], v[71:72], v[79:80], v[63:64]
	v_fma_f64 v[32:33], v[75:76], v[79:80], v[32:33]
	v_fma_f64 v[61:62], v[77:78], v[79:80], v[61:62]
	s_wait_loadcnt 0x8
	v_cvt_f64_f32_e32 v[65:66], v14
	v_cvt_f64_f32_e32 v[14:15], v15
	v_cvt_f64_f32_e32 v[71:72], v16
	v_cvt_f64_f32_e32 v[16:17], v17
	v_fma_f64 v[59:60], v[67:68], v[81:82], v[59:60]
	v_fma_f64 v[24:25], v[24:25], v[81:82], v[63:64]
	v_fma_f64 v[32:33], v[69:70], v[81:82], v[32:33]
	v_fma_f64 v[26:27], v[26:27], v[81:82], v[61:62]
	s_wait_loadcnt 0x7
	v_cvt_f64_f32_e32 v[61:62], v18
	v_cvt_f64_f32_e32 v[18:19], v19
	v_cvt_f64_f32_e32 v[63:64], v20
	v_cvt_f64_f32_e32 v[20:21], v21
	;; [unrolled: 19-line block ×4, first 2 shown]
	s_wait_loadcnt 0x0
	v_fma_f64 v[20:21], v[28:29], v[55:56], v[20:21]
	v_fma_f64 v[14:15], v[32:33], v[55:56], v[14:15]
	;; [unrolled: 1-line block ×4, first 2 shown]
	s_delay_alu instid0(VALU_DEP_4) | instskip(NEXT) | instid1(VALU_DEP_4)
	v_fma_f64 v[18:19], v[24:25], v[57:58], v[20:21]
	v_fma_f64 v[20:21], v[26:27], v[57:58], v[14:15]
	s_delay_alu instid0(VALU_DEP_4) | instskip(NEXT) | instid1(VALU_DEP_4)
	v_fma_f64 v[16:17], v[30:31], v[57:58], v[28:29]
	v_fma_f64 v[14:15], v[39:40], v[57:58], v[32:33]
	s_wait_alu 0xfffe
	s_and_not1_b32 exec_lo, exec_lo, s7
	s_cbranch_execnz .LBB160_35
; %bb.36:
	s_or_b32 exec_lo, exec_lo, s7
.LBB160_37:
	s_wait_alu 0xfffe
	s_or_b32 exec_lo, exec_lo, s6
.LBB160_38:
	s_wait_alu 0xfffe
	s_or_b32 exec_lo, exec_lo, s3
.LBB160_39:
	v_mbcnt_lo_u32_b32 v26, -1, 0
	s_delay_alu instid0(VALU_DEP_1) | instskip(NEXT) | instid1(VALU_DEP_1)
	v_xor_b32_e32 v0, 2, v26
	v_cmp_gt_i32_e32 vcc_lo, 32, v0
	s_wait_alu 0xfffd
	v_cndmask_b32_e32 v0, v26, v0, vcc_lo
	s_delay_alu instid0(VALU_DEP_1)
	v_lshlrev_b32_e32 v6, 2, v0
	ds_bpermute_b32 v0, v6, v18
	ds_bpermute_b32 v1, v6, v19
	;; [unrolled: 1-line block ×8, first 2 shown]
	s_wait_dscnt 0x6
	v_add_f64_e32 v[12:13], v[18:19], v[0:1]
	s_wait_dscnt 0x4
	v_add_f64_e32 v[6:7], v[20:21], v[4:5]
	;; [unrolled: 2-line block ×4, first 2 shown]
	v_xor_b32_e32 v14, 1, v26
	s_delay_alu instid0(VALU_DEP_1) | instskip(SKIP_3) | instid1(VALU_DEP_2)
	v_cmp_gt_i32_e32 vcc_lo, 32, v14
	s_wait_alu 0xfffd
	v_cndmask_b32_e32 v14, v26, v14, vcc_lo
	v_cmp_eq_u32_e32 vcc_lo, 3, v34
	v_lshlrev_b32_e32 v15, 2, v14
	ds_bpermute_b32 v20, v15, v12
	ds_bpermute_b32 v21, v15, v13
	;; [unrolled: 1-line block ×8, first 2 shown]
	s_and_b32 exec_lo, exec_lo, vcc_lo
	s_cbranch_execz .LBB160_10
; %bb.40:
	s_wait_dscnt 0x6
	v_add_f64_e32 v[12:13], v[12:13], v[20:21]
	s_wait_dscnt 0x4
	v_add_f64_e32 v[6:7], v[6:7], v[18:19]
	;; [unrolled: 2-line block ×4, first 2 shown]
	s_load_b64 s[0:1], s[0:1], 0x58
	v_lshlrev_b64_e32 v[10:11], 5, v[10:11]
	s_mov_b32 s2, exec_lo
	v_mul_f64_e32 v[4:5], v[2:3], v[12:13]
	v_mul_f64_e32 v[6:7], v[2:3], v[6:7]
	;; [unrolled: 1-line block ×4, first 2 shown]
	v_cmpx_eq_f64_e32 0, v[8:9]
	s_wait_alu 0xfffe
	s_xor_b32 s2, exec_lo, s2
	s_cbranch_execz .LBB160_42
; %bb.41:
	s_wait_kmcnt 0x0
	v_add_co_u32 v8, vcc_lo, s0, v10
	s_wait_alu 0xfffd
	v_add_co_ci_u32_e64 v9, null, s1, v11, vcc_lo
                                        ; implicit-def: $vgpr10_vgpr11
	s_clause 0x1
	global_store_b128 v[8:9], v[4:7], off
	global_store_b128 v[8:9], v[0:3], off offset:16
                                        ; implicit-def: $vgpr8_vgpr9
                                        ; implicit-def: $vgpr4_vgpr5
                                        ; implicit-def: $vgpr0_vgpr1
.LBB160_42:
	s_wait_alu 0xfffe
	s_and_not1_saveexec_b32 s2, s2
	s_cbranch_execz .LBB160_10
; %bb.43:
	s_wait_kmcnt 0x0
	v_add_co_u32 v18, vcc_lo, s0, v10
	s_wait_alu 0xfffd
	v_add_co_ci_u32_e64 v19, null, s1, v11, vcc_lo
	s_clause 0x1
	global_load_b128 v[10:13], v[18:19], off
	global_load_b128 v[14:17], v[18:19], off offset:16
	s_wait_loadcnt 0x1
	v_fma_f64 v[4:5], v[8:9], v[10:11], v[4:5]
	v_fma_f64 v[6:7], v[8:9], v[12:13], v[6:7]
	s_wait_loadcnt 0x0
	v_fma_f64 v[0:1], v[8:9], v[14:15], v[0:1]
	v_fma_f64 v[2:3], v[8:9], v[16:17], v[2:3]
	s_clause 0x1
	global_store_b128 v[18:19], v[4:7], off
	global_store_b128 v[18:19], v[0:3], off offset:16
	s_nop 0
	s_sendmsg sendmsg(MSG_DEALLOC_VGPRS)
	s_endpgm
	.section	.rodata,"a",@progbits
	.p2align	6, 0x0
	.amdhsa_kernel _ZN9rocsparseL18bsrxmvn_4x4_kernelILj128ELj4EdllfddEEvT3_20rocsparse_direction_NS_24const_host_device_scalarIT1_EES1_PKS1_PKT2_SA_S7_PKT4_PKT5_S5_PT6_21rocsparse_index_base_b
		.amdhsa_group_segment_fixed_size 0
		.amdhsa_private_segment_fixed_size 0
		.amdhsa_kernarg_size 104
		.amdhsa_user_sgpr_count 2
		.amdhsa_user_sgpr_dispatch_ptr 0
		.amdhsa_user_sgpr_queue_ptr 0
		.amdhsa_user_sgpr_kernarg_segment_ptr 1
		.amdhsa_user_sgpr_dispatch_id 0
		.amdhsa_user_sgpr_private_segment_size 0
		.amdhsa_wavefront_size32 1
		.amdhsa_uses_dynamic_stack 0
		.amdhsa_enable_private_segment 0
		.amdhsa_system_sgpr_workgroup_id_x 1
		.amdhsa_system_sgpr_workgroup_id_y 0
		.amdhsa_system_sgpr_workgroup_id_z 0
		.amdhsa_system_sgpr_workgroup_info 0
		.amdhsa_system_vgpr_workitem_id 0
		.amdhsa_next_free_vgpr 115
		.amdhsa_next_free_sgpr 12
		.amdhsa_reserve_vcc 1
		.amdhsa_float_round_mode_32 0
		.amdhsa_float_round_mode_16_64 0
		.amdhsa_float_denorm_mode_32 3
		.amdhsa_float_denorm_mode_16_64 3
		.amdhsa_fp16_overflow 0
		.amdhsa_workgroup_processor_mode 1
		.amdhsa_memory_ordered 1
		.amdhsa_forward_progress 1
		.amdhsa_inst_pref_size 48
		.amdhsa_round_robin_scheduling 0
		.amdhsa_exception_fp_ieee_invalid_op 0
		.amdhsa_exception_fp_denorm_src 0
		.amdhsa_exception_fp_ieee_div_zero 0
		.amdhsa_exception_fp_ieee_overflow 0
		.amdhsa_exception_fp_ieee_underflow 0
		.amdhsa_exception_fp_ieee_inexact 0
		.amdhsa_exception_int_div_zero 0
	.end_amdhsa_kernel
	.section	.text._ZN9rocsparseL18bsrxmvn_4x4_kernelILj128ELj4EdllfddEEvT3_20rocsparse_direction_NS_24const_host_device_scalarIT1_EES1_PKS1_PKT2_SA_S7_PKT4_PKT5_S5_PT6_21rocsparse_index_base_b,"axG",@progbits,_ZN9rocsparseL18bsrxmvn_4x4_kernelILj128ELj4EdllfddEEvT3_20rocsparse_direction_NS_24const_host_device_scalarIT1_EES1_PKS1_PKT2_SA_S7_PKT4_PKT5_S5_PT6_21rocsparse_index_base_b,comdat
.Lfunc_end160:
	.size	_ZN9rocsparseL18bsrxmvn_4x4_kernelILj128ELj4EdllfddEEvT3_20rocsparse_direction_NS_24const_host_device_scalarIT1_EES1_PKS1_PKT2_SA_S7_PKT4_PKT5_S5_PT6_21rocsparse_index_base_b, .Lfunc_end160-_ZN9rocsparseL18bsrxmvn_4x4_kernelILj128ELj4EdllfddEEvT3_20rocsparse_direction_NS_24const_host_device_scalarIT1_EES1_PKS1_PKT2_SA_S7_PKT4_PKT5_S5_PT6_21rocsparse_index_base_b
                                        ; -- End function
	.set _ZN9rocsparseL18bsrxmvn_4x4_kernelILj128ELj4EdllfddEEvT3_20rocsparse_direction_NS_24const_host_device_scalarIT1_EES1_PKS1_PKT2_SA_S7_PKT4_PKT5_S5_PT6_21rocsparse_index_base_b.num_vgpr, 115
	.set _ZN9rocsparseL18bsrxmvn_4x4_kernelILj128ELj4EdllfddEEvT3_20rocsparse_direction_NS_24const_host_device_scalarIT1_EES1_PKS1_PKT2_SA_S7_PKT4_PKT5_S5_PT6_21rocsparse_index_base_b.num_agpr, 0
	.set _ZN9rocsparseL18bsrxmvn_4x4_kernelILj128ELj4EdllfddEEvT3_20rocsparse_direction_NS_24const_host_device_scalarIT1_EES1_PKS1_PKT2_SA_S7_PKT4_PKT5_S5_PT6_21rocsparse_index_base_b.numbered_sgpr, 12
	.set _ZN9rocsparseL18bsrxmvn_4x4_kernelILj128ELj4EdllfddEEvT3_20rocsparse_direction_NS_24const_host_device_scalarIT1_EES1_PKS1_PKT2_SA_S7_PKT4_PKT5_S5_PT6_21rocsparse_index_base_b.num_named_barrier, 0
	.set _ZN9rocsparseL18bsrxmvn_4x4_kernelILj128ELj4EdllfddEEvT3_20rocsparse_direction_NS_24const_host_device_scalarIT1_EES1_PKS1_PKT2_SA_S7_PKT4_PKT5_S5_PT6_21rocsparse_index_base_b.private_seg_size, 0
	.set _ZN9rocsparseL18bsrxmvn_4x4_kernelILj128ELj4EdllfddEEvT3_20rocsparse_direction_NS_24const_host_device_scalarIT1_EES1_PKS1_PKT2_SA_S7_PKT4_PKT5_S5_PT6_21rocsparse_index_base_b.uses_vcc, 1
	.set _ZN9rocsparseL18bsrxmvn_4x4_kernelILj128ELj4EdllfddEEvT3_20rocsparse_direction_NS_24const_host_device_scalarIT1_EES1_PKS1_PKT2_SA_S7_PKT4_PKT5_S5_PT6_21rocsparse_index_base_b.uses_flat_scratch, 0
	.set _ZN9rocsparseL18bsrxmvn_4x4_kernelILj128ELj4EdllfddEEvT3_20rocsparse_direction_NS_24const_host_device_scalarIT1_EES1_PKS1_PKT2_SA_S7_PKT4_PKT5_S5_PT6_21rocsparse_index_base_b.has_dyn_sized_stack, 0
	.set _ZN9rocsparseL18bsrxmvn_4x4_kernelILj128ELj4EdllfddEEvT3_20rocsparse_direction_NS_24const_host_device_scalarIT1_EES1_PKS1_PKT2_SA_S7_PKT4_PKT5_S5_PT6_21rocsparse_index_base_b.has_recursion, 0
	.set _ZN9rocsparseL18bsrxmvn_4x4_kernelILj128ELj4EdllfddEEvT3_20rocsparse_direction_NS_24const_host_device_scalarIT1_EES1_PKS1_PKT2_SA_S7_PKT4_PKT5_S5_PT6_21rocsparse_index_base_b.has_indirect_call, 0
	.section	.AMDGPU.csdata,"",@progbits
; Kernel info:
; codeLenInByte = 6100
; TotalNumSgprs: 14
; NumVgprs: 115
; ScratchSize: 0
; MemoryBound: 0
; FloatMode: 240
; IeeeMode: 1
; LDSByteSize: 0 bytes/workgroup (compile time only)
; SGPRBlocks: 0
; VGPRBlocks: 14
; NumSGPRsForWavesPerEU: 14
; NumVGPRsForWavesPerEU: 115
; Occupancy: 12
; WaveLimiterHint : 1
; COMPUTE_PGM_RSRC2:SCRATCH_EN: 0
; COMPUTE_PGM_RSRC2:USER_SGPR: 2
; COMPUTE_PGM_RSRC2:TRAP_HANDLER: 0
; COMPUTE_PGM_RSRC2:TGID_X_EN: 1
; COMPUTE_PGM_RSRC2:TGID_Y_EN: 0
; COMPUTE_PGM_RSRC2:TGID_Z_EN: 0
; COMPUTE_PGM_RSRC2:TIDIG_COMP_CNT: 0
	.section	.text._ZN9rocsparseL18bsrxmvn_4x4_kernelILj128ELj8EdllfddEEvT3_20rocsparse_direction_NS_24const_host_device_scalarIT1_EES1_PKS1_PKT2_SA_S7_PKT4_PKT5_S5_PT6_21rocsparse_index_base_b,"axG",@progbits,_ZN9rocsparseL18bsrxmvn_4x4_kernelILj128ELj8EdllfddEEvT3_20rocsparse_direction_NS_24const_host_device_scalarIT1_EES1_PKS1_PKT2_SA_S7_PKT4_PKT5_S5_PT6_21rocsparse_index_base_b,comdat
	.globl	_ZN9rocsparseL18bsrxmvn_4x4_kernelILj128ELj8EdllfddEEvT3_20rocsparse_direction_NS_24const_host_device_scalarIT1_EES1_PKS1_PKT2_SA_S7_PKT4_PKT5_S5_PT6_21rocsparse_index_base_b ; -- Begin function _ZN9rocsparseL18bsrxmvn_4x4_kernelILj128ELj8EdllfddEEvT3_20rocsparse_direction_NS_24const_host_device_scalarIT1_EES1_PKS1_PKT2_SA_S7_PKT4_PKT5_S5_PT6_21rocsparse_index_base_b
	.p2align	8
	.type	_ZN9rocsparseL18bsrxmvn_4x4_kernelILj128ELj8EdllfddEEvT3_20rocsparse_direction_NS_24const_host_device_scalarIT1_EES1_PKS1_PKT2_SA_S7_PKT4_PKT5_S5_PT6_21rocsparse_index_base_b,@function
_ZN9rocsparseL18bsrxmvn_4x4_kernelILj128ELj8EdllfddEEvT3_20rocsparse_direction_NS_24const_host_device_scalarIT1_EES1_PKS1_PKT2_SA_S7_PKT4_PKT5_S5_PT6_21rocsparse_index_base_b: ; @_ZN9rocsparseL18bsrxmvn_4x4_kernelILj128ELj8EdllfddEEvT3_20rocsparse_direction_NS_24const_host_device_scalarIT1_EES1_PKS1_PKT2_SA_S7_PKT4_PKT5_S5_PT6_21rocsparse_index_base_b
; %bb.0:
	s_clause 0x2
	s_load_b64 s[8:9], s[0:1], 0x60
	s_load_b128 s[4:7], s[0:1], 0x10
	s_load_b64 s[2:3], s[0:1], 0x50
	s_wait_kmcnt 0x0
	s_bitcmp1_b32 s9, 0
	v_dual_mov_b32 v2, s4 :: v_dual_mov_b32 v3, s5
	s_cselect_b32 s9, -1, 0
	s_delay_alu instid0(SALU_CYCLE_1)
	s_and_b32 vcc_lo, exec_lo, s9
	s_xor_b32 s9, s9, -1
	s_cbranch_vccnz .LBB161_2
; %bb.1:
	v_dual_mov_b32 v1, s4 :: v_dual_mov_b32 v2, s5
	flat_load_b64 v[2:3], v[1:2]
.LBB161_2:
	v_dual_mov_b32 v9, s3 :: v_dual_mov_b32 v8, s2
	s_and_not1_b32 vcc_lo, exec_lo, s9
	s_cbranch_vccnz .LBB161_4
; %bb.3:
	v_dual_mov_b32 v5, s3 :: v_dual_mov_b32 v4, s2
	flat_load_b64 v[8:9], v[4:5]
.LBB161_4:
	s_wait_loadcnt_dscnt 0x0
	v_cmp_neq_f64_e32 vcc_lo, 0, v[2:3]
	v_cmp_neq_f64_e64 s2, 1.0, v[8:9]
	s_or_b32 s2, vcc_lo, s2
	s_wait_alu 0xfffe
	s_and_saveexec_b32 s3, s2
	s_cbranch_execz .LBB161_10
; %bb.5:
	s_load_b64 s[2:3], s[0:1], 0x20
	v_lshrrev_b32_e32 v1, 3, v0
	v_mov_b32_e32 v7, 0
	s_delay_alu instid0(VALU_DEP_2)
	v_lshl_or_b32 v6, ttmp9, 4, v1
	s_wait_kmcnt 0x0
	s_cmp_lg_u64 s[2:3], 0
	s_cbranch_scc0 .LBB161_11
; %bb.6:
	s_delay_alu instid0(VALU_DEP_1)
	v_cmp_gt_i64_e32 vcc_lo, s[6:7], v[6:7]
	s_mov_b32 s5, 0
	s_mov_b32 s4, 0
                                        ; implicit-def: $vgpr10_vgpr11
                                        ; implicit-def: $vgpr4_vgpr5
	s_and_saveexec_b32 s6, vcc_lo
	s_wait_alu 0xfffe
	s_xor_b32 s6, exec_lo, s6
	s_cbranch_execz .LBB161_8
; %bb.7:
	v_lshlrev_b64_e32 v[4:5], 3, v[6:7]
	s_mov_b32 s9, 0
	s_mov_b32 s4, exec_lo
	s_delay_alu instid0(VALU_DEP_1) | instskip(NEXT) | instid1(VALU_DEP_1)
	v_add_co_u32 v4, vcc_lo, s2, v4
	v_add_co_ci_u32_e64 v5, null, s3, v5, vcc_lo
	global_load_b64 v[4:5], v[4:5], off
	s_wait_loadcnt 0x0
	v_sub_co_u32 v10, vcc_lo, v4, s8
	s_wait_alu 0xfffd
	v_subrev_co_ci_u32_e64 v11, null, 0, v5, vcc_lo
	v_dual_mov_b32 v4, s8 :: v_dual_mov_b32 v5, s9
.LBB161_8:
	s_wait_alu 0xfffe
	s_or_b32 exec_lo, exec_lo, s6
	s_delay_alu instid0(SALU_CYCLE_1)
	s_and_b32 vcc_lo, exec_lo, s5
	s_wait_alu 0xfffe
	s_cbranch_vccnz .LBB161_12
.LBB161_9:
	s_wait_alu 0xfffe
	s_and_b32 exec_lo, exec_lo, s4
	s_cbranch_execnz .LBB161_15
.LBB161_10:
	s_nop 0
	s_sendmsg sendmsg(MSG_DEALLOC_VGPRS)
	s_endpgm
.LBB161_11:
	s_mov_b32 s4, 0
                                        ; implicit-def: $vgpr10_vgpr11
                                        ; implicit-def: $vgpr4_vgpr5
	s_cbranch_execz .LBB161_9
.LBB161_12:
	s_load_b64 s[2:3], s[0:1], 0x0
	s_wait_kmcnt 0x0
	v_cmp_gt_i64_e32 vcc_lo, s[2:3], v[6:7]
	s_and_saveexec_b32 s2, vcc_lo
; %bb.13:
	s_mov_b32 s9, 0
	s_or_b32 s4, s4, exec_lo
; %bb.14:
	s_wait_alu 0xfffe
	s_or_b32 exec_lo, exec_lo, s2
	v_dual_mov_b32 v4, s8 :: v_dual_mov_b32 v5, s9
	v_dual_mov_b32 v11, v7 :: v_dual_mov_b32 v10, v6
	s_and_b32 exec_lo, exec_lo, s4
	s_cbranch_execz .LBB161_10
.LBB161_15:
	s_load_b256 s[4:11], s[0:1], 0x28
	s_delay_alu instid0(VALU_DEP_1) | instskip(SKIP_3) | instid1(VALU_DEP_2)
	v_lshlrev_b64_e32 v[6:7], 3, v[10:11]
	v_and_b32_e32 v34, 7, v0
	s_load_b32 s3, s[0:1], 0x8
	s_wait_kmcnt 0x0
	v_add_co_u32 v12, vcc_lo, s4, v6
	s_wait_alu 0xfffd
	v_add_co_ci_u32_e64 v13, null, s5, v7, vcc_lo
	v_add_co_u32 v1, vcc_lo, s6, v6
	s_wait_alu 0xfffd
	v_add_co_ci_u32_e64 v6, null, s7, v7, vcc_lo
	v_add_co_u32 v14, vcc_lo, v12, 8
	global_load_b64 v[22:23], v[12:13], off
	s_wait_alu 0xfffd
	v_add_co_ci_u32_e64 v7, null, 0, v13, vcc_lo
	s_cmp_eq_u64 s[6:7], 0
	s_load_b64 s[4:5], s[0:1], 0x48
	s_cselect_b32 vcc_lo, -1, 0
	s_cmp_eq_u32 s3, 1
	s_wait_alu 0xfffe
	v_dual_cndmask_b32 v7, v6, v7 :: v_dual_cndmask_b32 v6, v1, v14
	global_load_b64 v[6:7], v[6:7], off
	s_wait_loadcnt 0x1
	v_sub_co_u32 v0, vcc_lo, v22, v4
	s_wait_alu 0xfffd
	v_sub_co_ci_u32_e64 v1, null, v23, v5, vcc_lo
	s_delay_alu instid0(VALU_DEP_2) | instskip(SKIP_1) | instid1(VALU_DEP_2)
	v_add_co_u32 v0, vcc_lo, v0, v34
	s_wait_alu 0xfffd
	v_add_co_ci_u32_e64 v1, null, 0, v1, vcc_lo
	s_delay_alu instid0(VALU_DEP_1) | instskip(SKIP_4) | instid1(VALU_DEP_3)
	v_lshlrev_b64_e32 v[12:13], 6, v[0:1]
	s_wait_loadcnt 0x0
	v_sub_co_u32 v6, vcc_lo, v6, v4
	s_wait_alu 0xfffd
	v_sub_co_ci_u32_e64 v7, null, v7, v5, vcc_lo
	v_add_co_u32 v12, vcc_lo, s10, v12
	s_delay_alu instid0(VALU_DEP_2)
	v_cmp_lt_i64_e64 s2, v[0:1], v[6:7]
	s_wait_alu 0xfffd
	v_add_co_ci_u32_e64 v13, null, s11, v13, vcc_lo
	s_cbranch_scc1 .LBB161_27
; %bb.16:
	v_mov_b32_e32 v14, 0
	v_dual_mov_b32 v20, 0 :: v_dual_mov_b32 v15, 0
	v_dual_mov_b32 v16, 0 :: v_dual_mov_b32 v21, 0
	;; [unrolled: 1-line block ×3, first 2 shown]
	v_mov_b32_e32 v19, 0
	s_and_saveexec_b32 s6, s2
	s_cbranch_execz .LBB161_26
; %bb.17:
	v_or_b32_e32 v14, 8, v34
	v_not_b32_e32 v17, v22
	v_sub_co_u32 v18, s3, v4, v34
	v_not_b32_e32 v16, v23
	s_delay_alu instid0(VALU_DEP_4)
	v_sub_co_u32 v14, vcc_lo, v14, v4
	s_wait_alu 0xfffd
	v_sub_co_ci_u32_e64 v15, null, 0, v5, vcc_lo
	s_wait_alu 0xf1ff
	v_subrev_co_ci_u32_e64 v19, null, 0, v5, s3
	v_add_co_u32 v14, vcc_lo, v14, v22
	s_wait_alu 0xfffd
	v_add_co_ci_u32_e64 v15, null, v15, v23, vcc_lo
	v_dual_mov_b32 v27, v1 :: v_dual_mov_b32 v26, v0
	v_mov_b32_e32 v20, 0
	s_delay_alu instid0(VALU_DEP_3)
	v_cmp_gt_i64_e32 vcc_lo, v[14:15], v[6:7]
	v_mov_b32_e32 v21, 0
	s_wait_alu 0xfffd
	v_dual_cndmask_b32 v15, v7, v15 :: v_dual_cndmask_b32 v14, v6, v14
	v_add_co_u32 v17, vcc_lo, v18, v17
	s_wait_alu 0xfffd
	v_add_co_ci_u32_e64 v16, null, v19, v16, vcc_lo
	v_mov_b32_e32 v18, 0
	s_delay_alu instid0(VALU_DEP_3) | instskip(SKIP_3) | instid1(VALU_DEP_3)
	v_add_co_u32 v28, vcc_lo, v17, v14
	v_mov_b32_e32 v25, 0
	s_wait_alu 0xfffd
	v_add_co_ci_u32_e64 v29, null, v16, v15, vcc_lo
	v_and_b32_e32 v24, 24, v28
	v_dual_mov_b32 v16, 0 :: v_dual_mov_b32 v19, 0
	v_dual_mov_b32 v17, 0 :: v_dual_mov_b32 v14, 0
	s_delay_alu instid0(VALU_DEP_3)
	v_cmp_ne_u64_e32 vcc_lo, 24, v[24:25]
	v_mov_b32_e32 v15, 0
	v_dual_mov_b32 v25, v13 :: v_dual_mov_b32 v24, v12
	s_and_saveexec_b32 s7, vcc_lo
	s_cbranch_execz .LBB161_21
; %bb.18:
	v_lshrrev_b32_e32 v14, 3, v28
	v_lshlrev_b64_e32 v[18:19], 3, v[0:1]
	v_mov_b32_e32 v16, 0
	v_mov_b32_e32 v20, 0
	s_delay_alu instid0(VALU_DEP_4) | instskip(SKIP_3) | instid1(VALU_DEP_4)
	v_dual_mov_b32 v21, 0 :: v_dual_add_nc_u32 v26, 1, v14
	v_dual_mov_b32 v14, 0 :: v_dual_mov_b32 v25, v13
	v_mov_b32_e32 v15, 0
	v_add_co_u32 v30, vcc_lo, s8, v18
	v_and_b32_e32 v26, 3, v26
	s_wait_alu 0xfffd
	v_add_co_ci_u32_e64 v31, null, s9, v19, vcc_lo
	v_mov_b32_e32 v18, 0
	v_dual_mov_b32 v24, v12 :: v_dual_mov_b32 v17, 0
	v_sub_co_u32 v32, s3, 0, v26
	v_mov_b32_e32 v27, v1
	s_wait_alu 0xf1ff
	v_sub_co_ci_u32_e64 v33, null, 0, 0, s3
	v_dual_mov_b32 v19, 0 :: v_dual_mov_b32 v26, v0
	s_mov_b32 s10, 0
.LBB161_19:                             ; =>This Inner Loop Header: Depth=1
	global_load_b64 v[51:52], v[30:31], off
	s_clause 0x3
	global_load_b128 v[35:38], v[24:25], off
	global_load_b128 v[39:42], v[24:25], off offset:16
	global_load_b128 v[43:46], v[24:25], off offset:32
	;; [unrolled: 1-line block ×3, first 2 shown]
	v_add_co_u32 v30, s3, v30, 64
	s_wait_alu 0xf1ff
	v_add_co_ci_u32_e64 v31, null, 0, v31, s3
	s_wait_loadcnt 0x4
	v_sub_co_u32 v51, vcc_lo, v51, v4
	s_wait_alu 0xfffd
	v_sub_co_ci_u32_e64 v52, null, v52, v5, vcc_lo
	s_wait_loadcnt 0x3
	v_cvt_f64_f32_e32 v[59:60], v35
	s_wait_loadcnt 0x2
	v_cvt_f64_f32_e32 v[61:62], v39
	;; [unrolled: 2-line block ×3, first 2 shown]
	v_lshlrev_b64_e32 v[51:52], 5, v[51:52]
	s_wait_loadcnt 0x0
	v_cvt_f64_f32_e32 v[65:66], v47
	v_cvt_f64_f32_e32 v[35:36], v36
	;; [unrolled: 1-line block ×5, first 2 shown]
	s_wait_kmcnt 0x0
	v_add_co_u32 v55, vcc_lo, s4, v51
	s_wait_alu 0xfffd
	v_add_co_ci_u32_e64 v56, null, s5, v52, vcc_lo
	v_add_co_u32 v24, vcc_lo, 0x200, v24
	s_wait_alu 0xfffd
	v_add_co_ci_u32_e64 v25, null, 0, v25, vcc_lo
	s_clause 0x1
	global_load_b128 v[51:54], v[55:56], off
	global_load_b128 v[55:58], v[55:56], off offset:16
	v_add_co_u32 v32, vcc_lo, v32, 1
	s_wait_alu 0xfffd
	v_add_co_ci_u32_e64 v33, null, 0, v33, vcc_lo
	v_add_co_u32 v26, vcc_lo, v26, 8
	s_wait_alu 0xfffd
	v_add_co_ci_u32_e64 v27, null, 0, v27, vcc_lo
	s_delay_alu instid0(VALU_DEP_3)
	v_cmp_eq_u64_e32 vcc_lo, 0, v[32:33]
	s_wait_alu 0xfffe
	s_or_b32 s10, vcc_lo, s10
	s_wait_loadcnt 0x1
	v_fma_f64 v[18:19], v[59:60], v[51:52], v[18:19]
	v_fma_f64 v[20:21], v[61:62], v[51:52], v[20:21]
	;; [unrolled: 1-line block ×4, first 2 shown]
	v_cvt_f64_f32_e32 v[51:52], v37
	v_cvt_f64_f32_e32 v[59:60], v41
	v_cvt_f64_f32_e32 v[61:62], v45
	v_cvt_f64_f32_e32 v[63:64], v49
	v_fma_f64 v[18:19], v[35:36], v[53:54], v[18:19]
	v_fma_f64 v[20:21], v[39:40], v[53:54], v[20:21]
	v_fma_f64 v[16:17], v[43:44], v[53:54], v[16:17]
	v_fma_f64 v[14:15], v[47:48], v[53:54], v[14:15]
	v_cvt_f64_f32_e32 v[35:36], v38
	v_cvt_f64_f32_e32 v[37:38], v42
	;; [unrolled: 1-line block ×4, first 2 shown]
	s_wait_loadcnt 0x0
	v_fma_f64 v[18:19], v[51:52], v[55:56], v[18:19]
	v_fma_f64 v[20:21], v[59:60], v[55:56], v[20:21]
	;; [unrolled: 1-line block ×4, first 2 shown]
	s_delay_alu instid0(VALU_DEP_4) | instskip(NEXT) | instid1(VALU_DEP_4)
	v_fma_f64 v[18:19], v[35:36], v[57:58], v[18:19]
	v_fma_f64 v[20:21], v[37:38], v[57:58], v[20:21]
	s_delay_alu instid0(VALU_DEP_4) | instskip(NEXT) | instid1(VALU_DEP_4)
	v_fma_f64 v[16:17], v[39:40], v[57:58], v[16:17]
	v_fma_f64 v[14:15], v[41:42], v[57:58], v[14:15]
	s_wait_alu 0xfffe
	s_and_not1_b32 exec_lo, exec_lo, s10
	s_cbranch_execnz .LBB161_19
; %bb.20:
	s_or_b32 exec_lo, exec_lo, s10
.LBB161_21:
	s_wait_alu 0xfffe
	s_or_b32 exec_lo, exec_lo, s7
	s_delay_alu instid0(SALU_CYCLE_1)
	s_mov_b32 s7, exec_lo
	v_cmpx_lt_u64_e32 23, v[28:29]
	s_cbranch_execz .LBB161_25
; %bb.22:
	v_lshlrev_b64_e32 v[28:29], 3, v[26:27]
	s_mov_b32 s10, 0
	s_delay_alu instid0(VALU_DEP_1) | instskip(SKIP_1) | instid1(VALU_DEP_2)
	v_add_co_u32 v28, vcc_lo, s8, v28
	s_wait_alu 0xfffd
	v_add_co_ci_u32_e64 v29, null, s9, v29, vcc_lo
	s_delay_alu instid0(VALU_DEP_2) | instskip(SKIP_1) | instid1(VALU_DEP_2)
	v_add_co_u32 v28, vcc_lo, 0x80, v28
	s_wait_alu 0xfffd
	v_add_co_ci_u32_e64 v29, null, 0, v29, vcc_lo
.LBB161_23:                             ; =>This Inner Loop Header: Depth=1
	s_clause 0x1
	global_load_b64 v[47:48], v[28:29], off offset:-128
	global_load_b64 v[71:72], v[28:29], off offset:-64
	s_clause 0x3
	global_load_b128 v[30:33], v[24:25], off
	global_load_b128 v[35:38], v[24:25], off offset:16
	global_load_b128 v[39:42], v[24:25], off offset:32
	;; [unrolled: 1-line block ×3, first 2 shown]
	s_clause 0x1
	global_load_b64 v[95:96], v[28:29], off
	global_load_b64 v[99:100], v[28:29], off offset:64
	v_add_co_u32 v28, s3, 0x100, v28
	s_wait_alu 0xf1ff
	v_add_co_ci_u32_e64 v29, null, 0, v29, s3
	s_wait_loadcnt 0x7
	v_sub_co_u32 v47, vcc_lo, v47, v4
	s_wait_alu 0xfffd
	v_sub_co_ci_u32_e64 v48, null, v48, v5, vcc_lo
	s_wait_loadcnt 0x5
	v_cvt_f64_f32_e32 v[101:102], v30
	s_wait_loadcnt 0x4
	v_cvt_f64_f32_e32 v[103:104], v35
	;; [unrolled: 2-line block ×3, first 2 shown]
	v_lshlrev_b64_e32 v[47:48], 5, v[47:48]
	s_wait_loadcnt 0x2
	v_cvt_f64_f32_e32 v[107:108], v43
	v_cvt_f64_f32_e32 v[30:31], v31
	;; [unrolled: 1-line block ×5, first 2 shown]
	s_wait_kmcnt 0x0
	v_add_co_u32 v51, vcc_lo, s4, v47
	s_wait_alu 0xfffd
	v_add_co_ci_u32_e64 v52, null, s5, v48, vcc_lo
	v_sub_co_u32 v71, vcc_lo, v71, v4
	s_wait_alu 0xfffd
	v_sub_co_ci_u32_e64 v72, null, v72, v5, vcc_lo
	s_clause 0x1
	global_load_b128 v[47:50], v[51:52], off
	global_load_b128 v[51:54], v[51:52], off offset:16
	s_clause 0x3
	global_load_b128 v[55:58], v[24:25], off offset:512
	global_load_b128 v[59:62], v[24:25], off offset:528
	;; [unrolled: 1-line block ×4, first 2 shown]
	v_lshlrev_b64_e32 v[71:72], 5, v[71:72]
	s_delay_alu instid0(VALU_DEP_1) | instskip(SKIP_1) | instid1(VALU_DEP_2)
	v_add_co_u32 v75, vcc_lo, s4, v71
	s_wait_alu 0xfffd
	v_add_co_ci_u32_e64 v76, null, s5, v72, vcc_lo
	s_wait_loadcnt 0x7
	v_sub_co_u32 v95, vcc_lo, v95, v4
	s_clause 0x1
	global_load_b128 v[71:74], v[75:76], off
	global_load_b128 v[75:78], v[75:76], off offset:16
	s_clause 0x3
	global_load_b128 v[79:82], v[24:25], off offset:1024
	global_load_b128 v[83:86], v[24:25], off offset:1040
	;; [unrolled: 1-line block ×4, first 2 shown]
	s_wait_alu 0xfffd
	v_sub_co_ci_u32_e64 v96, null, v96, v5, vcc_lo
	s_delay_alu instid0(VALU_DEP_1) | instskip(NEXT) | instid1(VALU_DEP_1)
	v_lshlrev_b64_e32 v[95:96], 5, v[95:96]
	v_add_co_u32 v109, vcc_lo, s4, v95
	s_wait_alu 0xfffd
	s_delay_alu instid0(VALU_DEP_2)
	v_add_co_ci_u32_e64 v110, null, s5, v96, vcc_lo
	s_wait_loadcnt 0xc
	v_sub_co_u32 v99, vcc_lo, v99, v4
	s_wait_alu 0xfffd
	v_sub_co_ci_u32_e64 v100, null, v100, v5, vcc_lo
	global_load_b128 v[95:98], v[109:110], off
	s_wait_loadcnt 0xc
	v_fma_f64 v[18:19], v[101:102], v[47:48], v[18:19]
	v_fma_f64 v[20:21], v[103:104], v[47:48], v[20:21]
	v_fma_f64 v[16:17], v[105:106], v[47:48], v[16:17]
	v_fma_f64 v[14:15], v[107:108], v[47:48], v[14:15]
	v_cvt_f64_f32_e32 v[47:48], v32
	v_cvt_f64_f32_e32 v[101:102], v37
	;; [unrolled: 1-line block ×6, first 2 shown]
	s_wait_loadcnt 0x8
	v_cvt_f64_f32_e32 v[111:112], v63
	s_wait_loadcnt 0x7
	v_cvt_f64_f32_e32 v[113:114], v67
	v_cvt_f64_f32_e32 v[63:64], v64
	;; [unrolled: 1-line block ×3, first 2 shown]
	v_fma_f64 v[18:19], v[30:31], v[49:50], v[18:19]
	v_fma_f64 v[20:21], v[35:36], v[49:50], v[20:21]
	v_fma_f64 v[30:31], v[39:40], v[49:50], v[16:17]
	v_fma_f64 v[35:36], v[43:44], v[49:50], v[14:15]
	global_load_b128 v[14:17], v[109:110], off offset:16
	v_cvt_f64_f32_e32 v[43:44], v33
	v_cvt_f64_f32_e32 v[49:50], v38
	;; [unrolled: 1-line block ×4, first 2 shown]
	v_fma_f64 v[47:48], v[47:48], v[51:52], v[18:19]
	v_fma_f64 v[101:102], v[101:102], v[51:52], v[20:21]
	;; [unrolled: 1-line block ×4, first 2 shown]
	s_clause 0x3
	global_load_b128 v[18:21], v[24:25], off offset:1536
	global_load_b128 v[30:33], v[24:25], off offset:1552
	;; [unrolled: 1-line block ×4, first 2 shown]
	v_cvt_f64_f32_e32 v[105:106], v55
	v_cvt_f64_f32_e32 v[55:56], v56
	v_fma_f64 v[47:48], v[43:44], v[53:54], v[47:48]
	v_fma_f64 v[49:50], v[49:50], v[53:54], v[101:102]
	;; [unrolled: 1-line block ×4, first 2 shown]
	v_lshlrev_b64_e32 v[43:44], 5, v[99:100]
	v_cvt_f64_f32_e32 v[103:104], v65
	s_delay_alu instid0(VALU_DEP_2) | instskip(SKIP_1) | instid1(VALU_DEP_3)
	v_add_co_u32 v53, vcc_lo, s4, v43
	s_wait_alu 0xfffd
	v_add_co_ci_u32_e64 v54, null, s5, v44, vcc_lo
	v_add_co_u32 v26, vcc_lo, v26, 32
	s_wait_alu 0xfffd
	v_add_co_ci_u32_e64 v27, null, 0, v27, vcc_lo
	global_load_b128 v[43:46], v[53:54], off
	v_add_co_u32 v24, vcc_lo, 0x800, v24
	s_wait_alu 0xfffd
	v_add_co_ci_u32_e64 v25, null, 0, v25, vcc_lo
	v_cmp_ge_i64_e32 vcc_lo, v[26:27], v[6:7]
	s_wait_alu 0xfffe
	s_or_b32 s10, vcc_lo, s10
	s_wait_loadcnt 0xc
	v_fma_f64 v[47:48], v[105:106], v[71:72], v[47:48]
	v_fma_f64 v[49:50], v[109:110], v[71:72], v[49:50]
	;; [unrolled: 1-line block ×4, first 2 shown]
	v_cvt_f64_f32_e32 v[71:72], v57
	v_cvt_f64_f32_e32 v[101:102], v61
	;; [unrolled: 1-line block ×3, first 2 shown]
	v_fma_f64 v[55:56], v[55:56], v[73:74], v[47:48]
	v_fma_f64 v[59:60], v[59:60], v[73:74], v[49:50]
	;; [unrolled: 1-line block ×4, first 2 shown]
	global_load_b128 v[47:50], v[53:54], off offset:16
	v_cvt_f64_f32_e32 v[53:54], v58
	v_cvt_f64_f32_e32 v[57:58], v62
	;; [unrolled: 1-line block ×4, first 2 shown]
	s_wait_loadcnt 0xb
	v_cvt_f64_f32_e32 v[67:68], v79
	s_wait_loadcnt 0xa
	v_cvt_f64_f32_e32 v[69:70], v83
	;; [unrolled: 2-line block ×3, first 2 shown]
	v_fma_f64 v[55:56], v[71:72], v[75:76], v[55:56]
	v_fma_f64 v[59:60], v[101:102], v[75:76], v[59:60]
	;; [unrolled: 1-line block ×4, first 2 shown]
	v_cvt_f64_f32_e32 v[71:72], v87
	v_fma_f64 v[53:54], v[53:54], v[77:78], v[55:56]
	v_fma_f64 v[55:56], v[57:58], v[77:78], v[59:60]
	;; [unrolled: 1-line block ×4, first 2 shown]
	v_cvt_f64_f32_e32 v[59:60], v80
	v_cvt_f64_f32_e32 v[61:62], v84
	;; [unrolled: 1-line block ×4, first 2 shown]
	s_wait_loadcnt 0x7
	v_fma_f64 v[53:54], v[67:68], v[95:96], v[53:54]
	v_fma_f64 v[55:56], v[69:70], v[95:96], v[55:56]
	;; [unrolled: 1-line block ×4, first 2 shown]
	v_cvt_f64_f32_e32 v[67:68], v81
	v_cvt_f64_f32_e32 v[69:70], v85
	;; [unrolled: 1-line block ×4, first 2 shown]
	v_fma_f64 v[53:54], v[59:60], v[97:98], v[53:54]
	v_fma_f64 v[55:56], v[61:62], v[97:98], v[55:56]
	;; [unrolled: 1-line block ×4, first 2 shown]
	v_cvt_f64_f32_e32 v[59:60], v82
	v_cvt_f64_f32_e32 v[61:62], v86
	;; [unrolled: 1-line block ×4, first 2 shown]
	s_wait_loadcnt 0x6
	v_fma_f64 v[53:54], v[67:68], v[14:15], v[53:54]
	v_fma_f64 v[55:56], v[69:70], v[14:15], v[55:56]
	;; [unrolled: 1-line block ×4, first 2 shown]
	s_wait_loadcnt 0x5
	v_cvt_f64_f32_e32 v[51:52], v18
	s_wait_loadcnt 0x4
	v_cvt_f64_f32_e32 v[67:68], v30
	;; [unrolled: 2-line block ×4, first 2 shown]
	v_fma_f64 v[53:54], v[59:60], v[16:17], v[53:54]
	v_fma_f64 v[55:56], v[61:62], v[16:17], v[55:56]
	;; [unrolled: 1-line block ×4, first 2 shown]
	v_cvt_f64_f32_e32 v[16:17], v19
	v_cvt_f64_f32_e32 v[18:19], v31
	;; [unrolled: 1-line block ×5, first 2 shown]
	s_wait_loadcnt 0x1
	v_fma_f64 v[39:40], v[51:52], v[43:44], v[53:54]
	v_fma_f64 v[51:52], v[67:68], v[43:44], v[55:56]
	v_fma_f64 v[53:54], v[69:70], v[43:44], v[57:58]
	v_fma_f64 v[14:15], v[71:72], v[43:44], v[14:15]
	v_cvt_f64_f32_e32 v[43:44], v20
	v_cvt_f64_f32_e32 v[55:56], v32
	;; [unrolled: 1-line block ×5, first 2 shown]
	v_fma_f64 v[16:17], v[16:17], v[45:46], v[39:40]
	v_fma_f64 v[18:19], v[18:19], v[45:46], v[51:52]
	;; [unrolled: 1-line block ×4, first 2 shown]
	v_cvt_f64_f32_e32 v[35:36], v38
	v_cvt_f64_f32_e32 v[37:38], v42
	s_wait_loadcnt 0x0
	v_fma_f64 v[16:17], v[43:44], v[47:48], v[16:17]
	v_fma_f64 v[39:40], v[55:56], v[47:48], v[18:19]
	;; [unrolled: 1-line block ×4, first 2 shown]
	s_delay_alu instid0(VALU_DEP_4) | instskip(NEXT) | instid1(VALU_DEP_4)
	v_fma_f64 v[18:19], v[20:21], v[49:50], v[16:17]
	v_fma_f64 v[20:21], v[32:33], v[49:50], v[39:40]
	s_delay_alu instid0(VALU_DEP_4) | instskip(NEXT) | instid1(VALU_DEP_4)
	v_fma_f64 v[16:17], v[35:36], v[49:50], v[30:31]
	v_fma_f64 v[14:15], v[37:38], v[49:50], v[14:15]
	s_wait_alu 0xfffe
	s_and_not1_b32 exec_lo, exec_lo, s10
	s_cbranch_execnz .LBB161_23
; %bb.24:
	s_or_b32 exec_lo, exec_lo, s10
.LBB161_25:
	s_wait_alu 0xfffe
	s_or_b32 exec_lo, exec_lo, s7
.LBB161_26:
	s_wait_alu 0xfffe
	s_or_b32 exec_lo, exec_lo, s6
	s_cbranch_execz .LBB161_28
	s_branch .LBB161_39
.LBB161_27:
                                        ; implicit-def: $vgpr14_vgpr15
                                        ; implicit-def: $vgpr16_vgpr17
                                        ; implicit-def: $vgpr20_vgpr21
                                        ; implicit-def: $vgpr18_vgpr19
.LBB161_28:
	v_mov_b32_e32 v14, 0
	v_dual_mov_b32 v20, 0 :: v_dual_mov_b32 v15, 0
	v_dual_mov_b32 v16, 0 :: v_dual_mov_b32 v21, 0
	;; [unrolled: 1-line block ×3, first 2 shown]
	v_mov_b32_e32 v19, 0
	s_and_saveexec_b32 s3, s2
	s_cbranch_execz .LBB161_38
; %bb.29:
	v_or_b32_e32 v14, 8, v34
	v_not_b32_e32 v17, v22
	v_sub_co_u32 v18, s2, v4, v34
	v_not_b32_e32 v16, v23
	s_delay_alu instid0(VALU_DEP_4)
	v_sub_co_u32 v14, vcc_lo, v14, v4
	s_wait_alu 0xfffd
	v_sub_co_ci_u32_e64 v15, null, 0, v5, vcc_lo
	s_wait_alu 0xf1ff
	v_subrev_co_ci_u32_e64 v19, null, 0, v5, s2
	v_add_co_u32 v14, vcc_lo, v14, v22
	s_wait_alu 0xfffd
	v_add_co_ci_u32_e64 v15, null, v15, v23, vcc_lo
	s_delay_alu instid0(VALU_DEP_1)
	v_cmp_gt_i64_e32 vcc_lo, v[14:15], v[6:7]
	s_wait_alu 0xfffd
	v_cndmask_b32_e32 v20, v7, v15, vcc_lo
	v_cndmask_b32_e32 v14, v6, v14, vcc_lo
	v_add_co_u32 v15, vcc_lo, v18, v17
	s_wait_alu 0xfffd
	v_add_co_ci_u32_e64 v16, null, v19, v16, vcc_lo
	v_mov_b32_e32 v18, 0
	v_mov_b32_e32 v19, 0
	v_add_co_u32 v22, vcc_lo, v15, v14
	v_mov_b32_e32 v15, 0
	s_wait_alu 0xfffd
	v_add_co_ci_u32_e64 v23, null, v16, v20, vcc_lo
	s_delay_alu instid0(VALU_DEP_3) | instskip(SKIP_3) | instid1(VALU_DEP_4)
	v_and_b32_e32 v14, 24, v22
	v_mov_b32_e32 v20, 0
	v_dual_mov_b32 v21, 0 :: v_dual_mov_b32 v16, 0
	v_mov_b32_e32 v17, 0
	v_cmp_ne_u64_e32 vcc_lo, 24, v[14:15]
	v_mov_b32_e32 v14, 0
	v_mov_b32_e32 v15, 0
	s_and_saveexec_b32 s6, vcc_lo
	s_cbranch_execz .LBB161_33
; %bb.30:
	v_lshrrev_b32_e32 v14, 3, v22
	v_lshlrev_b64_e32 v[24:25], 3, v[0:1]
	v_mov_b32_e32 v16, 0
	v_mov_b32_e32 v20, 0
	;; [unrolled: 1-line block ×3, first 2 shown]
	v_add_nc_u32_e32 v26, 1, v14
	v_dual_mov_b32 v14, 0 :: v_dual_mov_b32 v17, 0
	v_mov_b32_e32 v15, 0
	v_add_co_u32 v24, vcc_lo, s8, v24
	s_delay_alu instid0(VALU_DEP_4) | instskip(SKIP_3) | instid1(VALU_DEP_3)
	v_dual_mov_b32 v21, 0 :: v_dual_and_b32 v26, 3, v26
	v_mov_b32_e32 v19, 0
	s_wait_alu 0xfffd
	v_add_co_ci_u32_e64 v25, null, s9, v25, vcc_lo
	v_sub_co_u32 v26, s2, 0, v26
	s_wait_alu 0xf1ff
	v_sub_co_ci_u32_e64 v27, null, 0, 0, s2
	s_mov_b32 s7, 0
.LBB161_31:                             ; =>This Inner Loop Header: Depth=1
	global_load_b64 v[32:33], v[24:25], off
	s_clause 0x1
	global_load_b128 v[28:31], v[12:13], off
	global_load_b128 v[35:38], v[12:13], off offset:16
	v_add_co_u32 v24, s2, v24, 64
	s_wait_alu 0xf1ff
	v_add_co_ci_u32_e64 v25, null, 0, v25, s2
	s_wait_loadcnt 0x2
	v_sub_co_u32 v32, vcc_lo, v32, v4
	s_wait_alu 0xfffd
	v_sub_co_ci_u32_e64 v33, null, v33, v5, vcc_lo
	s_wait_loadcnt 0x1
	v_cvt_f64_f32_e32 v[55:56], v30
	v_cvt_f64_f32_e32 v[30:31], v31
	s_wait_loadcnt 0x0
	v_cvt_f64_f32_e32 v[57:58], v35
	v_lshlrev_b64_e32 v[32:33], 5, v[32:33]
	v_cvt_f64_f32_e32 v[35:36], v36
	v_cvt_f64_f32_e32 v[59:60], v37
	;; [unrolled: 1-line block ×3, first 2 shown]
	s_wait_kmcnt 0x0
	s_delay_alu instid0(VALU_DEP_4)
	v_add_co_u32 v32, vcc_lo, s4, v32
	s_wait_alu 0xfffd
	v_add_co_ci_u32_e64 v33, null, s5, v33, vcc_lo
	s_clause 0x1
	global_load_b128 v[39:42], v[32:33], off
	global_load_b128 v[43:46], v[32:33], off offset:16
	s_clause 0x1
	global_load_b128 v[47:50], v[12:13], off offset:32
	global_load_b128 v[51:54], v[12:13], off offset:48
	v_cvt_f64_f32_e32 v[32:33], v28
	v_cvt_f64_f32_e32 v[28:29], v29
	v_add_co_u32 v12, vcc_lo, 0x200, v12
	s_wait_alu 0xfffd
	v_add_co_ci_u32_e64 v13, null, 0, v13, vcc_lo
	v_add_co_u32 v26, vcc_lo, v26, 1
	s_wait_alu 0xfffd
	v_add_co_ci_u32_e64 v27, null, 0, v27, vcc_lo
	;; [unrolled: 3-line block ×3, first 2 shown]
	s_delay_alu instid0(VALU_DEP_3)
	v_cmp_eq_u64_e32 vcc_lo, 0, v[26:27]
	s_wait_alu 0xfffe
	s_or_b32 s7, vcc_lo, s7
	s_wait_loadcnt 0x3
	v_fma_f64 v[18:19], v[32:33], v[39:40], v[18:19]
	v_fma_f64 v[20:21], v[28:29], v[39:40], v[20:21]
	;; [unrolled: 1-line block ×4, first 2 shown]
	s_wait_loadcnt 0x1
	v_cvt_f64_f32_e32 v[28:29], v47
	v_cvt_f64_f32_e32 v[30:31], v48
	;; [unrolled: 1-line block ×4, first 2 shown]
	s_wait_loadcnt 0x0
	v_cvt_f64_f32_e32 v[47:48], v54
	v_fma_f64 v[18:19], v[57:58], v[41:42], v[18:19]
	v_fma_f64 v[20:21], v[35:36], v[41:42], v[20:21]
	;; [unrolled: 1-line block ×4, first 2 shown]
	v_cvt_f64_f32_e32 v[35:36], v51
	v_cvt_f64_f32_e32 v[37:38], v52
	;; [unrolled: 1-line block ×3, first 2 shown]
	v_fma_f64 v[18:19], v[28:29], v[43:44], v[18:19]
	v_fma_f64 v[20:21], v[30:31], v[43:44], v[20:21]
	;; [unrolled: 1-line block ×4, first 2 shown]
	s_delay_alu instid0(VALU_DEP_4) | instskip(NEXT) | instid1(VALU_DEP_4)
	v_fma_f64 v[18:19], v[35:36], v[45:46], v[18:19]
	v_fma_f64 v[20:21], v[37:38], v[45:46], v[20:21]
	s_delay_alu instid0(VALU_DEP_4) | instskip(NEXT) | instid1(VALU_DEP_4)
	v_fma_f64 v[16:17], v[41:42], v[45:46], v[16:17]
	v_fma_f64 v[14:15], v[47:48], v[45:46], v[14:15]
	s_wait_alu 0xfffe
	s_and_not1_b32 exec_lo, exec_lo, s7
	s_cbranch_execnz .LBB161_31
; %bb.32:
	s_or_b32 exec_lo, exec_lo, s7
.LBB161_33:
	s_wait_alu 0xfffe
	s_or_b32 exec_lo, exec_lo, s6
	s_delay_alu instid0(SALU_CYCLE_1)
	s_mov_b32 s6, exec_lo
	v_cmpx_lt_u64_e32 23, v[22:23]
	s_cbranch_execz .LBB161_37
; %bb.34:
	v_lshlrev_b64_e32 v[22:23], 3, v[0:1]
	s_mov_b32 s7, 0
	s_delay_alu instid0(VALU_DEP_1) | instskip(SKIP_1) | instid1(VALU_DEP_2)
	v_add_co_u32 v22, vcc_lo, s8, v22
	s_wait_alu 0xfffd
	v_add_co_ci_u32_e64 v23, null, s9, v23, vcc_lo
	s_delay_alu instid0(VALU_DEP_2) | instskip(SKIP_1) | instid1(VALU_DEP_2)
	v_add_co_u32 v22, vcc_lo, 0x80, v22
	s_wait_alu 0xfffd
	v_add_co_ci_u32_e64 v23, null, 0, v23, vcc_lo
.LBB161_35:                             ; =>This Inner Loop Header: Depth=1
	s_clause 0x1
	global_load_b64 v[32:33], v[22:23], off offset:-128
	global_load_b64 v[55:56], v[22:23], off offset:-64
	global_load_b128 v[24:27], v[12:13], off
	global_load_b64 v[79:80], v[22:23], off
	global_load_b128 v[28:31], v[12:13], off offset:16
	global_load_b64 v[83:84], v[22:23], off offset:64
	v_add_co_u32 v22, s2, 0x100, v22
	s_wait_alu 0xf1ff
	v_add_co_ci_u32_e64 v23, null, 0, v23, s2
	s_wait_loadcnt 0x5
	v_sub_co_u32 v32, vcc_lo, v32, v4
	s_wait_alu 0xfffd
	v_sub_co_ci_u32_e64 v33, null, v33, v5, vcc_lo
	s_wait_loadcnt 0x3
	v_cvt_f64_f32_e32 v[85:86], v25
	v_cvt_f64_f32_e32 v[87:88], v26
	;; [unrolled: 1-line block ×3, first 2 shown]
	v_lshlrev_b64_e32 v[32:33], 5, v[32:33]
	s_wait_loadcnt 0x1
	v_cvt_f64_f32_e32 v[93:94], v28
	v_cvt_f64_f32_e32 v[28:29], v29
	;; [unrolled: 1-line block ×4, first 2 shown]
	s_wait_kmcnt 0x0
	v_add_co_u32 v32, vcc_lo, s4, v32
	s_wait_alu 0xfffd
	v_add_co_ci_u32_e64 v33, null, s5, v33, vcc_lo
	global_load_b128 v[35:38], v[32:33], off
	s_clause 0x1
	global_load_b128 v[39:42], v[12:13], off offset:32
	global_load_b128 v[43:46], v[12:13], off offset:48
	;; [unrolled: 1-line block ×4, first 2 shown]
	v_sub_co_u32 v32, vcc_lo, v55, v4
	s_wait_alu 0xfffd
	v_sub_co_ci_u32_e64 v33, null, v56, v5, vcc_lo
	s_delay_alu instid0(VALU_DEP_1) | instskip(NEXT) | instid1(VALU_DEP_1)
	v_lshlrev_b64_e32 v[32:33], 5, v[32:33]
	v_add_co_u32 v32, vcc_lo, s4, v32
	s_wait_alu 0xfffd
	s_delay_alu instid0(VALU_DEP_2)
	v_add_co_ci_u32_e64 v33, null, s5, v33, vcc_lo
	global_load_b128 v[55:58], v[12:13], off offset:528
	global_load_b128 v[59:62], v[32:33], off
	s_clause 0x1
	global_load_b128 v[63:66], v[12:13], off offset:544
	global_load_b128 v[67:70], v[12:13], off offset:560
	;; [unrolled: 1-line block ×4, first 2 shown]
	v_cvt_f64_f32_e32 v[32:33], v24
	v_sub_co_u32 v24, vcc_lo, v79, v4
	s_wait_alu 0xfffd
	v_sub_co_ci_u32_e64 v25, null, v80, v5, vcc_lo
	s_delay_alu instid0(VALU_DEP_1) | instskip(NEXT) | instid1(VALU_DEP_1)
	v_lshlrev_b64_e32 v[24:25], 5, v[24:25]
	v_add_co_u32 v91, vcc_lo, s4, v24
	s_wait_alu 0xfffd
	s_delay_alu instid0(VALU_DEP_2)
	v_add_co_ci_u32_e64 v92, null, s5, v25, vcc_lo
	global_load_b128 v[24:27], v[12:13], off offset:1040
	global_load_b128 v[79:82], v[91:92], off
	s_wait_loadcnt 0xd
	v_sub_co_u32 v83, vcc_lo, v83, v4
	s_wait_alu 0xfffd
	v_sub_co_ci_u32_e64 v84, null, v84, v5, vcc_lo
	s_wait_loadcnt 0xc
	v_fma_f64 v[18:19], v[32:33], v[35:36], v[18:19]
	v_fma_f64 v[20:21], v[85:86], v[35:36], v[20:21]
	;; [unrolled: 1-line block ×4, first 2 shown]
	global_load_b128 v[14:17], v[12:13], off offset:1056
	s_wait_loadcnt 0xc
	v_cvt_f64_f32_e32 v[85:86], v39
	v_cvt_f64_f32_e32 v[39:40], v40
	;; [unrolled: 1-line block ×4, first 2 shown]
	v_fma_f64 v[89:90], v[93:94], v[37:38], v[18:19]
	v_fma_f64 v[93:94], v[28:29], v[37:38], v[20:21]
	;; [unrolled: 1-line block ×4, first 2 shown]
	global_load_b128 v[18:21], v[12:13], off offset:1072
	global_load_b128 v[28:31], v[91:92], off offset:16
	s_wait_loadcnt 0xd
	v_cvt_f64_f32_e32 v[91:92], v43
	v_cvt_f64_f32_e32 v[43:44], v44
	v_cvt_f64_f32_e32 v[95:96], v45
	v_cvt_f64_f32_e32 v[45:46], v46
	s_wait_loadcnt 0xc
	v_fma_f64 v[85:86], v[85:86], v[47:48], v[89:90]
	v_fma_f64 v[39:40], v[39:40], v[47:48], v[93:94]
	;; [unrolled: 1-line block ×4, first 2 shown]
	global_load_b128 v[35:38], v[12:13], off offset:1536
	s_wait_loadcnt 0xc
	v_cvt_f64_f32_e32 v[47:48], v51
	v_cvt_f64_f32_e32 v[51:52], v52
	;; [unrolled: 1-line block ×4, first 2 shown]
	s_wait_loadcnt 0xb
	v_cvt_f64_f32_e32 v[93:94], v57
	v_cvt_f64_f32_e32 v[57:58], v58
	v_fma_f64 v[85:86], v[91:92], v[49:50], v[85:86]
	v_fma_f64 v[89:90], v[43:44], v[49:50], v[39:40]
	;; [unrolled: 1-line block ×4, first 2 shown]
	v_lshlrev_b64_e32 v[39:40], 5, v[83:84]
	v_cvt_f64_f32_e32 v[91:92], v55
	v_cvt_f64_f32_e32 v[55:56], v56
	s_delay_alu instid0(VALU_DEP_3) | instskip(SKIP_1) | instid1(VALU_DEP_4)
	v_add_co_u32 v83, vcc_lo, s4, v39
	s_wait_alu 0xfffd
	v_add_co_ci_u32_e64 v84, null, s5, v40, vcc_lo
	global_load_b128 v[39:42], v[12:13], off offset:1552
	global_load_b128 v[43:46], v[83:84], off
	v_add_co_u32 v0, vcc_lo, v0, 32
	s_wait_alu 0xfffd
	v_add_co_ci_u32_e64 v1, null, 0, v1, vcc_lo
	s_wait_loadcnt 0xc
	v_fma_f64 v[85:86], v[47:48], v[59:60], v[85:86]
	v_fma_f64 v[51:52], v[51:52], v[59:60], v[89:90]
	;; [unrolled: 1-line block ×4, first 2 shown]
	global_load_b128 v[47:50], v[12:13], off offset:1568
	s_wait_loadcnt 0xc
	v_cvt_f64_f32_e32 v[59:60], v63
	v_cvt_f64_f32_e32 v[63:64], v64
	;; [unrolled: 1-line block ×4, first 2 shown]
	v_fma_f64 v[85:86], v[91:92], v[61:62], v[85:86]
	v_fma_f64 v[89:90], v[55:56], v[61:62], v[51:52]
	;; [unrolled: 1-line block ×4, first 2 shown]
	global_load_b128 v[51:54], v[12:13], off offset:1584
	global_load_b128 v[55:58], v[83:84], off offset:16
	s_wait_loadcnt 0xd
	v_cvt_f64_f32_e32 v[83:84], v67
	v_cvt_f64_f32_e32 v[67:68], v68
	;; [unrolled: 1-line block ×4, first 2 shown]
	v_add_co_u32 v12, vcc_lo, 0x800, v12
	s_wait_alu 0xfffd
	v_add_co_ci_u32_e64 v13, null, 0, v13, vcc_lo
	v_cmp_ge_i64_e32 vcc_lo, v[0:1], v[6:7]
	s_wait_alu 0xfffe
	s_or_b32 s7, vcc_lo, s7
	s_wait_loadcnt 0xc
	v_fma_f64 v[59:60], v[59:60], v[71:72], v[85:86]
	v_fma_f64 v[63:64], v[63:64], v[71:72], v[89:90]
	v_fma_f64 v[32:33], v[87:88], v[71:72], v[32:33]
	v_fma_f64 v[61:62], v[65:66], v[71:72], v[61:62]
	s_wait_loadcnt 0xb
	v_cvt_f64_f32_e32 v[65:66], v75
	v_cvt_f64_f32_e32 v[71:72], v76
	v_cvt_f64_f32_e32 v[75:76], v77
	v_cvt_f64_f32_e32 v[77:78], v78
	v_fma_f64 v[59:60], v[83:84], v[73:74], v[59:60]
	v_fma_f64 v[63:64], v[67:68], v[73:74], v[63:64]
	v_fma_f64 v[32:33], v[91:92], v[73:74], v[32:33]
	v_fma_f64 v[61:62], v[69:70], v[73:74], v[61:62]
	s_wait_loadcnt 0xa
	v_cvt_f64_f32_e32 v[67:68], v24
	v_cvt_f64_f32_e32 v[24:25], v25
	v_cvt_f64_f32_e32 v[69:70], v26
	v_cvt_f64_f32_e32 v[26:27], v27
	s_wait_loadcnt 0x9
	v_fma_f64 v[59:60], v[65:66], v[79:80], v[59:60]
	v_fma_f64 v[63:64], v[71:72], v[79:80], v[63:64]
	v_fma_f64 v[32:33], v[75:76], v[79:80], v[32:33]
	v_fma_f64 v[61:62], v[77:78], v[79:80], v[61:62]
	s_wait_loadcnt 0x8
	v_cvt_f64_f32_e32 v[65:66], v14
	v_cvt_f64_f32_e32 v[14:15], v15
	v_cvt_f64_f32_e32 v[71:72], v16
	v_cvt_f64_f32_e32 v[16:17], v17
	v_fma_f64 v[59:60], v[67:68], v[81:82], v[59:60]
	v_fma_f64 v[24:25], v[24:25], v[81:82], v[63:64]
	v_fma_f64 v[32:33], v[69:70], v[81:82], v[32:33]
	v_fma_f64 v[26:27], v[26:27], v[81:82], v[61:62]
	s_wait_loadcnt 0x7
	v_cvt_f64_f32_e32 v[61:62], v18
	v_cvt_f64_f32_e32 v[18:19], v19
	v_cvt_f64_f32_e32 v[63:64], v20
	v_cvt_f64_f32_e32 v[20:21], v21
	;; [unrolled: 19-line block ×4, first 2 shown]
	s_wait_loadcnt 0x0
	v_fma_f64 v[20:21], v[28:29], v[55:56], v[20:21]
	v_fma_f64 v[14:15], v[32:33], v[55:56], v[14:15]
	;; [unrolled: 1-line block ×4, first 2 shown]
	s_delay_alu instid0(VALU_DEP_4) | instskip(NEXT) | instid1(VALU_DEP_4)
	v_fma_f64 v[18:19], v[24:25], v[57:58], v[20:21]
	v_fma_f64 v[20:21], v[26:27], v[57:58], v[14:15]
	s_delay_alu instid0(VALU_DEP_4) | instskip(NEXT) | instid1(VALU_DEP_4)
	v_fma_f64 v[16:17], v[30:31], v[57:58], v[28:29]
	v_fma_f64 v[14:15], v[39:40], v[57:58], v[32:33]
	s_wait_alu 0xfffe
	s_and_not1_b32 exec_lo, exec_lo, s7
	s_cbranch_execnz .LBB161_35
; %bb.36:
	s_or_b32 exec_lo, exec_lo, s7
.LBB161_37:
	s_wait_alu 0xfffe
	s_or_b32 exec_lo, exec_lo, s6
.LBB161_38:
	s_wait_alu 0xfffe
	s_or_b32 exec_lo, exec_lo, s3
.LBB161_39:
	v_mbcnt_lo_u32_b32 v24, -1, 0
	s_delay_alu instid0(VALU_DEP_1) | instskip(NEXT) | instid1(VALU_DEP_1)
	v_xor_b32_e32 v0, 4, v24
	v_cmp_gt_i32_e32 vcc_lo, 32, v0
	s_wait_alu 0xfffd
	v_cndmask_b32_e32 v0, v24, v0, vcc_lo
	s_delay_alu instid0(VALU_DEP_1)
	v_lshlrev_b32_e32 v13, 2, v0
	ds_bpermute_b32 v6, v13, v16
	ds_bpermute_b32 v7, v13, v17
	s_wait_dscnt 0x0
	v_add_f64_e32 v[16:17], v[16:17], v[6:7]
	v_xor_b32_e32 v6, 2, v24
	s_delay_alu instid0(VALU_DEP_1)
	v_cmp_gt_i32_e32 vcc_lo, 32, v6
	s_wait_alu 0xfffd
	v_cndmask_b32_e32 v6, v24, v6, vcc_lo
	ds_bpermute_b32 v0, v13, v18
	ds_bpermute_b32 v1, v13, v19
	;; [unrolled: 1-line block ×6, first 2 shown]
	s_wait_dscnt 0x4
	v_add_f64_e32 v[0:1], v[18:19], v[0:1]
	s_wait_dscnt 0x2
	v_add_f64_e32 v[4:5], v[20:21], v[4:5]
	;; [unrolled: 2-line block ×3, first 2 shown]
	v_lshlrev_b32_e32 v12, 2, v6
	ds_bpermute_b32 v20, v12, v16
	ds_bpermute_b32 v21, v12, v17
	;; [unrolled: 1-line block ×8, first 2 shown]
	s_wait_dscnt 0x4
	v_add_f64_e32 v[12:13], v[0:1], v[6:7]
	v_add_f64_e32 v[0:1], v[16:17], v[20:21]
	s_wait_dscnt 0x2
	v_add_f64_e32 v[6:7], v[4:5], v[18:19]
	s_wait_dscnt 0x0
	v_add_f64_e32 v[4:5], v[14:15], v[22:23]
	v_xor_b32_e32 v14, 1, v24
	s_delay_alu instid0(VALU_DEP_1) | instskip(SKIP_3) | instid1(VALU_DEP_2)
	v_cmp_gt_i32_e32 vcc_lo, 32, v14
	s_wait_alu 0xfffd
	v_cndmask_b32_e32 v14, v24, v14, vcc_lo
	v_cmp_eq_u32_e32 vcc_lo, 7, v34
	v_lshlrev_b32_e32 v15, 2, v14
	ds_bpermute_b32 v20, v15, v12
	ds_bpermute_b32 v21, v15, v13
	;; [unrolled: 1-line block ×8, first 2 shown]
	s_and_b32 exec_lo, exec_lo, vcc_lo
	s_cbranch_execz .LBB161_10
; %bb.40:
	s_wait_dscnt 0x6
	v_add_f64_e32 v[12:13], v[12:13], v[20:21]
	s_wait_dscnt 0x4
	v_add_f64_e32 v[6:7], v[6:7], v[18:19]
	;; [unrolled: 2-line block ×4, first 2 shown]
	s_load_b64 s[0:1], s[0:1], 0x58
	v_lshlrev_b64_e32 v[10:11], 5, v[10:11]
	s_mov_b32 s2, exec_lo
	v_mul_f64_e32 v[4:5], v[2:3], v[12:13]
	v_mul_f64_e32 v[6:7], v[2:3], v[6:7]
	;; [unrolled: 1-line block ×4, first 2 shown]
	v_cmpx_eq_f64_e32 0, v[8:9]
	s_wait_alu 0xfffe
	s_xor_b32 s2, exec_lo, s2
	s_cbranch_execz .LBB161_42
; %bb.41:
	s_wait_kmcnt 0x0
	v_add_co_u32 v8, vcc_lo, s0, v10
	s_wait_alu 0xfffd
	v_add_co_ci_u32_e64 v9, null, s1, v11, vcc_lo
                                        ; implicit-def: $vgpr10_vgpr11
	s_clause 0x1
	global_store_b128 v[8:9], v[4:7], off
	global_store_b128 v[8:9], v[0:3], off offset:16
                                        ; implicit-def: $vgpr8_vgpr9
                                        ; implicit-def: $vgpr4_vgpr5
                                        ; implicit-def: $vgpr0_vgpr1
.LBB161_42:
	s_wait_alu 0xfffe
	s_and_not1_saveexec_b32 s2, s2
	s_cbranch_execz .LBB161_10
; %bb.43:
	s_wait_kmcnt 0x0
	v_add_co_u32 v18, vcc_lo, s0, v10
	s_wait_alu 0xfffd
	v_add_co_ci_u32_e64 v19, null, s1, v11, vcc_lo
	s_clause 0x1
	global_load_b128 v[10:13], v[18:19], off
	global_load_b128 v[14:17], v[18:19], off offset:16
	s_wait_loadcnt 0x1
	v_fma_f64 v[4:5], v[8:9], v[10:11], v[4:5]
	v_fma_f64 v[6:7], v[8:9], v[12:13], v[6:7]
	s_wait_loadcnt 0x0
	v_fma_f64 v[0:1], v[8:9], v[14:15], v[0:1]
	v_fma_f64 v[2:3], v[8:9], v[16:17], v[2:3]
	s_clause 0x1
	global_store_b128 v[18:19], v[4:7], off
	global_store_b128 v[18:19], v[0:3], off offset:16
	s_nop 0
	s_sendmsg sendmsg(MSG_DEALLOC_VGPRS)
	s_endpgm
	.section	.rodata,"a",@progbits
	.p2align	6, 0x0
	.amdhsa_kernel _ZN9rocsparseL18bsrxmvn_4x4_kernelILj128ELj8EdllfddEEvT3_20rocsparse_direction_NS_24const_host_device_scalarIT1_EES1_PKS1_PKT2_SA_S7_PKT4_PKT5_S5_PT6_21rocsparse_index_base_b
		.amdhsa_group_segment_fixed_size 0
		.amdhsa_private_segment_fixed_size 0
		.amdhsa_kernarg_size 104
		.amdhsa_user_sgpr_count 2
		.amdhsa_user_sgpr_dispatch_ptr 0
		.amdhsa_user_sgpr_queue_ptr 0
		.amdhsa_user_sgpr_kernarg_segment_ptr 1
		.amdhsa_user_sgpr_dispatch_id 0
		.amdhsa_user_sgpr_private_segment_size 0
		.amdhsa_wavefront_size32 1
		.amdhsa_uses_dynamic_stack 0
		.amdhsa_enable_private_segment 0
		.amdhsa_system_sgpr_workgroup_id_x 1
		.amdhsa_system_sgpr_workgroup_id_y 0
		.amdhsa_system_sgpr_workgroup_id_z 0
		.amdhsa_system_sgpr_workgroup_info 0
		.amdhsa_system_vgpr_workitem_id 0
		.amdhsa_next_free_vgpr 115
		.amdhsa_next_free_sgpr 12
		.amdhsa_reserve_vcc 1
		.amdhsa_float_round_mode_32 0
		.amdhsa_float_round_mode_16_64 0
		.amdhsa_float_denorm_mode_32 3
		.amdhsa_float_denorm_mode_16_64 3
		.amdhsa_fp16_overflow 0
		.amdhsa_workgroup_processor_mode 1
		.amdhsa_memory_ordered 1
		.amdhsa_forward_progress 1
		.amdhsa_inst_pref_size 49
		.amdhsa_round_robin_scheduling 0
		.amdhsa_exception_fp_ieee_invalid_op 0
		.amdhsa_exception_fp_denorm_src 0
		.amdhsa_exception_fp_ieee_div_zero 0
		.amdhsa_exception_fp_ieee_overflow 0
		.amdhsa_exception_fp_ieee_underflow 0
		.amdhsa_exception_fp_ieee_inexact 0
		.amdhsa_exception_int_div_zero 0
	.end_amdhsa_kernel
	.section	.text._ZN9rocsparseL18bsrxmvn_4x4_kernelILj128ELj8EdllfddEEvT3_20rocsparse_direction_NS_24const_host_device_scalarIT1_EES1_PKS1_PKT2_SA_S7_PKT4_PKT5_S5_PT6_21rocsparse_index_base_b,"axG",@progbits,_ZN9rocsparseL18bsrxmvn_4x4_kernelILj128ELj8EdllfddEEvT3_20rocsparse_direction_NS_24const_host_device_scalarIT1_EES1_PKS1_PKT2_SA_S7_PKT4_PKT5_S5_PT6_21rocsparse_index_base_b,comdat
.Lfunc_end161:
	.size	_ZN9rocsparseL18bsrxmvn_4x4_kernelILj128ELj8EdllfddEEvT3_20rocsparse_direction_NS_24const_host_device_scalarIT1_EES1_PKS1_PKT2_SA_S7_PKT4_PKT5_S5_PT6_21rocsparse_index_base_b, .Lfunc_end161-_ZN9rocsparseL18bsrxmvn_4x4_kernelILj128ELj8EdllfddEEvT3_20rocsparse_direction_NS_24const_host_device_scalarIT1_EES1_PKS1_PKT2_SA_S7_PKT4_PKT5_S5_PT6_21rocsparse_index_base_b
                                        ; -- End function
	.set _ZN9rocsparseL18bsrxmvn_4x4_kernelILj128ELj8EdllfddEEvT3_20rocsparse_direction_NS_24const_host_device_scalarIT1_EES1_PKS1_PKT2_SA_S7_PKT4_PKT5_S5_PT6_21rocsparse_index_base_b.num_vgpr, 115
	.set _ZN9rocsparseL18bsrxmvn_4x4_kernelILj128ELj8EdllfddEEvT3_20rocsparse_direction_NS_24const_host_device_scalarIT1_EES1_PKS1_PKT2_SA_S7_PKT4_PKT5_S5_PT6_21rocsparse_index_base_b.num_agpr, 0
	.set _ZN9rocsparseL18bsrxmvn_4x4_kernelILj128ELj8EdllfddEEvT3_20rocsparse_direction_NS_24const_host_device_scalarIT1_EES1_PKS1_PKT2_SA_S7_PKT4_PKT5_S5_PT6_21rocsparse_index_base_b.numbered_sgpr, 12
	.set _ZN9rocsparseL18bsrxmvn_4x4_kernelILj128ELj8EdllfddEEvT3_20rocsparse_direction_NS_24const_host_device_scalarIT1_EES1_PKS1_PKT2_SA_S7_PKT4_PKT5_S5_PT6_21rocsparse_index_base_b.num_named_barrier, 0
	.set _ZN9rocsparseL18bsrxmvn_4x4_kernelILj128ELj8EdllfddEEvT3_20rocsparse_direction_NS_24const_host_device_scalarIT1_EES1_PKS1_PKT2_SA_S7_PKT4_PKT5_S5_PT6_21rocsparse_index_base_b.private_seg_size, 0
	.set _ZN9rocsparseL18bsrxmvn_4x4_kernelILj128ELj8EdllfddEEvT3_20rocsparse_direction_NS_24const_host_device_scalarIT1_EES1_PKS1_PKT2_SA_S7_PKT4_PKT5_S5_PT6_21rocsparse_index_base_b.uses_vcc, 1
	.set _ZN9rocsparseL18bsrxmvn_4x4_kernelILj128ELj8EdllfddEEvT3_20rocsparse_direction_NS_24const_host_device_scalarIT1_EES1_PKS1_PKT2_SA_S7_PKT4_PKT5_S5_PT6_21rocsparse_index_base_b.uses_flat_scratch, 0
	.set _ZN9rocsparseL18bsrxmvn_4x4_kernelILj128ELj8EdllfddEEvT3_20rocsparse_direction_NS_24const_host_device_scalarIT1_EES1_PKS1_PKT2_SA_S7_PKT4_PKT5_S5_PT6_21rocsparse_index_base_b.has_dyn_sized_stack, 0
	.set _ZN9rocsparseL18bsrxmvn_4x4_kernelILj128ELj8EdllfddEEvT3_20rocsparse_direction_NS_24const_host_device_scalarIT1_EES1_PKS1_PKT2_SA_S7_PKT4_PKT5_S5_PT6_21rocsparse_index_base_b.has_recursion, 0
	.set _ZN9rocsparseL18bsrxmvn_4x4_kernelILj128ELj8EdllfddEEvT3_20rocsparse_direction_NS_24const_host_device_scalarIT1_EES1_PKS1_PKT2_SA_S7_PKT4_PKT5_S5_PT6_21rocsparse_index_base_b.has_indirect_call, 0
	.section	.AMDGPU.csdata,"",@progbits
; Kernel info:
; codeLenInByte = 6224
; TotalNumSgprs: 14
; NumVgprs: 115
; ScratchSize: 0
; MemoryBound: 0
; FloatMode: 240
; IeeeMode: 1
; LDSByteSize: 0 bytes/workgroup (compile time only)
; SGPRBlocks: 0
; VGPRBlocks: 14
; NumSGPRsForWavesPerEU: 14
; NumVGPRsForWavesPerEU: 115
; Occupancy: 12
; WaveLimiterHint : 1
; COMPUTE_PGM_RSRC2:SCRATCH_EN: 0
; COMPUTE_PGM_RSRC2:USER_SGPR: 2
; COMPUTE_PGM_RSRC2:TRAP_HANDLER: 0
; COMPUTE_PGM_RSRC2:TGID_X_EN: 1
; COMPUTE_PGM_RSRC2:TGID_Y_EN: 0
; COMPUTE_PGM_RSRC2:TGID_Z_EN: 0
; COMPUTE_PGM_RSRC2:TIDIG_COMP_CNT: 0
	.section	.text._ZN9rocsparseL18bsrxmvn_4x4_kernelILj128ELj16EdllfddEEvT3_20rocsparse_direction_NS_24const_host_device_scalarIT1_EES1_PKS1_PKT2_SA_S7_PKT4_PKT5_S5_PT6_21rocsparse_index_base_b,"axG",@progbits,_ZN9rocsparseL18bsrxmvn_4x4_kernelILj128ELj16EdllfddEEvT3_20rocsparse_direction_NS_24const_host_device_scalarIT1_EES1_PKS1_PKT2_SA_S7_PKT4_PKT5_S5_PT6_21rocsparse_index_base_b,comdat
	.globl	_ZN9rocsparseL18bsrxmvn_4x4_kernelILj128ELj16EdllfddEEvT3_20rocsparse_direction_NS_24const_host_device_scalarIT1_EES1_PKS1_PKT2_SA_S7_PKT4_PKT5_S5_PT6_21rocsparse_index_base_b ; -- Begin function _ZN9rocsparseL18bsrxmvn_4x4_kernelILj128ELj16EdllfddEEvT3_20rocsparse_direction_NS_24const_host_device_scalarIT1_EES1_PKS1_PKT2_SA_S7_PKT4_PKT5_S5_PT6_21rocsparse_index_base_b
	.p2align	8
	.type	_ZN9rocsparseL18bsrxmvn_4x4_kernelILj128ELj16EdllfddEEvT3_20rocsparse_direction_NS_24const_host_device_scalarIT1_EES1_PKS1_PKT2_SA_S7_PKT4_PKT5_S5_PT6_21rocsparse_index_base_b,@function
_ZN9rocsparseL18bsrxmvn_4x4_kernelILj128ELj16EdllfddEEvT3_20rocsparse_direction_NS_24const_host_device_scalarIT1_EES1_PKS1_PKT2_SA_S7_PKT4_PKT5_S5_PT6_21rocsparse_index_base_b: ; @_ZN9rocsparseL18bsrxmvn_4x4_kernelILj128ELj16EdllfddEEvT3_20rocsparse_direction_NS_24const_host_device_scalarIT1_EES1_PKS1_PKT2_SA_S7_PKT4_PKT5_S5_PT6_21rocsparse_index_base_b
; %bb.0:
	s_clause 0x2
	s_load_b64 s[8:9], s[0:1], 0x60
	s_load_b128 s[4:7], s[0:1], 0x10
	s_load_b64 s[2:3], s[0:1], 0x50
	s_wait_kmcnt 0x0
	s_bitcmp1_b32 s9, 0
	v_dual_mov_b32 v2, s4 :: v_dual_mov_b32 v3, s5
	s_cselect_b32 s9, -1, 0
	s_delay_alu instid0(SALU_CYCLE_1)
	s_and_b32 vcc_lo, exec_lo, s9
	s_xor_b32 s9, s9, -1
	s_cbranch_vccnz .LBB162_2
; %bb.1:
	v_dual_mov_b32 v1, s4 :: v_dual_mov_b32 v2, s5
	flat_load_b64 v[2:3], v[1:2]
.LBB162_2:
	v_dual_mov_b32 v9, s3 :: v_dual_mov_b32 v8, s2
	s_and_not1_b32 vcc_lo, exec_lo, s9
	s_cbranch_vccnz .LBB162_4
; %bb.3:
	v_dual_mov_b32 v5, s3 :: v_dual_mov_b32 v4, s2
	flat_load_b64 v[8:9], v[4:5]
.LBB162_4:
	s_wait_loadcnt_dscnt 0x0
	v_cmp_neq_f64_e32 vcc_lo, 0, v[2:3]
	v_cmp_neq_f64_e64 s2, 1.0, v[8:9]
	s_or_b32 s2, vcc_lo, s2
	s_wait_alu 0xfffe
	s_and_saveexec_b32 s3, s2
	s_cbranch_execz .LBB162_10
; %bb.5:
	s_load_b64 s[2:3], s[0:1], 0x20
	v_lshrrev_b32_e32 v1, 4, v0
	v_mov_b32_e32 v7, 0
	s_delay_alu instid0(VALU_DEP_2)
	v_lshl_or_b32 v6, ttmp9, 3, v1
	s_wait_kmcnt 0x0
	s_cmp_lg_u64 s[2:3], 0
	s_cbranch_scc0 .LBB162_11
; %bb.6:
	s_delay_alu instid0(VALU_DEP_1)
	v_cmp_gt_i64_e32 vcc_lo, s[6:7], v[6:7]
	s_mov_b32 s5, 0
	s_mov_b32 s4, 0
                                        ; implicit-def: $vgpr10_vgpr11
                                        ; implicit-def: $vgpr4_vgpr5
	s_and_saveexec_b32 s6, vcc_lo
	s_wait_alu 0xfffe
	s_xor_b32 s6, exec_lo, s6
	s_cbranch_execz .LBB162_8
; %bb.7:
	v_lshlrev_b64_e32 v[4:5], 3, v[6:7]
	s_mov_b32 s9, 0
	s_mov_b32 s4, exec_lo
	s_delay_alu instid0(VALU_DEP_1) | instskip(NEXT) | instid1(VALU_DEP_1)
	v_add_co_u32 v4, vcc_lo, s2, v4
	v_add_co_ci_u32_e64 v5, null, s3, v5, vcc_lo
	global_load_b64 v[4:5], v[4:5], off
	s_wait_loadcnt 0x0
	v_sub_co_u32 v10, vcc_lo, v4, s8
	s_wait_alu 0xfffd
	v_subrev_co_ci_u32_e64 v11, null, 0, v5, vcc_lo
	v_dual_mov_b32 v4, s8 :: v_dual_mov_b32 v5, s9
.LBB162_8:
	s_wait_alu 0xfffe
	s_or_b32 exec_lo, exec_lo, s6
	s_delay_alu instid0(SALU_CYCLE_1)
	s_and_b32 vcc_lo, exec_lo, s5
	s_wait_alu 0xfffe
	s_cbranch_vccnz .LBB162_12
.LBB162_9:
	s_wait_alu 0xfffe
	s_and_b32 exec_lo, exec_lo, s4
	s_cbranch_execnz .LBB162_15
.LBB162_10:
	s_nop 0
	s_sendmsg sendmsg(MSG_DEALLOC_VGPRS)
	s_endpgm
.LBB162_11:
	s_mov_b32 s4, 0
                                        ; implicit-def: $vgpr10_vgpr11
                                        ; implicit-def: $vgpr4_vgpr5
	s_cbranch_execz .LBB162_9
.LBB162_12:
	s_load_b64 s[2:3], s[0:1], 0x0
	s_wait_kmcnt 0x0
	v_cmp_gt_i64_e32 vcc_lo, s[2:3], v[6:7]
	s_and_saveexec_b32 s2, vcc_lo
; %bb.13:
	s_mov_b32 s9, 0
	s_or_b32 s4, s4, exec_lo
; %bb.14:
	s_wait_alu 0xfffe
	s_or_b32 exec_lo, exec_lo, s2
	v_dual_mov_b32 v4, s8 :: v_dual_mov_b32 v5, s9
	v_dual_mov_b32 v11, v7 :: v_dual_mov_b32 v10, v6
	s_and_b32 exec_lo, exec_lo, s4
	s_cbranch_execz .LBB162_10
.LBB162_15:
	s_load_b256 s[4:11], s[0:1], 0x28
	s_delay_alu instid0(VALU_DEP_1) | instskip(SKIP_3) | instid1(VALU_DEP_2)
	v_lshlrev_b64_e32 v[6:7], 3, v[10:11]
	v_and_b32_e32 v34, 15, v0
	s_load_b32 s3, s[0:1], 0x8
	s_wait_kmcnt 0x0
	v_add_co_u32 v12, vcc_lo, s4, v6
	s_wait_alu 0xfffd
	v_add_co_ci_u32_e64 v13, null, s5, v7, vcc_lo
	v_add_co_u32 v1, vcc_lo, s6, v6
	s_wait_alu 0xfffd
	v_add_co_ci_u32_e64 v6, null, s7, v7, vcc_lo
	v_add_co_u32 v14, vcc_lo, v12, 8
	global_load_b64 v[22:23], v[12:13], off
	s_wait_alu 0xfffd
	v_add_co_ci_u32_e64 v7, null, 0, v13, vcc_lo
	s_cmp_eq_u64 s[6:7], 0
	s_load_b64 s[4:5], s[0:1], 0x48
	s_cselect_b32 vcc_lo, -1, 0
	s_cmp_eq_u32 s3, 1
	s_wait_alu 0xfffe
	v_dual_cndmask_b32 v7, v6, v7 :: v_dual_cndmask_b32 v6, v1, v14
	global_load_b64 v[6:7], v[6:7], off
	s_wait_loadcnt 0x1
	v_sub_co_u32 v0, vcc_lo, v22, v4
	s_wait_alu 0xfffd
	v_sub_co_ci_u32_e64 v1, null, v23, v5, vcc_lo
	s_delay_alu instid0(VALU_DEP_2) | instskip(SKIP_1) | instid1(VALU_DEP_2)
	v_add_co_u32 v0, vcc_lo, v0, v34
	s_wait_alu 0xfffd
	v_add_co_ci_u32_e64 v1, null, 0, v1, vcc_lo
	s_delay_alu instid0(VALU_DEP_1) | instskip(SKIP_4) | instid1(VALU_DEP_3)
	v_lshlrev_b64_e32 v[12:13], 6, v[0:1]
	s_wait_loadcnt 0x0
	v_sub_co_u32 v6, vcc_lo, v6, v4
	s_wait_alu 0xfffd
	v_sub_co_ci_u32_e64 v7, null, v7, v5, vcc_lo
	v_add_co_u32 v12, vcc_lo, s10, v12
	s_delay_alu instid0(VALU_DEP_2)
	v_cmp_lt_i64_e64 s2, v[0:1], v[6:7]
	s_wait_alu 0xfffd
	v_add_co_ci_u32_e64 v13, null, s11, v13, vcc_lo
	s_cbranch_scc1 .LBB162_27
; %bb.16:
	v_mov_b32_e32 v14, 0
	v_dual_mov_b32 v20, 0 :: v_dual_mov_b32 v15, 0
	v_dual_mov_b32 v16, 0 :: v_dual_mov_b32 v21, 0
	;; [unrolled: 1-line block ×3, first 2 shown]
	v_mov_b32_e32 v19, 0
	s_and_saveexec_b32 s6, s2
	s_cbranch_execz .LBB162_26
; %bb.17:
	v_or_b32_e32 v14, 16, v34
	v_not_b32_e32 v17, v22
	v_sub_co_u32 v18, s3, v4, v34
	v_not_b32_e32 v16, v23
	s_delay_alu instid0(VALU_DEP_4)
	v_sub_co_u32 v14, vcc_lo, v14, v4
	s_wait_alu 0xfffd
	v_sub_co_ci_u32_e64 v15, null, 0, v5, vcc_lo
	s_wait_alu 0xf1ff
	v_subrev_co_ci_u32_e64 v19, null, 0, v5, s3
	v_add_co_u32 v14, vcc_lo, v14, v22
	s_wait_alu 0xfffd
	v_add_co_ci_u32_e64 v15, null, v15, v23, vcc_lo
	v_dual_mov_b32 v27, v1 :: v_dual_mov_b32 v26, v0
	v_mov_b32_e32 v20, 0
	s_delay_alu instid0(VALU_DEP_3)
	v_cmp_gt_i64_e32 vcc_lo, v[14:15], v[6:7]
	v_mov_b32_e32 v21, 0
	s_wait_alu 0xfffd
	v_dual_cndmask_b32 v15, v7, v15 :: v_dual_cndmask_b32 v14, v6, v14
	v_add_co_u32 v17, vcc_lo, v18, v17
	s_wait_alu 0xfffd
	v_add_co_ci_u32_e64 v16, null, v19, v16, vcc_lo
	v_mov_b32_e32 v18, 0
	s_delay_alu instid0(VALU_DEP_3) | instskip(SKIP_3) | instid1(VALU_DEP_3)
	v_add_co_u32 v28, vcc_lo, v17, v14
	v_mov_b32_e32 v25, 0
	s_wait_alu 0xfffd
	v_add_co_ci_u32_e64 v29, null, v16, v15, vcc_lo
	v_and_b32_e32 v24, 48, v28
	v_dual_mov_b32 v16, 0 :: v_dual_mov_b32 v19, 0
	v_dual_mov_b32 v17, 0 :: v_dual_mov_b32 v14, 0
	s_delay_alu instid0(VALU_DEP_3)
	v_cmp_ne_u64_e32 vcc_lo, 48, v[24:25]
	v_mov_b32_e32 v15, 0
	v_dual_mov_b32 v25, v13 :: v_dual_mov_b32 v24, v12
	s_and_saveexec_b32 s7, vcc_lo
	s_cbranch_execz .LBB162_21
; %bb.18:
	v_lshrrev_b32_e32 v14, 4, v28
	v_lshlrev_b64_e32 v[18:19], 3, v[0:1]
	v_mov_b32_e32 v16, 0
	v_mov_b32_e32 v20, 0
	s_delay_alu instid0(VALU_DEP_4) | instskip(SKIP_3) | instid1(VALU_DEP_4)
	v_dual_mov_b32 v21, 0 :: v_dual_add_nc_u32 v26, 1, v14
	v_dual_mov_b32 v14, 0 :: v_dual_mov_b32 v25, v13
	v_mov_b32_e32 v15, 0
	v_add_co_u32 v30, vcc_lo, s8, v18
	v_and_b32_e32 v26, 3, v26
	s_wait_alu 0xfffd
	v_add_co_ci_u32_e64 v31, null, s9, v19, vcc_lo
	v_mov_b32_e32 v18, 0
	v_dual_mov_b32 v24, v12 :: v_dual_mov_b32 v17, 0
	v_sub_co_u32 v32, s3, 0, v26
	v_mov_b32_e32 v27, v1
	s_wait_alu 0xf1ff
	v_sub_co_ci_u32_e64 v33, null, 0, 0, s3
	v_dual_mov_b32 v19, 0 :: v_dual_mov_b32 v26, v0
	s_mov_b32 s10, 0
.LBB162_19:                             ; =>This Inner Loop Header: Depth=1
	global_load_b64 v[51:52], v[30:31], off
	s_clause 0x3
	global_load_b128 v[35:38], v[24:25], off
	global_load_b128 v[39:42], v[24:25], off offset:16
	global_load_b128 v[43:46], v[24:25], off offset:32
	;; [unrolled: 1-line block ×3, first 2 shown]
	v_add_co_u32 v30, s3, 0x80, v30
	s_wait_alu 0xf1ff
	v_add_co_ci_u32_e64 v31, null, 0, v31, s3
	s_wait_loadcnt 0x4
	v_sub_co_u32 v51, vcc_lo, v51, v4
	s_wait_alu 0xfffd
	v_sub_co_ci_u32_e64 v52, null, v52, v5, vcc_lo
	s_wait_loadcnt 0x3
	v_cvt_f64_f32_e32 v[59:60], v35
	s_wait_loadcnt 0x2
	v_cvt_f64_f32_e32 v[61:62], v39
	;; [unrolled: 2-line block ×3, first 2 shown]
	v_lshlrev_b64_e32 v[51:52], 5, v[51:52]
	s_wait_loadcnt 0x0
	v_cvt_f64_f32_e32 v[65:66], v47
	v_cvt_f64_f32_e32 v[35:36], v36
	;; [unrolled: 1-line block ×5, first 2 shown]
	s_wait_kmcnt 0x0
	v_add_co_u32 v55, vcc_lo, s4, v51
	s_wait_alu 0xfffd
	v_add_co_ci_u32_e64 v56, null, s5, v52, vcc_lo
	v_add_co_u32 v24, vcc_lo, 0x400, v24
	s_wait_alu 0xfffd
	v_add_co_ci_u32_e64 v25, null, 0, v25, vcc_lo
	s_clause 0x1
	global_load_b128 v[51:54], v[55:56], off
	global_load_b128 v[55:58], v[55:56], off offset:16
	v_add_co_u32 v32, vcc_lo, v32, 1
	s_wait_alu 0xfffd
	v_add_co_ci_u32_e64 v33, null, 0, v33, vcc_lo
	v_add_co_u32 v26, vcc_lo, v26, 16
	s_wait_alu 0xfffd
	v_add_co_ci_u32_e64 v27, null, 0, v27, vcc_lo
	s_delay_alu instid0(VALU_DEP_3)
	v_cmp_eq_u64_e32 vcc_lo, 0, v[32:33]
	s_wait_alu 0xfffe
	s_or_b32 s10, vcc_lo, s10
	s_wait_loadcnt 0x1
	v_fma_f64 v[18:19], v[59:60], v[51:52], v[18:19]
	v_fma_f64 v[20:21], v[61:62], v[51:52], v[20:21]
	;; [unrolled: 1-line block ×4, first 2 shown]
	v_cvt_f64_f32_e32 v[51:52], v37
	v_cvt_f64_f32_e32 v[59:60], v41
	;; [unrolled: 1-line block ×4, first 2 shown]
	v_fma_f64 v[18:19], v[35:36], v[53:54], v[18:19]
	v_fma_f64 v[20:21], v[39:40], v[53:54], v[20:21]
	;; [unrolled: 1-line block ×4, first 2 shown]
	v_cvt_f64_f32_e32 v[35:36], v38
	v_cvt_f64_f32_e32 v[37:38], v42
	;; [unrolled: 1-line block ×4, first 2 shown]
	s_wait_loadcnt 0x0
	v_fma_f64 v[18:19], v[51:52], v[55:56], v[18:19]
	v_fma_f64 v[20:21], v[59:60], v[55:56], v[20:21]
	;; [unrolled: 1-line block ×4, first 2 shown]
	s_delay_alu instid0(VALU_DEP_4) | instskip(NEXT) | instid1(VALU_DEP_4)
	v_fma_f64 v[18:19], v[35:36], v[57:58], v[18:19]
	v_fma_f64 v[20:21], v[37:38], v[57:58], v[20:21]
	s_delay_alu instid0(VALU_DEP_4) | instskip(NEXT) | instid1(VALU_DEP_4)
	v_fma_f64 v[16:17], v[39:40], v[57:58], v[16:17]
	v_fma_f64 v[14:15], v[41:42], v[57:58], v[14:15]
	s_wait_alu 0xfffe
	s_and_not1_b32 exec_lo, exec_lo, s10
	s_cbranch_execnz .LBB162_19
; %bb.20:
	s_or_b32 exec_lo, exec_lo, s10
.LBB162_21:
	s_wait_alu 0xfffe
	s_or_b32 exec_lo, exec_lo, s7
	s_delay_alu instid0(SALU_CYCLE_1)
	s_mov_b32 s7, exec_lo
	v_cmpx_lt_u64_e32 47, v[28:29]
	s_cbranch_execz .LBB162_25
; %bb.22:
	v_lshlrev_b64_e32 v[28:29], 3, v[26:27]
	s_mov_b32 s10, 0
	s_delay_alu instid0(VALU_DEP_1) | instskip(SKIP_1) | instid1(VALU_DEP_2)
	v_add_co_u32 v28, vcc_lo, s8, v28
	s_wait_alu 0xfffd
	v_add_co_ci_u32_e64 v29, null, s9, v29, vcc_lo
	s_delay_alu instid0(VALU_DEP_2) | instskip(SKIP_1) | instid1(VALU_DEP_2)
	v_add_co_u32 v28, vcc_lo, 0x100, v28
	s_wait_alu 0xfffd
	v_add_co_ci_u32_e64 v29, null, 0, v29, vcc_lo
.LBB162_23:                             ; =>This Inner Loop Header: Depth=1
	s_clause 0x1
	global_load_b64 v[47:48], v[28:29], off offset:-256
	global_load_b64 v[71:72], v[28:29], off offset:-128
	s_clause 0x3
	global_load_b128 v[30:33], v[24:25], off
	global_load_b128 v[35:38], v[24:25], off offset:16
	global_load_b128 v[39:42], v[24:25], off offset:32
	;; [unrolled: 1-line block ×3, first 2 shown]
	s_clause 0x1
	global_load_b64 v[95:96], v[28:29], off
	global_load_b64 v[99:100], v[28:29], off offset:128
	v_add_co_u32 v28, s3, 0x200, v28
	s_wait_alu 0xf1ff
	v_add_co_ci_u32_e64 v29, null, 0, v29, s3
	s_wait_loadcnt 0x7
	v_sub_co_u32 v47, vcc_lo, v47, v4
	s_wait_alu 0xfffd
	v_sub_co_ci_u32_e64 v48, null, v48, v5, vcc_lo
	s_wait_loadcnt 0x5
	v_cvt_f64_f32_e32 v[101:102], v30
	s_wait_loadcnt 0x4
	v_cvt_f64_f32_e32 v[103:104], v35
	;; [unrolled: 2-line block ×3, first 2 shown]
	v_lshlrev_b64_e32 v[47:48], 5, v[47:48]
	s_wait_loadcnt 0x2
	v_cvt_f64_f32_e32 v[107:108], v43
	v_cvt_f64_f32_e32 v[30:31], v31
	;; [unrolled: 1-line block ×5, first 2 shown]
	s_wait_kmcnt 0x0
	v_add_co_u32 v51, vcc_lo, s4, v47
	s_wait_alu 0xfffd
	v_add_co_ci_u32_e64 v52, null, s5, v48, vcc_lo
	v_sub_co_u32 v71, vcc_lo, v71, v4
	s_wait_alu 0xfffd
	v_sub_co_ci_u32_e64 v72, null, v72, v5, vcc_lo
	s_clause 0x1
	global_load_b128 v[47:50], v[51:52], off
	global_load_b128 v[51:54], v[51:52], off offset:16
	s_clause 0x3
	global_load_b128 v[55:58], v[24:25], off offset:1024
	global_load_b128 v[59:62], v[24:25], off offset:1040
	;; [unrolled: 1-line block ×4, first 2 shown]
	v_lshlrev_b64_e32 v[71:72], 5, v[71:72]
	s_delay_alu instid0(VALU_DEP_1) | instskip(SKIP_1) | instid1(VALU_DEP_2)
	v_add_co_u32 v75, vcc_lo, s4, v71
	s_wait_alu 0xfffd
	v_add_co_ci_u32_e64 v76, null, s5, v72, vcc_lo
	s_wait_loadcnt 0x7
	v_sub_co_u32 v95, vcc_lo, v95, v4
	s_clause 0x1
	global_load_b128 v[71:74], v[75:76], off
	global_load_b128 v[75:78], v[75:76], off offset:16
	s_clause 0x3
	global_load_b128 v[79:82], v[24:25], off offset:2048
	global_load_b128 v[83:86], v[24:25], off offset:2064
	;; [unrolled: 1-line block ×4, first 2 shown]
	s_wait_alu 0xfffd
	v_sub_co_ci_u32_e64 v96, null, v96, v5, vcc_lo
	s_delay_alu instid0(VALU_DEP_1) | instskip(NEXT) | instid1(VALU_DEP_1)
	v_lshlrev_b64_e32 v[95:96], 5, v[95:96]
	v_add_co_u32 v109, vcc_lo, s4, v95
	s_wait_alu 0xfffd
	s_delay_alu instid0(VALU_DEP_2)
	v_add_co_ci_u32_e64 v110, null, s5, v96, vcc_lo
	s_wait_loadcnt 0xc
	v_sub_co_u32 v99, vcc_lo, v99, v4
	s_wait_alu 0xfffd
	v_sub_co_ci_u32_e64 v100, null, v100, v5, vcc_lo
	global_load_b128 v[95:98], v[109:110], off
	s_wait_loadcnt 0xc
	v_fma_f64 v[18:19], v[101:102], v[47:48], v[18:19]
	v_fma_f64 v[20:21], v[103:104], v[47:48], v[20:21]
	;; [unrolled: 1-line block ×4, first 2 shown]
	v_cvt_f64_f32_e32 v[47:48], v32
	v_cvt_f64_f32_e32 v[101:102], v37
	;; [unrolled: 1-line block ×6, first 2 shown]
	s_wait_loadcnt 0x8
	v_cvt_f64_f32_e32 v[111:112], v63
	s_wait_loadcnt 0x7
	v_cvt_f64_f32_e32 v[113:114], v67
	v_cvt_f64_f32_e32 v[63:64], v64
	;; [unrolled: 1-line block ×3, first 2 shown]
	v_fma_f64 v[18:19], v[30:31], v[49:50], v[18:19]
	v_fma_f64 v[20:21], v[35:36], v[49:50], v[20:21]
	;; [unrolled: 1-line block ×4, first 2 shown]
	global_load_b128 v[14:17], v[109:110], off offset:16
	v_cvt_f64_f32_e32 v[43:44], v33
	v_cvt_f64_f32_e32 v[49:50], v38
	;; [unrolled: 1-line block ×4, first 2 shown]
	v_fma_f64 v[47:48], v[47:48], v[51:52], v[18:19]
	v_fma_f64 v[101:102], v[101:102], v[51:52], v[20:21]
	;; [unrolled: 1-line block ×4, first 2 shown]
	s_clause 0x3
	global_load_b128 v[18:21], v[24:25], off offset:3072
	global_load_b128 v[30:33], v[24:25], off offset:3088
	;; [unrolled: 1-line block ×4, first 2 shown]
	v_cvt_f64_f32_e32 v[105:106], v55
	v_cvt_f64_f32_e32 v[55:56], v56
	v_fma_f64 v[47:48], v[43:44], v[53:54], v[47:48]
	v_fma_f64 v[49:50], v[49:50], v[53:54], v[101:102]
	;; [unrolled: 1-line block ×4, first 2 shown]
	v_lshlrev_b64_e32 v[43:44], 5, v[99:100]
	v_cvt_f64_f32_e32 v[103:104], v65
	s_delay_alu instid0(VALU_DEP_2) | instskip(SKIP_1) | instid1(VALU_DEP_3)
	v_add_co_u32 v53, vcc_lo, s4, v43
	s_wait_alu 0xfffd
	v_add_co_ci_u32_e64 v54, null, s5, v44, vcc_lo
	v_add_co_u32 v26, vcc_lo, v26, 64
	s_wait_alu 0xfffd
	v_add_co_ci_u32_e64 v27, null, 0, v27, vcc_lo
	global_load_b128 v[43:46], v[53:54], off
	v_add_co_u32 v24, vcc_lo, 0x1000, v24
	s_wait_alu 0xfffd
	v_add_co_ci_u32_e64 v25, null, 0, v25, vcc_lo
	v_cmp_ge_i64_e32 vcc_lo, v[26:27], v[6:7]
	s_wait_alu 0xfffe
	s_or_b32 s10, vcc_lo, s10
	s_wait_loadcnt 0xc
	v_fma_f64 v[47:48], v[105:106], v[71:72], v[47:48]
	v_fma_f64 v[49:50], v[109:110], v[71:72], v[49:50]
	v_fma_f64 v[99:100], v[111:112], v[71:72], v[101:102]
	v_fma_f64 v[51:52], v[113:114], v[71:72], v[51:52]
	v_cvt_f64_f32_e32 v[71:72], v57
	v_cvt_f64_f32_e32 v[101:102], v61
	;; [unrolled: 1-line block ×3, first 2 shown]
	v_fma_f64 v[55:56], v[55:56], v[73:74], v[47:48]
	v_fma_f64 v[59:60], v[59:60], v[73:74], v[49:50]
	;; [unrolled: 1-line block ×4, first 2 shown]
	global_load_b128 v[47:50], v[53:54], off offset:16
	v_cvt_f64_f32_e32 v[53:54], v58
	v_cvt_f64_f32_e32 v[57:58], v62
	;; [unrolled: 1-line block ×4, first 2 shown]
	s_wait_loadcnt 0xb
	v_cvt_f64_f32_e32 v[67:68], v79
	s_wait_loadcnt 0xa
	v_cvt_f64_f32_e32 v[69:70], v83
	;; [unrolled: 2-line block ×3, first 2 shown]
	v_fma_f64 v[55:56], v[71:72], v[75:76], v[55:56]
	v_fma_f64 v[59:60], v[101:102], v[75:76], v[59:60]
	;; [unrolled: 1-line block ×4, first 2 shown]
	v_cvt_f64_f32_e32 v[71:72], v87
	v_fma_f64 v[53:54], v[53:54], v[77:78], v[55:56]
	v_fma_f64 v[55:56], v[57:58], v[77:78], v[59:60]
	;; [unrolled: 1-line block ×4, first 2 shown]
	v_cvt_f64_f32_e32 v[59:60], v80
	v_cvt_f64_f32_e32 v[61:62], v84
	;; [unrolled: 1-line block ×4, first 2 shown]
	s_wait_loadcnt 0x7
	v_fma_f64 v[53:54], v[67:68], v[95:96], v[53:54]
	v_fma_f64 v[55:56], v[69:70], v[95:96], v[55:56]
	v_fma_f64 v[57:58], v[71:72], v[95:96], v[57:58]
	v_fma_f64 v[51:52], v[73:74], v[95:96], v[51:52]
	v_cvt_f64_f32_e32 v[67:68], v81
	v_cvt_f64_f32_e32 v[69:70], v85
	;; [unrolled: 1-line block ×4, first 2 shown]
	v_fma_f64 v[53:54], v[59:60], v[97:98], v[53:54]
	v_fma_f64 v[55:56], v[61:62], v[97:98], v[55:56]
	;; [unrolled: 1-line block ×4, first 2 shown]
	v_cvt_f64_f32_e32 v[59:60], v82
	v_cvt_f64_f32_e32 v[61:62], v86
	;; [unrolled: 1-line block ×4, first 2 shown]
	s_wait_loadcnt 0x6
	v_fma_f64 v[53:54], v[67:68], v[14:15], v[53:54]
	v_fma_f64 v[55:56], v[69:70], v[14:15], v[55:56]
	;; [unrolled: 1-line block ×4, first 2 shown]
	s_wait_loadcnt 0x5
	v_cvt_f64_f32_e32 v[51:52], v18
	s_wait_loadcnt 0x4
	v_cvt_f64_f32_e32 v[67:68], v30
	;; [unrolled: 2-line block ×4, first 2 shown]
	v_fma_f64 v[53:54], v[59:60], v[16:17], v[53:54]
	v_fma_f64 v[55:56], v[61:62], v[16:17], v[55:56]
	;; [unrolled: 1-line block ×4, first 2 shown]
	v_cvt_f64_f32_e32 v[16:17], v19
	v_cvt_f64_f32_e32 v[18:19], v31
	;; [unrolled: 1-line block ×5, first 2 shown]
	s_wait_loadcnt 0x1
	v_fma_f64 v[39:40], v[51:52], v[43:44], v[53:54]
	v_fma_f64 v[51:52], v[67:68], v[43:44], v[55:56]
	;; [unrolled: 1-line block ×4, first 2 shown]
	v_cvt_f64_f32_e32 v[43:44], v20
	v_cvt_f64_f32_e32 v[55:56], v32
	;; [unrolled: 1-line block ×5, first 2 shown]
	v_fma_f64 v[16:17], v[16:17], v[45:46], v[39:40]
	v_fma_f64 v[18:19], v[18:19], v[45:46], v[51:52]
	;; [unrolled: 1-line block ×4, first 2 shown]
	v_cvt_f64_f32_e32 v[35:36], v38
	v_cvt_f64_f32_e32 v[37:38], v42
	s_wait_loadcnt 0x0
	v_fma_f64 v[16:17], v[43:44], v[47:48], v[16:17]
	v_fma_f64 v[39:40], v[55:56], v[47:48], v[18:19]
	;; [unrolled: 1-line block ×4, first 2 shown]
	s_delay_alu instid0(VALU_DEP_4) | instskip(NEXT) | instid1(VALU_DEP_4)
	v_fma_f64 v[18:19], v[20:21], v[49:50], v[16:17]
	v_fma_f64 v[20:21], v[32:33], v[49:50], v[39:40]
	s_delay_alu instid0(VALU_DEP_4) | instskip(NEXT) | instid1(VALU_DEP_4)
	v_fma_f64 v[16:17], v[35:36], v[49:50], v[30:31]
	v_fma_f64 v[14:15], v[37:38], v[49:50], v[14:15]
	s_wait_alu 0xfffe
	s_and_not1_b32 exec_lo, exec_lo, s10
	s_cbranch_execnz .LBB162_23
; %bb.24:
	s_or_b32 exec_lo, exec_lo, s10
.LBB162_25:
	s_wait_alu 0xfffe
	s_or_b32 exec_lo, exec_lo, s7
.LBB162_26:
	s_wait_alu 0xfffe
	s_or_b32 exec_lo, exec_lo, s6
	s_cbranch_execz .LBB162_28
	s_branch .LBB162_39
.LBB162_27:
                                        ; implicit-def: $vgpr14_vgpr15
                                        ; implicit-def: $vgpr16_vgpr17
                                        ; implicit-def: $vgpr20_vgpr21
                                        ; implicit-def: $vgpr18_vgpr19
.LBB162_28:
	v_mov_b32_e32 v14, 0
	v_dual_mov_b32 v20, 0 :: v_dual_mov_b32 v15, 0
	v_dual_mov_b32 v16, 0 :: v_dual_mov_b32 v21, 0
	;; [unrolled: 1-line block ×3, first 2 shown]
	v_mov_b32_e32 v19, 0
	s_and_saveexec_b32 s3, s2
	s_cbranch_execz .LBB162_38
; %bb.29:
	v_or_b32_e32 v14, 16, v34
	v_not_b32_e32 v17, v22
	v_sub_co_u32 v18, s2, v4, v34
	v_not_b32_e32 v16, v23
	s_delay_alu instid0(VALU_DEP_4)
	v_sub_co_u32 v14, vcc_lo, v14, v4
	s_wait_alu 0xfffd
	v_sub_co_ci_u32_e64 v15, null, 0, v5, vcc_lo
	s_wait_alu 0xf1ff
	v_subrev_co_ci_u32_e64 v19, null, 0, v5, s2
	v_add_co_u32 v14, vcc_lo, v14, v22
	s_wait_alu 0xfffd
	v_add_co_ci_u32_e64 v15, null, v15, v23, vcc_lo
	s_delay_alu instid0(VALU_DEP_1)
	v_cmp_gt_i64_e32 vcc_lo, v[14:15], v[6:7]
	s_wait_alu 0xfffd
	v_cndmask_b32_e32 v20, v7, v15, vcc_lo
	v_cndmask_b32_e32 v14, v6, v14, vcc_lo
	v_add_co_u32 v15, vcc_lo, v18, v17
	s_wait_alu 0xfffd
	v_add_co_ci_u32_e64 v16, null, v19, v16, vcc_lo
	v_mov_b32_e32 v18, 0
	v_mov_b32_e32 v19, 0
	v_add_co_u32 v22, vcc_lo, v15, v14
	v_mov_b32_e32 v15, 0
	s_wait_alu 0xfffd
	v_add_co_ci_u32_e64 v23, null, v16, v20, vcc_lo
	s_delay_alu instid0(VALU_DEP_3) | instskip(SKIP_3) | instid1(VALU_DEP_4)
	v_and_b32_e32 v14, 48, v22
	v_mov_b32_e32 v20, 0
	v_dual_mov_b32 v21, 0 :: v_dual_mov_b32 v16, 0
	v_mov_b32_e32 v17, 0
	v_cmp_ne_u64_e32 vcc_lo, 48, v[14:15]
	v_mov_b32_e32 v14, 0
	v_mov_b32_e32 v15, 0
	s_and_saveexec_b32 s6, vcc_lo
	s_cbranch_execz .LBB162_33
; %bb.30:
	v_lshrrev_b32_e32 v14, 4, v22
	v_lshlrev_b64_e32 v[24:25], 3, v[0:1]
	v_mov_b32_e32 v16, 0
	v_mov_b32_e32 v20, 0
	;; [unrolled: 1-line block ×3, first 2 shown]
	v_add_nc_u32_e32 v26, 1, v14
	v_dual_mov_b32 v14, 0 :: v_dual_mov_b32 v17, 0
	v_mov_b32_e32 v15, 0
	v_add_co_u32 v24, vcc_lo, s8, v24
	s_delay_alu instid0(VALU_DEP_4) | instskip(SKIP_3) | instid1(VALU_DEP_3)
	v_dual_mov_b32 v21, 0 :: v_dual_and_b32 v26, 3, v26
	v_mov_b32_e32 v19, 0
	s_wait_alu 0xfffd
	v_add_co_ci_u32_e64 v25, null, s9, v25, vcc_lo
	v_sub_co_u32 v26, s2, 0, v26
	s_wait_alu 0xf1ff
	v_sub_co_ci_u32_e64 v27, null, 0, 0, s2
	s_mov_b32 s7, 0
.LBB162_31:                             ; =>This Inner Loop Header: Depth=1
	global_load_b64 v[32:33], v[24:25], off
	s_clause 0x1
	global_load_b128 v[28:31], v[12:13], off
	global_load_b128 v[35:38], v[12:13], off offset:16
	v_add_co_u32 v24, s2, 0x80, v24
	s_wait_alu 0xf1ff
	v_add_co_ci_u32_e64 v25, null, 0, v25, s2
	s_wait_loadcnt 0x2
	v_sub_co_u32 v32, vcc_lo, v32, v4
	s_wait_alu 0xfffd
	v_sub_co_ci_u32_e64 v33, null, v33, v5, vcc_lo
	s_wait_loadcnt 0x1
	v_cvt_f64_f32_e32 v[55:56], v30
	v_cvt_f64_f32_e32 v[30:31], v31
	s_wait_loadcnt 0x0
	v_cvt_f64_f32_e32 v[57:58], v35
	v_lshlrev_b64_e32 v[32:33], 5, v[32:33]
	v_cvt_f64_f32_e32 v[35:36], v36
	v_cvt_f64_f32_e32 v[59:60], v37
	;; [unrolled: 1-line block ×3, first 2 shown]
	s_wait_kmcnt 0x0
	s_delay_alu instid0(VALU_DEP_4)
	v_add_co_u32 v32, vcc_lo, s4, v32
	s_wait_alu 0xfffd
	v_add_co_ci_u32_e64 v33, null, s5, v33, vcc_lo
	s_clause 0x1
	global_load_b128 v[39:42], v[32:33], off
	global_load_b128 v[43:46], v[32:33], off offset:16
	s_clause 0x1
	global_load_b128 v[47:50], v[12:13], off offset:32
	global_load_b128 v[51:54], v[12:13], off offset:48
	v_cvt_f64_f32_e32 v[32:33], v28
	v_cvt_f64_f32_e32 v[28:29], v29
	v_add_co_u32 v12, vcc_lo, 0x400, v12
	s_wait_alu 0xfffd
	v_add_co_ci_u32_e64 v13, null, 0, v13, vcc_lo
	v_add_co_u32 v26, vcc_lo, v26, 1
	s_wait_alu 0xfffd
	v_add_co_ci_u32_e64 v27, null, 0, v27, vcc_lo
	;; [unrolled: 3-line block ×3, first 2 shown]
	s_delay_alu instid0(VALU_DEP_3)
	v_cmp_eq_u64_e32 vcc_lo, 0, v[26:27]
	s_wait_alu 0xfffe
	s_or_b32 s7, vcc_lo, s7
	s_wait_loadcnt 0x3
	v_fma_f64 v[18:19], v[32:33], v[39:40], v[18:19]
	v_fma_f64 v[20:21], v[28:29], v[39:40], v[20:21]
	;; [unrolled: 1-line block ×4, first 2 shown]
	s_wait_loadcnt 0x1
	v_cvt_f64_f32_e32 v[28:29], v47
	v_cvt_f64_f32_e32 v[30:31], v48
	;; [unrolled: 1-line block ×4, first 2 shown]
	s_wait_loadcnt 0x0
	v_cvt_f64_f32_e32 v[47:48], v54
	v_fma_f64 v[18:19], v[57:58], v[41:42], v[18:19]
	v_fma_f64 v[20:21], v[35:36], v[41:42], v[20:21]
	;; [unrolled: 1-line block ×4, first 2 shown]
	v_cvt_f64_f32_e32 v[35:36], v51
	v_cvt_f64_f32_e32 v[37:38], v52
	;; [unrolled: 1-line block ×3, first 2 shown]
	v_fma_f64 v[18:19], v[28:29], v[43:44], v[18:19]
	v_fma_f64 v[20:21], v[30:31], v[43:44], v[20:21]
	;; [unrolled: 1-line block ×4, first 2 shown]
	s_delay_alu instid0(VALU_DEP_4) | instskip(NEXT) | instid1(VALU_DEP_4)
	v_fma_f64 v[18:19], v[35:36], v[45:46], v[18:19]
	v_fma_f64 v[20:21], v[37:38], v[45:46], v[20:21]
	s_delay_alu instid0(VALU_DEP_4) | instskip(NEXT) | instid1(VALU_DEP_4)
	v_fma_f64 v[16:17], v[41:42], v[45:46], v[16:17]
	v_fma_f64 v[14:15], v[47:48], v[45:46], v[14:15]
	s_wait_alu 0xfffe
	s_and_not1_b32 exec_lo, exec_lo, s7
	s_cbranch_execnz .LBB162_31
; %bb.32:
	s_or_b32 exec_lo, exec_lo, s7
.LBB162_33:
	s_wait_alu 0xfffe
	s_or_b32 exec_lo, exec_lo, s6
	s_delay_alu instid0(SALU_CYCLE_1)
	s_mov_b32 s6, exec_lo
	v_cmpx_lt_u64_e32 47, v[22:23]
	s_cbranch_execz .LBB162_37
; %bb.34:
	v_lshlrev_b64_e32 v[22:23], 3, v[0:1]
	s_mov_b32 s7, 0
	s_delay_alu instid0(VALU_DEP_1) | instskip(SKIP_1) | instid1(VALU_DEP_2)
	v_add_co_u32 v22, vcc_lo, s8, v22
	s_wait_alu 0xfffd
	v_add_co_ci_u32_e64 v23, null, s9, v23, vcc_lo
	s_delay_alu instid0(VALU_DEP_2) | instskip(SKIP_1) | instid1(VALU_DEP_2)
	v_add_co_u32 v22, vcc_lo, 0x100, v22
	s_wait_alu 0xfffd
	v_add_co_ci_u32_e64 v23, null, 0, v23, vcc_lo
.LBB162_35:                             ; =>This Inner Loop Header: Depth=1
	s_clause 0x1
	global_load_b64 v[32:33], v[22:23], off offset:-256
	global_load_b64 v[55:56], v[22:23], off offset:-128
	global_load_b128 v[24:27], v[12:13], off
	global_load_b64 v[79:80], v[22:23], off
	global_load_b128 v[28:31], v[12:13], off offset:16
	global_load_b64 v[83:84], v[22:23], off offset:128
	v_add_co_u32 v22, s2, 0x200, v22
	s_wait_alu 0xf1ff
	v_add_co_ci_u32_e64 v23, null, 0, v23, s2
	s_wait_loadcnt 0x5
	v_sub_co_u32 v32, vcc_lo, v32, v4
	s_wait_alu 0xfffd
	v_sub_co_ci_u32_e64 v33, null, v33, v5, vcc_lo
	s_wait_loadcnt 0x3
	v_cvt_f64_f32_e32 v[85:86], v25
	v_cvt_f64_f32_e32 v[87:88], v26
	v_cvt_f64_f32_e32 v[89:90], v27
	v_lshlrev_b64_e32 v[32:33], 5, v[32:33]
	s_wait_loadcnt 0x1
	v_cvt_f64_f32_e32 v[93:94], v28
	v_cvt_f64_f32_e32 v[28:29], v29
	v_cvt_f64_f32_e32 v[95:96], v30
	v_cvt_f64_f32_e32 v[30:31], v31
	s_wait_kmcnt 0x0
	v_add_co_u32 v32, vcc_lo, s4, v32
	s_wait_alu 0xfffd
	v_add_co_ci_u32_e64 v33, null, s5, v33, vcc_lo
	global_load_b128 v[35:38], v[32:33], off
	s_clause 0x1
	global_load_b128 v[39:42], v[12:13], off offset:32
	global_load_b128 v[43:46], v[12:13], off offset:48
	;; [unrolled: 1-line block ×4, first 2 shown]
	v_sub_co_u32 v32, vcc_lo, v55, v4
	s_wait_alu 0xfffd
	v_sub_co_ci_u32_e64 v33, null, v56, v5, vcc_lo
	s_delay_alu instid0(VALU_DEP_1) | instskip(NEXT) | instid1(VALU_DEP_1)
	v_lshlrev_b64_e32 v[32:33], 5, v[32:33]
	v_add_co_u32 v32, vcc_lo, s4, v32
	s_wait_alu 0xfffd
	s_delay_alu instid0(VALU_DEP_2)
	v_add_co_ci_u32_e64 v33, null, s5, v33, vcc_lo
	global_load_b128 v[55:58], v[12:13], off offset:1040
	global_load_b128 v[59:62], v[32:33], off
	s_clause 0x1
	global_load_b128 v[63:66], v[12:13], off offset:1056
	global_load_b128 v[67:70], v[12:13], off offset:1072
	;; [unrolled: 1-line block ×4, first 2 shown]
	v_cvt_f64_f32_e32 v[32:33], v24
	v_sub_co_u32 v24, vcc_lo, v79, v4
	s_wait_alu 0xfffd
	v_sub_co_ci_u32_e64 v25, null, v80, v5, vcc_lo
	s_delay_alu instid0(VALU_DEP_1) | instskip(NEXT) | instid1(VALU_DEP_1)
	v_lshlrev_b64_e32 v[24:25], 5, v[24:25]
	v_add_co_u32 v91, vcc_lo, s4, v24
	s_wait_alu 0xfffd
	s_delay_alu instid0(VALU_DEP_2)
	v_add_co_ci_u32_e64 v92, null, s5, v25, vcc_lo
	global_load_b128 v[24:27], v[12:13], off offset:2064
	global_load_b128 v[79:82], v[91:92], off
	s_wait_loadcnt 0xd
	v_sub_co_u32 v83, vcc_lo, v83, v4
	s_wait_alu 0xfffd
	v_sub_co_ci_u32_e64 v84, null, v84, v5, vcc_lo
	s_wait_loadcnt 0xc
	v_fma_f64 v[18:19], v[32:33], v[35:36], v[18:19]
	v_fma_f64 v[20:21], v[85:86], v[35:36], v[20:21]
	;; [unrolled: 1-line block ×4, first 2 shown]
	global_load_b128 v[14:17], v[12:13], off offset:2080
	s_wait_loadcnt 0xc
	v_cvt_f64_f32_e32 v[85:86], v39
	v_cvt_f64_f32_e32 v[39:40], v40
	v_cvt_f64_f32_e32 v[87:88], v41
	v_cvt_f64_f32_e32 v[41:42], v42
	v_fma_f64 v[89:90], v[93:94], v[37:38], v[18:19]
	v_fma_f64 v[93:94], v[28:29], v[37:38], v[20:21]
	;; [unrolled: 1-line block ×4, first 2 shown]
	global_load_b128 v[18:21], v[12:13], off offset:2096
	global_load_b128 v[28:31], v[91:92], off offset:16
	s_wait_loadcnt 0xd
	v_cvt_f64_f32_e32 v[91:92], v43
	v_cvt_f64_f32_e32 v[43:44], v44
	;; [unrolled: 1-line block ×4, first 2 shown]
	s_wait_loadcnt 0xc
	v_fma_f64 v[85:86], v[85:86], v[47:48], v[89:90]
	v_fma_f64 v[39:40], v[39:40], v[47:48], v[93:94]
	;; [unrolled: 1-line block ×4, first 2 shown]
	global_load_b128 v[35:38], v[12:13], off offset:3072
	s_wait_loadcnt 0xc
	v_cvt_f64_f32_e32 v[47:48], v51
	v_cvt_f64_f32_e32 v[51:52], v52
	;; [unrolled: 1-line block ×4, first 2 shown]
	s_wait_loadcnt 0xb
	v_cvt_f64_f32_e32 v[93:94], v57
	v_cvt_f64_f32_e32 v[57:58], v58
	v_fma_f64 v[85:86], v[91:92], v[49:50], v[85:86]
	v_fma_f64 v[89:90], v[43:44], v[49:50], v[39:40]
	;; [unrolled: 1-line block ×4, first 2 shown]
	v_lshlrev_b64_e32 v[39:40], 5, v[83:84]
	v_cvt_f64_f32_e32 v[91:92], v55
	v_cvt_f64_f32_e32 v[55:56], v56
	s_delay_alu instid0(VALU_DEP_3) | instskip(SKIP_1) | instid1(VALU_DEP_4)
	v_add_co_u32 v83, vcc_lo, s4, v39
	s_wait_alu 0xfffd
	v_add_co_ci_u32_e64 v84, null, s5, v40, vcc_lo
	global_load_b128 v[39:42], v[12:13], off offset:3088
	global_load_b128 v[43:46], v[83:84], off
	v_add_co_u32 v0, vcc_lo, v0, 64
	s_wait_alu 0xfffd
	v_add_co_ci_u32_e64 v1, null, 0, v1, vcc_lo
	s_wait_loadcnt 0xc
	v_fma_f64 v[85:86], v[47:48], v[59:60], v[85:86]
	v_fma_f64 v[51:52], v[51:52], v[59:60], v[89:90]
	;; [unrolled: 1-line block ×4, first 2 shown]
	global_load_b128 v[47:50], v[12:13], off offset:3104
	s_wait_loadcnt 0xc
	v_cvt_f64_f32_e32 v[59:60], v63
	v_cvt_f64_f32_e32 v[63:64], v64
	v_cvt_f64_f32_e32 v[87:88], v65
	v_cvt_f64_f32_e32 v[65:66], v66
	v_fma_f64 v[85:86], v[91:92], v[61:62], v[85:86]
	v_fma_f64 v[89:90], v[55:56], v[61:62], v[51:52]
	;; [unrolled: 1-line block ×4, first 2 shown]
	global_load_b128 v[51:54], v[12:13], off offset:3120
	global_load_b128 v[55:58], v[83:84], off offset:16
	s_wait_loadcnt 0xd
	v_cvt_f64_f32_e32 v[83:84], v67
	v_cvt_f64_f32_e32 v[67:68], v68
	;; [unrolled: 1-line block ×4, first 2 shown]
	v_add_co_u32 v12, vcc_lo, 0x1000, v12
	s_wait_alu 0xfffd
	v_add_co_ci_u32_e64 v13, null, 0, v13, vcc_lo
	v_cmp_ge_i64_e32 vcc_lo, v[0:1], v[6:7]
	s_wait_alu 0xfffe
	s_or_b32 s7, vcc_lo, s7
	s_wait_loadcnt 0xc
	v_fma_f64 v[59:60], v[59:60], v[71:72], v[85:86]
	v_fma_f64 v[63:64], v[63:64], v[71:72], v[89:90]
	v_fma_f64 v[32:33], v[87:88], v[71:72], v[32:33]
	v_fma_f64 v[61:62], v[65:66], v[71:72], v[61:62]
	s_wait_loadcnt 0xb
	v_cvt_f64_f32_e32 v[65:66], v75
	v_cvt_f64_f32_e32 v[71:72], v76
	v_cvt_f64_f32_e32 v[75:76], v77
	v_cvt_f64_f32_e32 v[77:78], v78
	v_fma_f64 v[59:60], v[83:84], v[73:74], v[59:60]
	v_fma_f64 v[63:64], v[67:68], v[73:74], v[63:64]
	v_fma_f64 v[32:33], v[91:92], v[73:74], v[32:33]
	v_fma_f64 v[61:62], v[69:70], v[73:74], v[61:62]
	s_wait_loadcnt 0xa
	v_cvt_f64_f32_e32 v[67:68], v24
	v_cvt_f64_f32_e32 v[24:25], v25
	v_cvt_f64_f32_e32 v[69:70], v26
	v_cvt_f64_f32_e32 v[26:27], v27
	s_wait_loadcnt 0x9
	v_fma_f64 v[59:60], v[65:66], v[79:80], v[59:60]
	v_fma_f64 v[63:64], v[71:72], v[79:80], v[63:64]
	v_fma_f64 v[32:33], v[75:76], v[79:80], v[32:33]
	v_fma_f64 v[61:62], v[77:78], v[79:80], v[61:62]
	s_wait_loadcnt 0x8
	v_cvt_f64_f32_e32 v[65:66], v14
	v_cvt_f64_f32_e32 v[14:15], v15
	v_cvt_f64_f32_e32 v[71:72], v16
	v_cvt_f64_f32_e32 v[16:17], v17
	v_fma_f64 v[59:60], v[67:68], v[81:82], v[59:60]
	v_fma_f64 v[24:25], v[24:25], v[81:82], v[63:64]
	v_fma_f64 v[32:33], v[69:70], v[81:82], v[32:33]
	v_fma_f64 v[26:27], v[26:27], v[81:82], v[61:62]
	s_wait_loadcnt 0x7
	v_cvt_f64_f32_e32 v[61:62], v18
	v_cvt_f64_f32_e32 v[18:19], v19
	v_cvt_f64_f32_e32 v[63:64], v20
	v_cvt_f64_f32_e32 v[20:21], v21
	;; [unrolled: 19-line block ×4, first 2 shown]
	s_wait_loadcnt 0x0
	v_fma_f64 v[20:21], v[28:29], v[55:56], v[20:21]
	v_fma_f64 v[14:15], v[32:33], v[55:56], v[14:15]
	;; [unrolled: 1-line block ×4, first 2 shown]
	s_delay_alu instid0(VALU_DEP_4) | instskip(NEXT) | instid1(VALU_DEP_4)
	v_fma_f64 v[18:19], v[24:25], v[57:58], v[20:21]
	v_fma_f64 v[20:21], v[26:27], v[57:58], v[14:15]
	s_delay_alu instid0(VALU_DEP_4) | instskip(NEXT) | instid1(VALU_DEP_4)
	v_fma_f64 v[16:17], v[30:31], v[57:58], v[28:29]
	v_fma_f64 v[14:15], v[39:40], v[57:58], v[32:33]
	s_wait_alu 0xfffe
	s_and_not1_b32 exec_lo, exec_lo, s7
	s_cbranch_execnz .LBB162_35
; %bb.36:
	s_or_b32 exec_lo, exec_lo, s7
.LBB162_37:
	s_wait_alu 0xfffe
	s_or_b32 exec_lo, exec_lo, s6
.LBB162_38:
	s_wait_alu 0xfffe
	s_or_b32 exec_lo, exec_lo, s3
.LBB162_39:
	v_mbcnt_lo_u32_b32 v24, -1, 0
	s_delay_alu instid0(VALU_DEP_1) | instskip(NEXT) | instid1(VALU_DEP_1)
	v_xor_b32_e32 v0, 8, v24
	v_cmp_gt_i32_e32 vcc_lo, 32, v0
	s_wait_alu 0xfffd
	v_cndmask_b32_e32 v0, v24, v0, vcc_lo
	s_delay_alu instid0(VALU_DEP_1)
	v_lshlrev_b32_e32 v13, 2, v0
	ds_bpermute_b32 v0, v13, v18
	ds_bpermute_b32 v1, v13, v19
	;; [unrolled: 1-line block ×8, first 2 shown]
	s_wait_dscnt 0x6
	v_add_f64_e32 v[0:1], v[18:19], v[0:1]
	s_wait_dscnt 0x4
	v_add_f64_e32 v[4:5], v[20:21], v[4:5]
	;; [unrolled: 2-line block ×4, first 2 shown]
	v_xor_b32_e32 v14, 4, v24
	s_delay_alu instid0(VALU_DEP_1) | instskip(SKIP_2) | instid1(VALU_DEP_1)
	v_cmp_gt_i32_e32 vcc_lo, 32, v14
	s_wait_alu 0xfffd
	v_cndmask_b32_e32 v14, v24, v14, vcc_lo
	v_lshlrev_b32_e32 v21, 2, v14
	ds_bpermute_b32 v14, v21, v0
	ds_bpermute_b32 v15, v21, v1
	ds_bpermute_b32 v16, v21, v4
	ds_bpermute_b32 v17, v21, v5
	ds_bpermute_b32 v18, v21, v6
	ds_bpermute_b32 v19, v21, v7
	ds_bpermute_b32 v20, v21, v12
	ds_bpermute_b32 v21, v21, v13
	s_wait_dscnt 0x6
	v_add_f64_e32 v[0:1], v[0:1], v[14:15]
	s_wait_dscnt 0x4
	v_add_f64_e32 v[4:5], v[4:5], v[16:17]
	;; [unrolled: 2-line block ×3, first 2 shown]
	v_xor_b32_e32 v6, 2, v24
	s_wait_dscnt 0x0
	v_add_f64_e32 v[16:17], v[12:13], v[20:21]
	s_delay_alu instid0(VALU_DEP_2) | instskip(SKIP_2) | instid1(VALU_DEP_1)
	v_cmp_gt_i32_e32 vcc_lo, 32, v6
	s_wait_alu 0xfffd
	v_cndmask_b32_e32 v6, v24, v6, vcc_lo
	v_lshlrev_b32_e32 v12, 2, v6
	ds_bpermute_b32 v6, v12, v0
	ds_bpermute_b32 v7, v12, v1
	;; [unrolled: 1-line block ×8, first 2 shown]
	s_wait_dscnt 0x6
	v_add_f64_e32 v[12:13], v[0:1], v[6:7]
	s_wait_dscnt 0x4
	v_add_f64_e32 v[6:7], v[4:5], v[18:19]
	;; [unrolled: 2-line block ×3, first 2 shown]
	v_xor_b32_e32 v14, 1, v24
	s_wait_dscnt 0x0
	v_add_f64_e32 v[4:5], v[16:17], v[22:23]
	s_delay_alu instid0(VALU_DEP_2) | instskip(SKIP_3) | instid1(VALU_DEP_2)
	v_cmp_gt_i32_e32 vcc_lo, 32, v14
	s_wait_alu 0xfffd
	v_cndmask_b32_e32 v14, v24, v14, vcc_lo
	v_cmp_eq_u32_e32 vcc_lo, 15, v34
	v_lshlrev_b32_e32 v15, 2, v14
	ds_bpermute_b32 v20, v15, v12
	ds_bpermute_b32 v21, v15, v13
	;; [unrolled: 1-line block ×8, first 2 shown]
	s_and_b32 exec_lo, exec_lo, vcc_lo
	s_cbranch_execz .LBB162_10
; %bb.40:
	s_wait_dscnt 0x6
	v_add_f64_e32 v[12:13], v[12:13], v[20:21]
	s_wait_dscnt 0x4
	v_add_f64_e32 v[6:7], v[6:7], v[18:19]
	;; [unrolled: 2-line block ×4, first 2 shown]
	s_load_b64 s[0:1], s[0:1], 0x58
	v_lshlrev_b64_e32 v[10:11], 5, v[10:11]
	s_mov_b32 s2, exec_lo
	v_mul_f64_e32 v[4:5], v[2:3], v[12:13]
	v_mul_f64_e32 v[6:7], v[2:3], v[6:7]
	;; [unrolled: 1-line block ×4, first 2 shown]
	v_cmpx_eq_f64_e32 0, v[8:9]
	s_wait_alu 0xfffe
	s_xor_b32 s2, exec_lo, s2
	s_cbranch_execz .LBB162_42
; %bb.41:
	s_wait_kmcnt 0x0
	v_add_co_u32 v8, vcc_lo, s0, v10
	s_wait_alu 0xfffd
	v_add_co_ci_u32_e64 v9, null, s1, v11, vcc_lo
                                        ; implicit-def: $vgpr10_vgpr11
	s_clause 0x1
	global_store_b128 v[8:9], v[4:7], off
	global_store_b128 v[8:9], v[0:3], off offset:16
                                        ; implicit-def: $vgpr8_vgpr9
                                        ; implicit-def: $vgpr4_vgpr5
                                        ; implicit-def: $vgpr0_vgpr1
.LBB162_42:
	s_wait_alu 0xfffe
	s_and_not1_saveexec_b32 s2, s2
	s_cbranch_execz .LBB162_10
; %bb.43:
	s_wait_kmcnt 0x0
	v_add_co_u32 v18, vcc_lo, s0, v10
	s_wait_alu 0xfffd
	v_add_co_ci_u32_e64 v19, null, s1, v11, vcc_lo
	s_clause 0x1
	global_load_b128 v[10:13], v[18:19], off
	global_load_b128 v[14:17], v[18:19], off offset:16
	s_wait_loadcnt 0x1
	v_fma_f64 v[4:5], v[8:9], v[10:11], v[4:5]
	v_fma_f64 v[6:7], v[8:9], v[12:13], v[6:7]
	s_wait_loadcnt 0x0
	v_fma_f64 v[0:1], v[8:9], v[14:15], v[0:1]
	v_fma_f64 v[2:3], v[8:9], v[16:17], v[2:3]
	s_clause 0x1
	global_store_b128 v[18:19], v[4:7], off
	global_store_b128 v[18:19], v[0:3], off offset:16
	s_nop 0
	s_sendmsg sendmsg(MSG_DEALLOC_VGPRS)
	s_endpgm
	.section	.rodata,"a",@progbits
	.p2align	6, 0x0
	.amdhsa_kernel _ZN9rocsparseL18bsrxmvn_4x4_kernelILj128ELj16EdllfddEEvT3_20rocsparse_direction_NS_24const_host_device_scalarIT1_EES1_PKS1_PKT2_SA_S7_PKT4_PKT5_S5_PT6_21rocsparse_index_base_b
		.amdhsa_group_segment_fixed_size 0
		.amdhsa_private_segment_fixed_size 0
		.amdhsa_kernarg_size 104
		.amdhsa_user_sgpr_count 2
		.amdhsa_user_sgpr_dispatch_ptr 0
		.amdhsa_user_sgpr_queue_ptr 0
		.amdhsa_user_sgpr_kernarg_segment_ptr 1
		.amdhsa_user_sgpr_dispatch_id 0
		.amdhsa_user_sgpr_private_segment_size 0
		.amdhsa_wavefront_size32 1
		.amdhsa_uses_dynamic_stack 0
		.amdhsa_enable_private_segment 0
		.amdhsa_system_sgpr_workgroup_id_x 1
		.amdhsa_system_sgpr_workgroup_id_y 0
		.amdhsa_system_sgpr_workgroup_id_z 0
		.amdhsa_system_sgpr_workgroup_info 0
		.amdhsa_system_vgpr_workitem_id 0
		.amdhsa_next_free_vgpr 115
		.amdhsa_next_free_sgpr 12
		.amdhsa_reserve_vcc 1
		.amdhsa_float_round_mode_32 0
		.amdhsa_float_round_mode_16_64 0
		.amdhsa_float_denorm_mode_32 3
		.amdhsa_float_denorm_mode_16_64 3
		.amdhsa_fp16_overflow 0
		.amdhsa_workgroup_processor_mode 1
		.amdhsa_memory_ordered 1
		.amdhsa_forward_progress 1
		.amdhsa_inst_pref_size 50
		.amdhsa_round_robin_scheduling 0
		.amdhsa_exception_fp_ieee_invalid_op 0
		.amdhsa_exception_fp_denorm_src 0
		.amdhsa_exception_fp_ieee_div_zero 0
		.amdhsa_exception_fp_ieee_overflow 0
		.amdhsa_exception_fp_ieee_underflow 0
		.amdhsa_exception_fp_ieee_inexact 0
		.amdhsa_exception_int_div_zero 0
	.end_amdhsa_kernel
	.section	.text._ZN9rocsparseL18bsrxmvn_4x4_kernelILj128ELj16EdllfddEEvT3_20rocsparse_direction_NS_24const_host_device_scalarIT1_EES1_PKS1_PKT2_SA_S7_PKT4_PKT5_S5_PT6_21rocsparse_index_base_b,"axG",@progbits,_ZN9rocsparseL18bsrxmvn_4x4_kernelILj128ELj16EdllfddEEvT3_20rocsparse_direction_NS_24const_host_device_scalarIT1_EES1_PKS1_PKT2_SA_S7_PKT4_PKT5_S5_PT6_21rocsparse_index_base_b,comdat
.Lfunc_end162:
	.size	_ZN9rocsparseL18bsrxmvn_4x4_kernelILj128ELj16EdllfddEEvT3_20rocsparse_direction_NS_24const_host_device_scalarIT1_EES1_PKS1_PKT2_SA_S7_PKT4_PKT5_S5_PT6_21rocsparse_index_base_b, .Lfunc_end162-_ZN9rocsparseL18bsrxmvn_4x4_kernelILj128ELj16EdllfddEEvT3_20rocsparse_direction_NS_24const_host_device_scalarIT1_EES1_PKS1_PKT2_SA_S7_PKT4_PKT5_S5_PT6_21rocsparse_index_base_b
                                        ; -- End function
	.set _ZN9rocsparseL18bsrxmvn_4x4_kernelILj128ELj16EdllfddEEvT3_20rocsparse_direction_NS_24const_host_device_scalarIT1_EES1_PKS1_PKT2_SA_S7_PKT4_PKT5_S5_PT6_21rocsparse_index_base_b.num_vgpr, 115
	.set _ZN9rocsparseL18bsrxmvn_4x4_kernelILj128ELj16EdllfddEEvT3_20rocsparse_direction_NS_24const_host_device_scalarIT1_EES1_PKS1_PKT2_SA_S7_PKT4_PKT5_S5_PT6_21rocsparse_index_base_b.num_agpr, 0
	.set _ZN9rocsparseL18bsrxmvn_4x4_kernelILj128ELj16EdllfddEEvT3_20rocsparse_direction_NS_24const_host_device_scalarIT1_EES1_PKS1_PKT2_SA_S7_PKT4_PKT5_S5_PT6_21rocsparse_index_base_b.numbered_sgpr, 12
	.set _ZN9rocsparseL18bsrxmvn_4x4_kernelILj128ELj16EdllfddEEvT3_20rocsparse_direction_NS_24const_host_device_scalarIT1_EES1_PKS1_PKT2_SA_S7_PKT4_PKT5_S5_PT6_21rocsparse_index_base_b.num_named_barrier, 0
	.set _ZN9rocsparseL18bsrxmvn_4x4_kernelILj128ELj16EdllfddEEvT3_20rocsparse_direction_NS_24const_host_device_scalarIT1_EES1_PKS1_PKT2_SA_S7_PKT4_PKT5_S5_PT6_21rocsparse_index_base_b.private_seg_size, 0
	.set _ZN9rocsparseL18bsrxmvn_4x4_kernelILj128ELj16EdllfddEEvT3_20rocsparse_direction_NS_24const_host_device_scalarIT1_EES1_PKS1_PKT2_SA_S7_PKT4_PKT5_S5_PT6_21rocsparse_index_base_b.uses_vcc, 1
	.set _ZN9rocsparseL18bsrxmvn_4x4_kernelILj128ELj16EdllfddEEvT3_20rocsparse_direction_NS_24const_host_device_scalarIT1_EES1_PKS1_PKT2_SA_S7_PKT4_PKT5_S5_PT6_21rocsparse_index_base_b.uses_flat_scratch, 0
	.set _ZN9rocsparseL18bsrxmvn_4x4_kernelILj128ELj16EdllfddEEvT3_20rocsparse_direction_NS_24const_host_device_scalarIT1_EES1_PKS1_PKT2_SA_S7_PKT4_PKT5_S5_PT6_21rocsparse_index_base_b.has_dyn_sized_stack, 0
	.set _ZN9rocsparseL18bsrxmvn_4x4_kernelILj128ELj16EdllfddEEvT3_20rocsparse_direction_NS_24const_host_device_scalarIT1_EES1_PKS1_PKT2_SA_S7_PKT4_PKT5_S5_PT6_21rocsparse_index_base_b.has_recursion, 0
	.set _ZN9rocsparseL18bsrxmvn_4x4_kernelILj128ELj16EdllfddEEvT3_20rocsparse_direction_NS_24const_host_device_scalarIT1_EES1_PKS1_PKT2_SA_S7_PKT4_PKT5_S5_PT6_21rocsparse_index_base_b.has_indirect_call, 0
	.section	.AMDGPU.csdata,"",@progbits
; Kernel info:
; codeLenInByte = 6356
; TotalNumSgprs: 14
; NumVgprs: 115
; ScratchSize: 0
; MemoryBound: 0
; FloatMode: 240
; IeeeMode: 1
; LDSByteSize: 0 bytes/workgroup (compile time only)
; SGPRBlocks: 0
; VGPRBlocks: 14
; NumSGPRsForWavesPerEU: 14
; NumVGPRsForWavesPerEU: 115
; Occupancy: 12
; WaveLimiterHint : 1
; COMPUTE_PGM_RSRC2:SCRATCH_EN: 0
; COMPUTE_PGM_RSRC2:USER_SGPR: 2
; COMPUTE_PGM_RSRC2:TRAP_HANDLER: 0
; COMPUTE_PGM_RSRC2:TGID_X_EN: 1
; COMPUTE_PGM_RSRC2:TGID_Y_EN: 0
; COMPUTE_PGM_RSRC2:TGID_Z_EN: 0
; COMPUTE_PGM_RSRC2:TIDIG_COMP_CNT: 0
	.section	.text._ZN9rocsparseL18bsrxmvn_4x4_kernelILj128ELj32EdllfddEEvT3_20rocsparse_direction_NS_24const_host_device_scalarIT1_EES1_PKS1_PKT2_SA_S7_PKT4_PKT5_S5_PT6_21rocsparse_index_base_b,"axG",@progbits,_ZN9rocsparseL18bsrxmvn_4x4_kernelILj128ELj32EdllfddEEvT3_20rocsparse_direction_NS_24const_host_device_scalarIT1_EES1_PKS1_PKT2_SA_S7_PKT4_PKT5_S5_PT6_21rocsparse_index_base_b,comdat
	.globl	_ZN9rocsparseL18bsrxmvn_4x4_kernelILj128ELj32EdllfddEEvT3_20rocsparse_direction_NS_24const_host_device_scalarIT1_EES1_PKS1_PKT2_SA_S7_PKT4_PKT5_S5_PT6_21rocsparse_index_base_b ; -- Begin function _ZN9rocsparseL18bsrxmvn_4x4_kernelILj128ELj32EdllfddEEvT3_20rocsparse_direction_NS_24const_host_device_scalarIT1_EES1_PKS1_PKT2_SA_S7_PKT4_PKT5_S5_PT6_21rocsparse_index_base_b
	.p2align	8
	.type	_ZN9rocsparseL18bsrxmvn_4x4_kernelILj128ELj32EdllfddEEvT3_20rocsparse_direction_NS_24const_host_device_scalarIT1_EES1_PKS1_PKT2_SA_S7_PKT4_PKT5_S5_PT6_21rocsparse_index_base_b,@function
_ZN9rocsparseL18bsrxmvn_4x4_kernelILj128ELj32EdllfddEEvT3_20rocsparse_direction_NS_24const_host_device_scalarIT1_EES1_PKS1_PKT2_SA_S7_PKT4_PKT5_S5_PT6_21rocsparse_index_base_b: ; @_ZN9rocsparseL18bsrxmvn_4x4_kernelILj128ELj32EdllfddEEvT3_20rocsparse_direction_NS_24const_host_device_scalarIT1_EES1_PKS1_PKT2_SA_S7_PKT4_PKT5_S5_PT6_21rocsparse_index_base_b
; %bb.0:
	s_clause 0x2
	s_load_b64 s[8:9], s[0:1], 0x60
	s_load_b128 s[4:7], s[0:1], 0x10
	s_load_b64 s[2:3], s[0:1], 0x50
	s_wait_kmcnt 0x0
	s_bitcmp1_b32 s9, 0
	v_dual_mov_b32 v2, s4 :: v_dual_mov_b32 v3, s5
	s_cselect_b32 s9, -1, 0
	s_delay_alu instid0(SALU_CYCLE_1)
	s_and_b32 vcc_lo, exec_lo, s9
	s_xor_b32 s9, s9, -1
	s_cbranch_vccnz .LBB163_2
; %bb.1:
	v_dual_mov_b32 v1, s4 :: v_dual_mov_b32 v2, s5
	flat_load_b64 v[2:3], v[1:2]
.LBB163_2:
	v_dual_mov_b32 v9, s3 :: v_dual_mov_b32 v8, s2
	s_and_not1_b32 vcc_lo, exec_lo, s9
	s_cbranch_vccnz .LBB163_4
; %bb.3:
	v_dual_mov_b32 v5, s3 :: v_dual_mov_b32 v4, s2
	flat_load_b64 v[8:9], v[4:5]
.LBB163_4:
	s_wait_loadcnt_dscnt 0x0
	v_cmp_neq_f64_e32 vcc_lo, 0, v[2:3]
	v_cmp_neq_f64_e64 s2, 1.0, v[8:9]
	s_or_b32 s2, vcc_lo, s2
	s_wait_alu 0xfffe
	s_and_saveexec_b32 s3, s2
	s_cbranch_execz .LBB163_10
; %bb.5:
	s_load_b64 s[2:3], s[0:1], 0x20
	v_lshrrev_b32_e32 v1, 5, v0
	v_mov_b32_e32 v7, 0
	s_delay_alu instid0(VALU_DEP_2)
	v_lshl_or_b32 v6, ttmp9, 2, v1
	s_wait_kmcnt 0x0
	s_cmp_lg_u64 s[2:3], 0
	s_cbranch_scc0 .LBB163_11
; %bb.6:
	s_delay_alu instid0(VALU_DEP_1)
	v_cmp_gt_i64_e32 vcc_lo, s[6:7], v[6:7]
	s_mov_b32 s5, 0
	s_mov_b32 s4, 0
                                        ; implicit-def: $vgpr10_vgpr11
                                        ; implicit-def: $vgpr4_vgpr5
	s_and_saveexec_b32 s6, vcc_lo
	s_wait_alu 0xfffe
	s_xor_b32 s6, exec_lo, s6
	s_cbranch_execz .LBB163_8
; %bb.7:
	v_lshlrev_b64_e32 v[4:5], 3, v[6:7]
	s_mov_b32 s9, 0
	s_mov_b32 s4, exec_lo
	s_delay_alu instid0(VALU_DEP_1) | instskip(NEXT) | instid1(VALU_DEP_1)
	v_add_co_u32 v4, vcc_lo, s2, v4
	v_add_co_ci_u32_e64 v5, null, s3, v5, vcc_lo
	global_load_b64 v[4:5], v[4:5], off
	s_wait_loadcnt 0x0
	v_sub_co_u32 v10, vcc_lo, v4, s8
	s_wait_alu 0xfffd
	v_subrev_co_ci_u32_e64 v11, null, 0, v5, vcc_lo
	v_dual_mov_b32 v4, s8 :: v_dual_mov_b32 v5, s9
.LBB163_8:
	s_wait_alu 0xfffe
	s_or_b32 exec_lo, exec_lo, s6
	s_delay_alu instid0(SALU_CYCLE_1)
	s_and_b32 vcc_lo, exec_lo, s5
	s_wait_alu 0xfffe
	s_cbranch_vccnz .LBB163_12
.LBB163_9:
	s_wait_alu 0xfffe
	s_and_b32 exec_lo, exec_lo, s4
	s_cbranch_execnz .LBB163_15
.LBB163_10:
	s_nop 0
	s_sendmsg sendmsg(MSG_DEALLOC_VGPRS)
	s_endpgm
.LBB163_11:
	s_mov_b32 s4, 0
                                        ; implicit-def: $vgpr10_vgpr11
                                        ; implicit-def: $vgpr4_vgpr5
	s_cbranch_execz .LBB163_9
.LBB163_12:
	s_load_b64 s[2:3], s[0:1], 0x0
	s_wait_kmcnt 0x0
	v_cmp_gt_i64_e32 vcc_lo, s[2:3], v[6:7]
	s_and_saveexec_b32 s2, vcc_lo
; %bb.13:
	s_mov_b32 s9, 0
	s_or_b32 s4, s4, exec_lo
; %bb.14:
	s_wait_alu 0xfffe
	s_or_b32 exec_lo, exec_lo, s2
	v_dual_mov_b32 v4, s8 :: v_dual_mov_b32 v5, s9
	v_dual_mov_b32 v11, v7 :: v_dual_mov_b32 v10, v6
	s_and_b32 exec_lo, exec_lo, s4
	s_cbranch_execz .LBB163_10
.LBB163_15:
	s_load_b256 s[4:11], s[0:1], 0x28
	s_delay_alu instid0(VALU_DEP_1) | instskip(SKIP_3) | instid1(VALU_DEP_2)
	v_lshlrev_b64_e32 v[6:7], 3, v[10:11]
	v_and_b32_e32 v34, 31, v0
	s_load_b32 s3, s[0:1], 0x8
	s_wait_kmcnt 0x0
	v_add_co_u32 v12, vcc_lo, s4, v6
	s_wait_alu 0xfffd
	v_add_co_ci_u32_e64 v13, null, s5, v7, vcc_lo
	v_add_co_u32 v1, vcc_lo, s6, v6
	s_wait_alu 0xfffd
	v_add_co_ci_u32_e64 v6, null, s7, v7, vcc_lo
	v_add_co_u32 v14, vcc_lo, v12, 8
	global_load_b64 v[22:23], v[12:13], off
	s_wait_alu 0xfffd
	v_add_co_ci_u32_e64 v7, null, 0, v13, vcc_lo
	s_cmp_eq_u64 s[6:7], 0
	s_load_b64 s[4:5], s[0:1], 0x48
	s_cselect_b32 vcc_lo, -1, 0
	s_cmp_eq_u32 s3, 1
	s_wait_alu 0xfffe
	v_dual_cndmask_b32 v7, v6, v7 :: v_dual_cndmask_b32 v6, v1, v14
	global_load_b64 v[6:7], v[6:7], off
	s_wait_loadcnt 0x1
	v_sub_co_u32 v0, vcc_lo, v22, v4
	s_wait_alu 0xfffd
	v_sub_co_ci_u32_e64 v1, null, v23, v5, vcc_lo
	s_delay_alu instid0(VALU_DEP_2) | instskip(SKIP_1) | instid1(VALU_DEP_2)
	v_add_co_u32 v0, vcc_lo, v0, v34
	s_wait_alu 0xfffd
	v_add_co_ci_u32_e64 v1, null, 0, v1, vcc_lo
	s_delay_alu instid0(VALU_DEP_1) | instskip(SKIP_4) | instid1(VALU_DEP_3)
	v_lshlrev_b64_e32 v[12:13], 6, v[0:1]
	s_wait_loadcnt 0x0
	v_sub_co_u32 v6, vcc_lo, v6, v4
	s_wait_alu 0xfffd
	v_sub_co_ci_u32_e64 v7, null, v7, v5, vcc_lo
	v_add_co_u32 v12, vcc_lo, s10, v12
	s_delay_alu instid0(VALU_DEP_2)
	v_cmp_lt_i64_e64 s2, v[0:1], v[6:7]
	s_wait_alu 0xfffd
	v_add_co_ci_u32_e64 v13, null, s11, v13, vcc_lo
	s_cbranch_scc1 .LBB163_27
; %bb.16:
	v_mov_b32_e32 v14, 0
	v_dual_mov_b32 v20, 0 :: v_dual_mov_b32 v15, 0
	v_dual_mov_b32 v16, 0 :: v_dual_mov_b32 v21, 0
	;; [unrolled: 1-line block ×3, first 2 shown]
	v_mov_b32_e32 v19, 0
	s_and_saveexec_b32 s6, s2
	s_cbranch_execz .LBB163_26
; %bb.17:
	v_or_b32_e32 v14, 32, v34
	v_not_b32_e32 v17, v22
	v_sub_co_u32 v18, s3, v4, v34
	v_not_b32_e32 v16, v23
	s_delay_alu instid0(VALU_DEP_4)
	v_sub_co_u32 v14, vcc_lo, v14, v4
	s_wait_alu 0xfffd
	v_sub_co_ci_u32_e64 v15, null, 0, v5, vcc_lo
	s_wait_alu 0xf1ff
	v_subrev_co_ci_u32_e64 v19, null, 0, v5, s3
	v_add_co_u32 v14, vcc_lo, v14, v22
	s_wait_alu 0xfffd
	v_add_co_ci_u32_e64 v15, null, v15, v23, vcc_lo
	v_dual_mov_b32 v27, v1 :: v_dual_mov_b32 v26, v0
	v_mov_b32_e32 v20, 0
	s_delay_alu instid0(VALU_DEP_3)
	v_cmp_gt_i64_e32 vcc_lo, v[14:15], v[6:7]
	v_mov_b32_e32 v21, 0
	s_wait_alu 0xfffd
	v_dual_cndmask_b32 v15, v7, v15 :: v_dual_cndmask_b32 v14, v6, v14
	v_add_co_u32 v17, vcc_lo, v18, v17
	s_wait_alu 0xfffd
	v_add_co_ci_u32_e64 v16, null, v19, v16, vcc_lo
	v_mov_b32_e32 v18, 0
	s_delay_alu instid0(VALU_DEP_3) | instskip(SKIP_3) | instid1(VALU_DEP_3)
	v_add_co_u32 v28, vcc_lo, v17, v14
	v_mov_b32_e32 v25, 0
	s_wait_alu 0xfffd
	v_add_co_ci_u32_e64 v29, null, v16, v15, vcc_lo
	v_and_b32_e32 v24, 0x60, v28
	v_dual_mov_b32 v16, 0 :: v_dual_mov_b32 v19, 0
	v_dual_mov_b32 v17, 0 :: v_dual_mov_b32 v14, 0
	s_delay_alu instid0(VALU_DEP_3)
	v_cmp_ne_u64_e32 vcc_lo, 0x60, v[24:25]
	v_mov_b32_e32 v15, 0
	v_dual_mov_b32 v25, v13 :: v_dual_mov_b32 v24, v12
	s_and_saveexec_b32 s7, vcc_lo
	s_cbranch_execz .LBB163_21
; %bb.18:
	v_lshrrev_b32_e32 v14, 5, v28
	v_lshlrev_b64_e32 v[18:19], 3, v[0:1]
	v_mov_b32_e32 v16, 0
	v_mov_b32_e32 v20, 0
	s_delay_alu instid0(VALU_DEP_4) | instskip(SKIP_3) | instid1(VALU_DEP_4)
	v_dual_mov_b32 v21, 0 :: v_dual_add_nc_u32 v26, 1, v14
	v_dual_mov_b32 v14, 0 :: v_dual_mov_b32 v25, v13
	v_mov_b32_e32 v15, 0
	v_add_co_u32 v30, vcc_lo, s8, v18
	v_and_b32_e32 v26, 3, v26
	s_wait_alu 0xfffd
	v_add_co_ci_u32_e64 v31, null, s9, v19, vcc_lo
	v_mov_b32_e32 v18, 0
	v_dual_mov_b32 v24, v12 :: v_dual_mov_b32 v17, 0
	v_sub_co_u32 v32, s3, 0, v26
	v_mov_b32_e32 v27, v1
	s_wait_alu 0xf1ff
	v_sub_co_ci_u32_e64 v33, null, 0, 0, s3
	v_dual_mov_b32 v19, 0 :: v_dual_mov_b32 v26, v0
	s_mov_b32 s10, 0
.LBB163_19:                             ; =>This Inner Loop Header: Depth=1
	global_load_b64 v[51:52], v[30:31], off
	s_clause 0x3
	global_load_b128 v[35:38], v[24:25], off
	global_load_b128 v[39:42], v[24:25], off offset:16
	global_load_b128 v[43:46], v[24:25], off offset:32
	global_load_b128 v[47:50], v[24:25], off offset:48
	v_add_co_u32 v30, s3, 0x100, v30
	s_wait_alu 0xf1ff
	v_add_co_ci_u32_e64 v31, null, 0, v31, s3
	s_wait_loadcnt 0x4
	v_sub_co_u32 v51, vcc_lo, v51, v4
	s_wait_alu 0xfffd
	v_sub_co_ci_u32_e64 v52, null, v52, v5, vcc_lo
	s_wait_loadcnt 0x3
	v_cvt_f64_f32_e32 v[59:60], v35
	s_wait_loadcnt 0x2
	v_cvt_f64_f32_e32 v[61:62], v39
	;; [unrolled: 2-line block ×3, first 2 shown]
	v_lshlrev_b64_e32 v[51:52], 5, v[51:52]
	s_wait_loadcnt 0x0
	v_cvt_f64_f32_e32 v[65:66], v47
	v_cvt_f64_f32_e32 v[35:36], v36
	;; [unrolled: 1-line block ×5, first 2 shown]
	s_wait_kmcnt 0x0
	v_add_co_u32 v55, vcc_lo, s4, v51
	s_wait_alu 0xfffd
	v_add_co_ci_u32_e64 v56, null, s5, v52, vcc_lo
	v_add_co_u32 v24, vcc_lo, 0x800, v24
	s_wait_alu 0xfffd
	v_add_co_ci_u32_e64 v25, null, 0, v25, vcc_lo
	s_clause 0x1
	global_load_b128 v[51:54], v[55:56], off
	global_load_b128 v[55:58], v[55:56], off offset:16
	v_add_co_u32 v32, vcc_lo, v32, 1
	s_wait_alu 0xfffd
	v_add_co_ci_u32_e64 v33, null, 0, v33, vcc_lo
	v_add_co_u32 v26, vcc_lo, v26, 32
	s_wait_alu 0xfffd
	v_add_co_ci_u32_e64 v27, null, 0, v27, vcc_lo
	s_delay_alu instid0(VALU_DEP_3)
	v_cmp_eq_u64_e32 vcc_lo, 0, v[32:33]
	s_wait_alu 0xfffe
	s_or_b32 s10, vcc_lo, s10
	s_wait_loadcnt 0x1
	v_fma_f64 v[18:19], v[59:60], v[51:52], v[18:19]
	v_fma_f64 v[20:21], v[61:62], v[51:52], v[20:21]
	;; [unrolled: 1-line block ×4, first 2 shown]
	v_cvt_f64_f32_e32 v[51:52], v37
	v_cvt_f64_f32_e32 v[59:60], v41
	;; [unrolled: 1-line block ×4, first 2 shown]
	v_fma_f64 v[18:19], v[35:36], v[53:54], v[18:19]
	v_fma_f64 v[20:21], v[39:40], v[53:54], v[20:21]
	v_fma_f64 v[16:17], v[43:44], v[53:54], v[16:17]
	v_fma_f64 v[14:15], v[47:48], v[53:54], v[14:15]
	v_cvt_f64_f32_e32 v[35:36], v38
	v_cvt_f64_f32_e32 v[37:38], v42
	;; [unrolled: 1-line block ×4, first 2 shown]
	s_wait_loadcnt 0x0
	v_fma_f64 v[18:19], v[51:52], v[55:56], v[18:19]
	v_fma_f64 v[20:21], v[59:60], v[55:56], v[20:21]
	;; [unrolled: 1-line block ×4, first 2 shown]
	s_delay_alu instid0(VALU_DEP_4) | instskip(NEXT) | instid1(VALU_DEP_4)
	v_fma_f64 v[18:19], v[35:36], v[57:58], v[18:19]
	v_fma_f64 v[20:21], v[37:38], v[57:58], v[20:21]
	s_delay_alu instid0(VALU_DEP_4) | instskip(NEXT) | instid1(VALU_DEP_4)
	v_fma_f64 v[16:17], v[39:40], v[57:58], v[16:17]
	v_fma_f64 v[14:15], v[41:42], v[57:58], v[14:15]
	s_wait_alu 0xfffe
	s_and_not1_b32 exec_lo, exec_lo, s10
	s_cbranch_execnz .LBB163_19
; %bb.20:
	s_or_b32 exec_lo, exec_lo, s10
.LBB163_21:
	s_wait_alu 0xfffe
	s_or_b32 exec_lo, exec_lo, s7
	s_delay_alu instid0(SALU_CYCLE_1)
	s_mov_b32 s7, exec_lo
	v_cmpx_lt_u64_e32 0x5f, v[28:29]
	s_cbranch_execz .LBB163_25
; %bb.22:
	v_lshlrev_b64_e32 v[28:29], 3, v[26:27]
	s_mov_b32 s10, 0
	s_delay_alu instid0(VALU_DEP_1) | instskip(SKIP_1) | instid1(VALU_DEP_2)
	v_add_co_u32 v28, vcc_lo, s8, v28
	s_wait_alu 0xfffd
	v_add_co_ci_u32_e64 v29, null, s9, v29, vcc_lo
	s_delay_alu instid0(VALU_DEP_2) | instskip(SKIP_1) | instid1(VALU_DEP_2)
	v_add_co_u32 v28, vcc_lo, 0x200, v28
	s_wait_alu 0xfffd
	v_add_co_ci_u32_e64 v29, null, 0, v29, vcc_lo
.LBB163_23:                             ; =>This Inner Loop Header: Depth=1
	s_clause 0x1
	global_load_b64 v[47:48], v[28:29], off offset:-512
	global_load_b64 v[71:72], v[28:29], off offset:-256
	s_clause 0x3
	global_load_b128 v[30:33], v[24:25], off
	global_load_b128 v[35:38], v[24:25], off offset:16
	global_load_b128 v[39:42], v[24:25], off offset:32
	;; [unrolled: 1-line block ×3, first 2 shown]
	s_clause 0x1
	global_load_b64 v[95:96], v[28:29], off
	global_load_b64 v[99:100], v[28:29], off offset:256
	v_add_co_u32 v28, s3, 0x400, v28
	s_wait_alu 0xf1ff
	v_add_co_ci_u32_e64 v29, null, 0, v29, s3
	s_wait_loadcnt 0x7
	v_sub_co_u32 v47, vcc_lo, v47, v4
	s_wait_alu 0xfffd
	v_sub_co_ci_u32_e64 v48, null, v48, v5, vcc_lo
	s_wait_loadcnt 0x5
	v_cvt_f64_f32_e32 v[101:102], v30
	s_wait_loadcnt 0x4
	v_cvt_f64_f32_e32 v[103:104], v35
	;; [unrolled: 2-line block ×3, first 2 shown]
	v_lshlrev_b64_e32 v[47:48], 5, v[47:48]
	s_wait_loadcnt 0x2
	v_cvt_f64_f32_e32 v[107:108], v43
	v_cvt_f64_f32_e32 v[30:31], v31
	;; [unrolled: 1-line block ×5, first 2 shown]
	s_wait_kmcnt 0x0
	v_add_co_u32 v51, vcc_lo, s4, v47
	s_wait_alu 0xfffd
	v_add_co_ci_u32_e64 v52, null, s5, v48, vcc_lo
	v_sub_co_u32 v71, vcc_lo, v71, v4
	s_wait_alu 0xfffd
	v_sub_co_ci_u32_e64 v72, null, v72, v5, vcc_lo
	s_clause 0x1
	global_load_b128 v[47:50], v[51:52], off
	global_load_b128 v[51:54], v[51:52], off offset:16
	s_clause 0x3
	global_load_b128 v[55:58], v[24:25], off offset:2048
	global_load_b128 v[59:62], v[24:25], off offset:2064
	;; [unrolled: 1-line block ×4, first 2 shown]
	v_lshlrev_b64_e32 v[71:72], 5, v[71:72]
	s_delay_alu instid0(VALU_DEP_1) | instskip(SKIP_1) | instid1(VALU_DEP_2)
	v_add_co_u32 v75, vcc_lo, s4, v71
	s_wait_alu 0xfffd
	v_add_co_ci_u32_e64 v76, null, s5, v72, vcc_lo
	s_wait_loadcnt 0x7
	v_sub_co_u32 v95, vcc_lo, v95, v4
	s_clause 0x1
	global_load_b128 v[71:74], v[75:76], off
	global_load_b128 v[75:78], v[75:76], off offset:16
	s_clause 0x3
	global_load_b128 v[79:82], v[24:25], off offset:4096
	global_load_b128 v[83:86], v[24:25], off offset:4112
	;; [unrolled: 1-line block ×4, first 2 shown]
	s_wait_alu 0xfffd
	v_sub_co_ci_u32_e64 v96, null, v96, v5, vcc_lo
	s_delay_alu instid0(VALU_DEP_1) | instskip(NEXT) | instid1(VALU_DEP_1)
	v_lshlrev_b64_e32 v[95:96], 5, v[95:96]
	v_add_co_u32 v109, vcc_lo, s4, v95
	s_wait_alu 0xfffd
	s_delay_alu instid0(VALU_DEP_2)
	v_add_co_ci_u32_e64 v110, null, s5, v96, vcc_lo
	s_wait_loadcnt 0xc
	v_sub_co_u32 v99, vcc_lo, v99, v4
	s_wait_alu 0xfffd
	v_sub_co_ci_u32_e64 v100, null, v100, v5, vcc_lo
	global_load_b128 v[95:98], v[109:110], off
	s_wait_loadcnt 0xc
	v_fma_f64 v[18:19], v[101:102], v[47:48], v[18:19]
	v_fma_f64 v[20:21], v[103:104], v[47:48], v[20:21]
	;; [unrolled: 1-line block ×4, first 2 shown]
	v_cvt_f64_f32_e32 v[47:48], v32
	v_cvt_f64_f32_e32 v[101:102], v37
	;; [unrolled: 1-line block ×6, first 2 shown]
	s_wait_loadcnt 0x8
	v_cvt_f64_f32_e32 v[111:112], v63
	s_wait_loadcnt 0x7
	v_cvt_f64_f32_e32 v[113:114], v67
	v_cvt_f64_f32_e32 v[63:64], v64
	;; [unrolled: 1-line block ×3, first 2 shown]
	v_fma_f64 v[18:19], v[30:31], v[49:50], v[18:19]
	v_fma_f64 v[20:21], v[35:36], v[49:50], v[20:21]
	;; [unrolled: 1-line block ×4, first 2 shown]
	global_load_b128 v[14:17], v[109:110], off offset:16
	v_cvt_f64_f32_e32 v[43:44], v33
	v_cvt_f64_f32_e32 v[49:50], v38
	;; [unrolled: 1-line block ×4, first 2 shown]
	v_fma_f64 v[47:48], v[47:48], v[51:52], v[18:19]
	v_fma_f64 v[101:102], v[101:102], v[51:52], v[20:21]
	;; [unrolled: 1-line block ×4, first 2 shown]
	s_clause 0x3
	global_load_b128 v[18:21], v[24:25], off offset:6144
	global_load_b128 v[30:33], v[24:25], off offset:6160
	;; [unrolled: 1-line block ×4, first 2 shown]
	v_cvt_f64_f32_e32 v[105:106], v55
	v_cvt_f64_f32_e32 v[55:56], v56
	v_fma_f64 v[47:48], v[43:44], v[53:54], v[47:48]
	v_fma_f64 v[49:50], v[49:50], v[53:54], v[101:102]
	;; [unrolled: 1-line block ×4, first 2 shown]
	v_lshlrev_b64_e32 v[43:44], 5, v[99:100]
	v_cvt_f64_f32_e32 v[103:104], v65
	s_delay_alu instid0(VALU_DEP_2) | instskip(SKIP_1) | instid1(VALU_DEP_3)
	v_add_co_u32 v53, vcc_lo, s4, v43
	s_wait_alu 0xfffd
	v_add_co_ci_u32_e64 v54, null, s5, v44, vcc_lo
	v_add_co_u32 v26, vcc_lo, 0x80, v26
	s_wait_alu 0xfffd
	v_add_co_ci_u32_e64 v27, null, 0, v27, vcc_lo
	global_load_b128 v[43:46], v[53:54], off
	v_add_co_u32 v24, vcc_lo, 0x2000, v24
	s_wait_alu 0xfffd
	v_add_co_ci_u32_e64 v25, null, 0, v25, vcc_lo
	v_cmp_ge_i64_e32 vcc_lo, v[26:27], v[6:7]
	s_wait_alu 0xfffe
	s_or_b32 s10, vcc_lo, s10
	s_wait_loadcnt 0xc
	v_fma_f64 v[47:48], v[105:106], v[71:72], v[47:48]
	v_fma_f64 v[49:50], v[109:110], v[71:72], v[49:50]
	;; [unrolled: 1-line block ×4, first 2 shown]
	v_cvt_f64_f32_e32 v[71:72], v57
	v_cvt_f64_f32_e32 v[101:102], v61
	;; [unrolled: 1-line block ×3, first 2 shown]
	v_fma_f64 v[55:56], v[55:56], v[73:74], v[47:48]
	v_fma_f64 v[59:60], v[59:60], v[73:74], v[49:50]
	;; [unrolled: 1-line block ×4, first 2 shown]
	global_load_b128 v[47:50], v[53:54], off offset:16
	v_cvt_f64_f32_e32 v[53:54], v58
	v_cvt_f64_f32_e32 v[57:58], v62
	;; [unrolled: 1-line block ×4, first 2 shown]
	s_wait_loadcnt 0xb
	v_cvt_f64_f32_e32 v[67:68], v79
	s_wait_loadcnt 0xa
	v_cvt_f64_f32_e32 v[69:70], v83
	s_wait_loadcnt 0x8
	v_cvt_f64_f32_e32 v[73:74], v91
	v_fma_f64 v[55:56], v[71:72], v[75:76], v[55:56]
	v_fma_f64 v[59:60], v[101:102], v[75:76], v[59:60]
	;; [unrolled: 1-line block ×4, first 2 shown]
	v_cvt_f64_f32_e32 v[71:72], v87
	v_fma_f64 v[53:54], v[53:54], v[77:78], v[55:56]
	v_fma_f64 v[55:56], v[57:58], v[77:78], v[59:60]
	;; [unrolled: 1-line block ×4, first 2 shown]
	v_cvt_f64_f32_e32 v[59:60], v80
	v_cvt_f64_f32_e32 v[61:62], v84
	;; [unrolled: 1-line block ×4, first 2 shown]
	s_wait_loadcnt 0x7
	v_fma_f64 v[53:54], v[67:68], v[95:96], v[53:54]
	v_fma_f64 v[55:56], v[69:70], v[95:96], v[55:56]
	v_fma_f64 v[57:58], v[71:72], v[95:96], v[57:58]
	v_fma_f64 v[51:52], v[73:74], v[95:96], v[51:52]
	v_cvt_f64_f32_e32 v[67:68], v81
	v_cvt_f64_f32_e32 v[69:70], v85
	;; [unrolled: 1-line block ×4, first 2 shown]
	v_fma_f64 v[53:54], v[59:60], v[97:98], v[53:54]
	v_fma_f64 v[55:56], v[61:62], v[97:98], v[55:56]
	v_fma_f64 v[57:58], v[63:64], v[97:98], v[57:58]
	v_fma_f64 v[51:52], v[65:66], v[97:98], v[51:52]
	v_cvt_f64_f32_e32 v[59:60], v82
	v_cvt_f64_f32_e32 v[61:62], v86
	;; [unrolled: 1-line block ×4, first 2 shown]
	s_wait_loadcnt 0x6
	v_fma_f64 v[53:54], v[67:68], v[14:15], v[53:54]
	v_fma_f64 v[55:56], v[69:70], v[14:15], v[55:56]
	v_fma_f64 v[57:58], v[71:72], v[14:15], v[57:58]
	v_fma_f64 v[14:15], v[73:74], v[14:15], v[51:52]
	s_wait_loadcnt 0x5
	v_cvt_f64_f32_e32 v[51:52], v18
	s_wait_loadcnt 0x4
	v_cvt_f64_f32_e32 v[67:68], v30
	;; [unrolled: 2-line block ×4, first 2 shown]
	v_fma_f64 v[53:54], v[59:60], v[16:17], v[53:54]
	v_fma_f64 v[55:56], v[61:62], v[16:17], v[55:56]
	v_fma_f64 v[57:58], v[63:64], v[16:17], v[57:58]
	v_fma_f64 v[14:15], v[65:66], v[16:17], v[14:15]
	v_cvt_f64_f32_e32 v[16:17], v19
	v_cvt_f64_f32_e32 v[18:19], v31
	;; [unrolled: 1-line block ×5, first 2 shown]
	s_wait_loadcnt 0x1
	v_fma_f64 v[39:40], v[51:52], v[43:44], v[53:54]
	v_fma_f64 v[51:52], v[67:68], v[43:44], v[55:56]
	;; [unrolled: 1-line block ×4, first 2 shown]
	v_cvt_f64_f32_e32 v[43:44], v20
	v_cvt_f64_f32_e32 v[55:56], v32
	;; [unrolled: 1-line block ×5, first 2 shown]
	v_fma_f64 v[16:17], v[16:17], v[45:46], v[39:40]
	v_fma_f64 v[18:19], v[18:19], v[45:46], v[51:52]
	;; [unrolled: 1-line block ×4, first 2 shown]
	v_cvt_f64_f32_e32 v[35:36], v38
	v_cvt_f64_f32_e32 v[37:38], v42
	s_wait_loadcnt 0x0
	v_fma_f64 v[16:17], v[43:44], v[47:48], v[16:17]
	v_fma_f64 v[39:40], v[55:56], v[47:48], v[18:19]
	;; [unrolled: 1-line block ×4, first 2 shown]
	s_delay_alu instid0(VALU_DEP_4) | instskip(NEXT) | instid1(VALU_DEP_4)
	v_fma_f64 v[18:19], v[20:21], v[49:50], v[16:17]
	v_fma_f64 v[20:21], v[32:33], v[49:50], v[39:40]
	s_delay_alu instid0(VALU_DEP_4) | instskip(NEXT) | instid1(VALU_DEP_4)
	v_fma_f64 v[16:17], v[35:36], v[49:50], v[30:31]
	v_fma_f64 v[14:15], v[37:38], v[49:50], v[14:15]
	s_wait_alu 0xfffe
	s_and_not1_b32 exec_lo, exec_lo, s10
	s_cbranch_execnz .LBB163_23
; %bb.24:
	s_or_b32 exec_lo, exec_lo, s10
.LBB163_25:
	s_wait_alu 0xfffe
	s_or_b32 exec_lo, exec_lo, s7
.LBB163_26:
	s_wait_alu 0xfffe
	s_or_b32 exec_lo, exec_lo, s6
	s_cbranch_execz .LBB163_28
	s_branch .LBB163_39
.LBB163_27:
                                        ; implicit-def: $vgpr14_vgpr15
                                        ; implicit-def: $vgpr16_vgpr17
                                        ; implicit-def: $vgpr20_vgpr21
                                        ; implicit-def: $vgpr18_vgpr19
.LBB163_28:
	v_mov_b32_e32 v14, 0
	v_dual_mov_b32 v20, 0 :: v_dual_mov_b32 v15, 0
	v_dual_mov_b32 v16, 0 :: v_dual_mov_b32 v21, 0
	;; [unrolled: 1-line block ×3, first 2 shown]
	v_mov_b32_e32 v19, 0
	s_and_saveexec_b32 s3, s2
	s_cbranch_execz .LBB163_38
; %bb.29:
	v_or_b32_e32 v14, 32, v34
	v_not_b32_e32 v17, v22
	v_sub_co_u32 v18, s2, v4, v34
	v_not_b32_e32 v16, v23
	s_delay_alu instid0(VALU_DEP_4)
	v_sub_co_u32 v14, vcc_lo, v14, v4
	s_wait_alu 0xfffd
	v_sub_co_ci_u32_e64 v15, null, 0, v5, vcc_lo
	s_wait_alu 0xf1ff
	v_subrev_co_ci_u32_e64 v19, null, 0, v5, s2
	v_add_co_u32 v14, vcc_lo, v14, v22
	s_wait_alu 0xfffd
	v_add_co_ci_u32_e64 v15, null, v15, v23, vcc_lo
	s_delay_alu instid0(VALU_DEP_1)
	v_cmp_gt_i64_e32 vcc_lo, v[14:15], v[6:7]
	s_wait_alu 0xfffd
	v_cndmask_b32_e32 v20, v7, v15, vcc_lo
	v_cndmask_b32_e32 v14, v6, v14, vcc_lo
	v_add_co_u32 v15, vcc_lo, v18, v17
	s_wait_alu 0xfffd
	v_add_co_ci_u32_e64 v16, null, v19, v16, vcc_lo
	v_mov_b32_e32 v18, 0
	v_mov_b32_e32 v19, 0
	v_add_co_u32 v22, vcc_lo, v15, v14
	v_mov_b32_e32 v15, 0
	s_wait_alu 0xfffd
	v_add_co_ci_u32_e64 v23, null, v16, v20, vcc_lo
	s_delay_alu instid0(VALU_DEP_3) | instskip(SKIP_3) | instid1(VALU_DEP_4)
	v_and_b32_e32 v14, 0x60, v22
	v_mov_b32_e32 v20, 0
	v_dual_mov_b32 v21, 0 :: v_dual_mov_b32 v16, 0
	v_mov_b32_e32 v17, 0
	v_cmp_ne_u64_e32 vcc_lo, 0x60, v[14:15]
	v_mov_b32_e32 v14, 0
	v_mov_b32_e32 v15, 0
	s_and_saveexec_b32 s6, vcc_lo
	s_cbranch_execz .LBB163_33
; %bb.30:
	v_lshrrev_b32_e32 v14, 5, v22
	v_lshlrev_b64_e32 v[24:25], 3, v[0:1]
	v_mov_b32_e32 v16, 0
	v_mov_b32_e32 v20, 0
	;; [unrolled: 1-line block ×3, first 2 shown]
	v_add_nc_u32_e32 v26, 1, v14
	v_dual_mov_b32 v14, 0 :: v_dual_mov_b32 v17, 0
	v_mov_b32_e32 v15, 0
	v_add_co_u32 v24, vcc_lo, s8, v24
	s_delay_alu instid0(VALU_DEP_4) | instskip(SKIP_3) | instid1(VALU_DEP_3)
	v_dual_mov_b32 v21, 0 :: v_dual_and_b32 v26, 3, v26
	v_mov_b32_e32 v19, 0
	s_wait_alu 0xfffd
	v_add_co_ci_u32_e64 v25, null, s9, v25, vcc_lo
	v_sub_co_u32 v26, s2, 0, v26
	s_wait_alu 0xf1ff
	v_sub_co_ci_u32_e64 v27, null, 0, 0, s2
	s_mov_b32 s7, 0
.LBB163_31:                             ; =>This Inner Loop Header: Depth=1
	global_load_b64 v[32:33], v[24:25], off
	s_clause 0x1
	global_load_b128 v[28:31], v[12:13], off
	global_load_b128 v[35:38], v[12:13], off offset:16
	v_add_co_u32 v24, s2, 0x100, v24
	s_wait_alu 0xf1ff
	v_add_co_ci_u32_e64 v25, null, 0, v25, s2
	s_wait_loadcnt 0x2
	v_sub_co_u32 v32, vcc_lo, v32, v4
	s_wait_alu 0xfffd
	v_sub_co_ci_u32_e64 v33, null, v33, v5, vcc_lo
	s_wait_loadcnt 0x1
	v_cvt_f64_f32_e32 v[55:56], v30
	v_cvt_f64_f32_e32 v[30:31], v31
	s_wait_loadcnt 0x0
	v_cvt_f64_f32_e32 v[57:58], v35
	v_lshlrev_b64_e32 v[32:33], 5, v[32:33]
	v_cvt_f64_f32_e32 v[35:36], v36
	v_cvt_f64_f32_e32 v[59:60], v37
	;; [unrolled: 1-line block ×3, first 2 shown]
	s_wait_kmcnt 0x0
	s_delay_alu instid0(VALU_DEP_4)
	v_add_co_u32 v32, vcc_lo, s4, v32
	s_wait_alu 0xfffd
	v_add_co_ci_u32_e64 v33, null, s5, v33, vcc_lo
	s_clause 0x1
	global_load_b128 v[39:42], v[32:33], off
	global_load_b128 v[43:46], v[32:33], off offset:16
	s_clause 0x1
	global_load_b128 v[47:50], v[12:13], off offset:32
	global_load_b128 v[51:54], v[12:13], off offset:48
	v_cvt_f64_f32_e32 v[32:33], v28
	v_cvt_f64_f32_e32 v[28:29], v29
	v_add_co_u32 v12, vcc_lo, 0x800, v12
	s_wait_alu 0xfffd
	v_add_co_ci_u32_e64 v13, null, 0, v13, vcc_lo
	v_add_co_u32 v26, vcc_lo, v26, 1
	s_wait_alu 0xfffd
	v_add_co_ci_u32_e64 v27, null, 0, v27, vcc_lo
	;; [unrolled: 3-line block ×3, first 2 shown]
	s_delay_alu instid0(VALU_DEP_3)
	v_cmp_eq_u64_e32 vcc_lo, 0, v[26:27]
	s_wait_alu 0xfffe
	s_or_b32 s7, vcc_lo, s7
	s_wait_loadcnt 0x3
	v_fma_f64 v[18:19], v[32:33], v[39:40], v[18:19]
	v_fma_f64 v[20:21], v[28:29], v[39:40], v[20:21]
	;; [unrolled: 1-line block ×4, first 2 shown]
	s_wait_loadcnt 0x1
	v_cvt_f64_f32_e32 v[28:29], v47
	v_cvt_f64_f32_e32 v[30:31], v48
	;; [unrolled: 1-line block ×4, first 2 shown]
	s_wait_loadcnt 0x0
	v_cvt_f64_f32_e32 v[47:48], v54
	v_fma_f64 v[18:19], v[57:58], v[41:42], v[18:19]
	v_fma_f64 v[20:21], v[35:36], v[41:42], v[20:21]
	;; [unrolled: 1-line block ×4, first 2 shown]
	v_cvt_f64_f32_e32 v[35:36], v51
	v_cvt_f64_f32_e32 v[37:38], v52
	;; [unrolled: 1-line block ×3, first 2 shown]
	v_fma_f64 v[18:19], v[28:29], v[43:44], v[18:19]
	v_fma_f64 v[20:21], v[30:31], v[43:44], v[20:21]
	v_fma_f64 v[16:17], v[32:33], v[43:44], v[16:17]
	v_fma_f64 v[14:15], v[39:40], v[43:44], v[14:15]
	s_delay_alu instid0(VALU_DEP_4) | instskip(NEXT) | instid1(VALU_DEP_4)
	v_fma_f64 v[18:19], v[35:36], v[45:46], v[18:19]
	v_fma_f64 v[20:21], v[37:38], v[45:46], v[20:21]
	s_delay_alu instid0(VALU_DEP_4) | instskip(NEXT) | instid1(VALU_DEP_4)
	v_fma_f64 v[16:17], v[41:42], v[45:46], v[16:17]
	v_fma_f64 v[14:15], v[47:48], v[45:46], v[14:15]
	s_wait_alu 0xfffe
	s_and_not1_b32 exec_lo, exec_lo, s7
	s_cbranch_execnz .LBB163_31
; %bb.32:
	s_or_b32 exec_lo, exec_lo, s7
.LBB163_33:
	s_wait_alu 0xfffe
	s_or_b32 exec_lo, exec_lo, s6
	s_delay_alu instid0(SALU_CYCLE_1)
	s_mov_b32 s6, exec_lo
	v_cmpx_lt_u64_e32 0x5f, v[22:23]
	s_cbranch_execz .LBB163_37
; %bb.34:
	v_lshlrev_b64_e32 v[22:23], 3, v[0:1]
	s_mov_b32 s7, 0
	s_delay_alu instid0(VALU_DEP_1) | instskip(SKIP_1) | instid1(VALU_DEP_2)
	v_add_co_u32 v22, vcc_lo, s8, v22
	s_wait_alu 0xfffd
	v_add_co_ci_u32_e64 v23, null, s9, v23, vcc_lo
	s_delay_alu instid0(VALU_DEP_2) | instskip(SKIP_1) | instid1(VALU_DEP_2)
	v_add_co_u32 v22, vcc_lo, 0x200, v22
	s_wait_alu 0xfffd
	v_add_co_ci_u32_e64 v23, null, 0, v23, vcc_lo
.LBB163_35:                             ; =>This Inner Loop Header: Depth=1
	s_clause 0x1
	global_load_b64 v[32:33], v[22:23], off offset:-512
	global_load_b64 v[55:56], v[22:23], off offset:-256
	global_load_b128 v[24:27], v[12:13], off
	global_load_b64 v[79:80], v[22:23], off
	global_load_b128 v[28:31], v[12:13], off offset:16
	global_load_b64 v[83:84], v[22:23], off offset:256
	v_add_co_u32 v22, s2, 0x400, v22
	s_wait_alu 0xf1ff
	v_add_co_ci_u32_e64 v23, null, 0, v23, s2
	s_wait_loadcnt 0x5
	v_sub_co_u32 v32, vcc_lo, v32, v4
	s_wait_alu 0xfffd
	v_sub_co_ci_u32_e64 v33, null, v33, v5, vcc_lo
	s_wait_loadcnt 0x3
	v_cvt_f64_f32_e32 v[85:86], v25
	v_cvt_f64_f32_e32 v[87:88], v26
	;; [unrolled: 1-line block ×3, first 2 shown]
	v_lshlrev_b64_e32 v[32:33], 5, v[32:33]
	s_wait_loadcnt 0x1
	v_cvt_f64_f32_e32 v[93:94], v28
	v_cvt_f64_f32_e32 v[28:29], v29
	;; [unrolled: 1-line block ×4, first 2 shown]
	s_wait_kmcnt 0x0
	v_add_co_u32 v32, vcc_lo, s4, v32
	s_wait_alu 0xfffd
	v_add_co_ci_u32_e64 v33, null, s5, v33, vcc_lo
	global_load_b128 v[35:38], v[32:33], off
	s_clause 0x1
	global_load_b128 v[39:42], v[12:13], off offset:32
	global_load_b128 v[43:46], v[12:13], off offset:48
	;; [unrolled: 1-line block ×4, first 2 shown]
	v_sub_co_u32 v32, vcc_lo, v55, v4
	s_wait_alu 0xfffd
	v_sub_co_ci_u32_e64 v33, null, v56, v5, vcc_lo
	s_delay_alu instid0(VALU_DEP_1) | instskip(NEXT) | instid1(VALU_DEP_1)
	v_lshlrev_b64_e32 v[32:33], 5, v[32:33]
	v_add_co_u32 v32, vcc_lo, s4, v32
	s_wait_alu 0xfffd
	s_delay_alu instid0(VALU_DEP_2)
	v_add_co_ci_u32_e64 v33, null, s5, v33, vcc_lo
	global_load_b128 v[55:58], v[12:13], off offset:2064
	global_load_b128 v[59:62], v[32:33], off
	s_clause 0x1
	global_load_b128 v[63:66], v[12:13], off offset:2080
	global_load_b128 v[67:70], v[12:13], off offset:2096
	;; [unrolled: 1-line block ×4, first 2 shown]
	v_cvt_f64_f32_e32 v[32:33], v24
	v_sub_co_u32 v24, vcc_lo, v79, v4
	s_wait_alu 0xfffd
	v_sub_co_ci_u32_e64 v25, null, v80, v5, vcc_lo
	s_delay_alu instid0(VALU_DEP_1) | instskip(NEXT) | instid1(VALU_DEP_1)
	v_lshlrev_b64_e32 v[24:25], 5, v[24:25]
	v_add_co_u32 v91, vcc_lo, s4, v24
	s_wait_alu 0xfffd
	s_delay_alu instid0(VALU_DEP_2)
	v_add_co_ci_u32_e64 v92, null, s5, v25, vcc_lo
	global_load_b128 v[24:27], v[12:13], off offset:4112
	global_load_b128 v[79:82], v[91:92], off
	s_wait_loadcnt 0xd
	v_sub_co_u32 v83, vcc_lo, v83, v4
	s_wait_alu 0xfffd
	v_sub_co_ci_u32_e64 v84, null, v84, v5, vcc_lo
	s_wait_loadcnt 0xc
	v_fma_f64 v[18:19], v[32:33], v[35:36], v[18:19]
	v_fma_f64 v[20:21], v[85:86], v[35:36], v[20:21]
	;; [unrolled: 1-line block ×4, first 2 shown]
	global_load_b128 v[14:17], v[12:13], off offset:4128
	s_wait_loadcnt 0xc
	v_cvt_f64_f32_e32 v[85:86], v39
	v_cvt_f64_f32_e32 v[39:40], v40
	v_cvt_f64_f32_e32 v[87:88], v41
	v_cvt_f64_f32_e32 v[41:42], v42
	v_fma_f64 v[89:90], v[93:94], v[37:38], v[18:19]
	v_fma_f64 v[93:94], v[28:29], v[37:38], v[20:21]
	v_fma_f64 v[32:33], v[95:96], v[37:38], v[32:33]
	v_fma_f64 v[35:36], v[30:31], v[37:38], v[35:36]
	global_load_b128 v[18:21], v[12:13], off offset:4144
	global_load_b128 v[28:31], v[91:92], off offset:16
	s_wait_loadcnt 0xd
	v_cvt_f64_f32_e32 v[91:92], v43
	v_cvt_f64_f32_e32 v[43:44], v44
	;; [unrolled: 1-line block ×4, first 2 shown]
	s_wait_loadcnt 0xc
	v_fma_f64 v[85:86], v[85:86], v[47:48], v[89:90]
	v_fma_f64 v[39:40], v[39:40], v[47:48], v[93:94]
	;; [unrolled: 1-line block ×4, first 2 shown]
	global_load_b128 v[35:38], v[12:13], off offset:6144
	s_wait_loadcnt 0xc
	v_cvt_f64_f32_e32 v[47:48], v51
	v_cvt_f64_f32_e32 v[51:52], v52
	;; [unrolled: 1-line block ×4, first 2 shown]
	s_wait_loadcnt 0xb
	v_cvt_f64_f32_e32 v[93:94], v57
	v_cvt_f64_f32_e32 v[57:58], v58
	v_fma_f64 v[85:86], v[91:92], v[49:50], v[85:86]
	v_fma_f64 v[89:90], v[43:44], v[49:50], v[39:40]
	;; [unrolled: 1-line block ×4, first 2 shown]
	v_lshlrev_b64_e32 v[39:40], 5, v[83:84]
	v_cvt_f64_f32_e32 v[91:92], v55
	v_cvt_f64_f32_e32 v[55:56], v56
	s_delay_alu instid0(VALU_DEP_3) | instskip(SKIP_1) | instid1(VALU_DEP_4)
	v_add_co_u32 v83, vcc_lo, s4, v39
	s_wait_alu 0xfffd
	v_add_co_ci_u32_e64 v84, null, s5, v40, vcc_lo
	global_load_b128 v[39:42], v[12:13], off offset:6160
	global_load_b128 v[43:46], v[83:84], off
	v_add_co_u32 v0, vcc_lo, 0x80, v0
	s_wait_alu 0xfffd
	v_add_co_ci_u32_e64 v1, null, 0, v1, vcc_lo
	s_wait_loadcnt 0xc
	v_fma_f64 v[85:86], v[47:48], v[59:60], v[85:86]
	v_fma_f64 v[51:52], v[51:52], v[59:60], v[89:90]
	;; [unrolled: 1-line block ×4, first 2 shown]
	global_load_b128 v[47:50], v[12:13], off offset:6176
	s_wait_loadcnt 0xc
	v_cvt_f64_f32_e32 v[59:60], v63
	v_cvt_f64_f32_e32 v[63:64], v64
	v_cvt_f64_f32_e32 v[87:88], v65
	v_cvt_f64_f32_e32 v[65:66], v66
	v_fma_f64 v[85:86], v[91:92], v[61:62], v[85:86]
	v_fma_f64 v[89:90], v[55:56], v[61:62], v[51:52]
	;; [unrolled: 1-line block ×4, first 2 shown]
	global_load_b128 v[51:54], v[12:13], off offset:6192
	global_load_b128 v[55:58], v[83:84], off offset:16
	s_wait_loadcnt 0xd
	v_cvt_f64_f32_e32 v[83:84], v67
	v_cvt_f64_f32_e32 v[67:68], v68
	;; [unrolled: 1-line block ×4, first 2 shown]
	v_add_co_u32 v12, vcc_lo, 0x2000, v12
	s_wait_alu 0xfffd
	v_add_co_ci_u32_e64 v13, null, 0, v13, vcc_lo
	v_cmp_ge_i64_e32 vcc_lo, v[0:1], v[6:7]
	s_wait_alu 0xfffe
	s_or_b32 s7, vcc_lo, s7
	s_wait_loadcnt 0xc
	v_fma_f64 v[59:60], v[59:60], v[71:72], v[85:86]
	v_fma_f64 v[63:64], v[63:64], v[71:72], v[89:90]
	v_fma_f64 v[32:33], v[87:88], v[71:72], v[32:33]
	v_fma_f64 v[61:62], v[65:66], v[71:72], v[61:62]
	s_wait_loadcnt 0xb
	v_cvt_f64_f32_e32 v[65:66], v75
	v_cvt_f64_f32_e32 v[71:72], v76
	v_cvt_f64_f32_e32 v[75:76], v77
	v_cvt_f64_f32_e32 v[77:78], v78
	v_fma_f64 v[59:60], v[83:84], v[73:74], v[59:60]
	v_fma_f64 v[63:64], v[67:68], v[73:74], v[63:64]
	v_fma_f64 v[32:33], v[91:92], v[73:74], v[32:33]
	v_fma_f64 v[61:62], v[69:70], v[73:74], v[61:62]
	s_wait_loadcnt 0xa
	v_cvt_f64_f32_e32 v[67:68], v24
	v_cvt_f64_f32_e32 v[24:25], v25
	v_cvt_f64_f32_e32 v[69:70], v26
	v_cvt_f64_f32_e32 v[26:27], v27
	s_wait_loadcnt 0x9
	v_fma_f64 v[59:60], v[65:66], v[79:80], v[59:60]
	v_fma_f64 v[63:64], v[71:72], v[79:80], v[63:64]
	v_fma_f64 v[32:33], v[75:76], v[79:80], v[32:33]
	v_fma_f64 v[61:62], v[77:78], v[79:80], v[61:62]
	s_wait_loadcnt 0x8
	v_cvt_f64_f32_e32 v[65:66], v14
	v_cvt_f64_f32_e32 v[14:15], v15
	v_cvt_f64_f32_e32 v[71:72], v16
	v_cvt_f64_f32_e32 v[16:17], v17
	v_fma_f64 v[59:60], v[67:68], v[81:82], v[59:60]
	v_fma_f64 v[24:25], v[24:25], v[81:82], v[63:64]
	v_fma_f64 v[32:33], v[69:70], v[81:82], v[32:33]
	v_fma_f64 v[26:27], v[26:27], v[81:82], v[61:62]
	s_wait_loadcnt 0x7
	v_cvt_f64_f32_e32 v[61:62], v18
	v_cvt_f64_f32_e32 v[18:19], v19
	v_cvt_f64_f32_e32 v[63:64], v20
	v_cvt_f64_f32_e32 v[20:21], v21
	;; [unrolled: 19-line block ×4, first 2 shown]
	s_wait_loadcnt 0x0
	v_fma_f64 v[20:21], v[28:29], v[55:56], v[20:21]
	v_fma_f64 v[14:15], v[32:33], v[55:56], v[14:15]
	;; [unrolled: 1-line block ×4, first 2 shown]
	s_delay_alu instid0(VALU_DEP_4) | instskip(NEXT) | instid1(VALU_DEP_4)
	v_fma_f64 v[18:19], v[24:25], v[57:58], v[20:21]
	v_fma_f64 v[20:21], v[26:27], v[57:58], v[14:15]
	s_delay_alu instid0(VALU_DEP_4) | instskip(NEXT) | instid1(VALU_DEP_4)
	v_fma_f64 v[16:17], v[30:31], v[57:58], v[28:29]
	v_fma_f64 v[14:15], v[39:40], v[57:58], v[32:33]
	s_wait_alu 0xfffe
	s_and_not1_b32 exec_lo, exec_lo, s7
	s_cbranch_execnz .LBB163_35
; %bb.36:
	s_or_b32 exec_lo, exec_lo, s7
.LBB163_37:
	s_wait_alu 0xfffe
	s_or_b32 exec_lo, exec_lo, s6
.LBB163_38:
	s_wait_alu 0xfffe
	s_or_b32 exec_lo, exec_lo, s3
.LBB163_39:
	v_mbcnt_lo_u32_b32 v24, -1, 0
	s_delay_alu instid0(VALU_DEP_1) | instskip(NEXT) | instid1(VALU_DEP_1)
	v_xor_b32_e32 v0, 16, v24
	v_cmp_gt_i32_e32 vcc_lo, 32, v0
	s_wait_alu 0xfffd
	v_cndmask_b32_e32 v0, v24, v0, vcc_lo
	s_delay_alu instid0(VALU_DEP_1)
	v_lshlrev_b32_e32 v13, 2, v0
	ds_bpermute_b32 v0, v13, v18
	ds_bpermute_b32 v1, v13, v19
	;; [unrolled: 1-line block ×8, first 2 shown]
	s_wait_dscnt 0x6
	v_add_f64_e32 v[0:1], v[18:19], v[0:1]
	s_wait_dscnt 0x4
	v_add_f64_e32 v[4:5], v[20:21], v[4:5]
	;; [unrolled: 2-line block ×4, first 2 shown]
	v_xor_b32_e32 v14, 8, v24
	s_delay_alu instid0(VALU_DEP_1) | instskip(SKIP_2) | instid1(VALU_DEP_1)
	v_cmp_gt_i32_e32 vcc_lo, 32, v14
	s_wait_alu 0xfffd
	v_cndmask_b32_e32 v14, v24, v14, vcc_lo
	v_lshlrev_b32_e32 v21, 2, v14
	ds_bpermute_b32 v14, v21, v0
	ds_bpermute_b32 v15, v21, v1
	;; [unrolled: 1-line block ×8, first 2 shown]
	s_wait_dscnt 0x6
	v_add_f64_e32 v[0:1], v[0:1], v[14:15]
	v_xor_b32_e32 v14, 4, v24
	s_wait_dscnt 0x4
	v_add_f64_e32 v[4:5], v[4:5], v[16:17]
	s_wait_dscnt 0x2
	v_add_f64_e32 v[6:7], v[6:7], v[18:19]
	;; [unrolled: 2-line block ×3, first 2 shown]
	v_cmp_gt_i32_e32 vcc_lo, 32, v14
	s_wait_alu 0xfffd
	v_cndmask_b32_e32 v14, v24, v14, vcc_lo
	s_delay_alu instid0(VALU_DEP_1)
	v_lshlrev_b32_e32 v21, 2, v14
	ds_bpermute_b32 v14, v21, v0
	ds_bpermute_b32 v15, v21, v1
	;; [unrolled: 1-line block ×8, first 2 shown]
	s_wait_dscnt 0x6
	v_add_f64_e32 v[0:1], v[0:1], v[14:15]
	s_wait_dscnt 0x4
	v_add_f64_e32 v[4:5], v[4:5], v[16:17]
	s_wait_dscnt 0x2
	v_add_f64_e32 v[14:15], v[6:7], v[18:19]
	v_xor_b32_e32 v6, 2, v24
	s_wait_dscnt 0x0
	v_add_f64_e32 v[16:17], v[12:13], v[20:21]
	s_delay_alu instid0(VALU_DEP_2) | instskip(SKIP_2) | instid1(VALU_DEP_1)
	v_cmp_gt_i32_e32 vcc_lo, 32, v6
	s_wait_alu 0xfffd
	v_cndmask_b32_e32 v6, v24, v6, vcc_lo
	v_lshlrev_b32_e32 v12, 2, v6
	ds_bpermute_b32 v6, v12, v0
	ds_bpermute_b32 v7, v12, v1
	;; [unrolled: 1-line block ×8, first 2 shown]
	s_wait_dscnt 0x6
	v_add_f64_e32 v[12:13], v[0:1], v[6:7]
	s_wait_dscnt 0x4
	v_add_f64_e32 v[6:7], v[4:5], v[18:19]
	;; [unrolled: 2-line block ×3, first 2 shown]
	v_xor_b32_e32 v14, 1, v24
	s_wait_dscnt 0x0
	v_add_f64_e32 v[4:5], v[16:17], v[22:23]
	s_delay_alu instid0(VALU_DEP_2) | instskip(SKIP_3) | instid1(VALU_DEP_2)
	v_cmp_gt_i32_e32 vcc_lo, 32, v14
	s_wait_alu 0xfffd
	v_cndmask_b32_e32 v14, v24, v14, vcc_lo
	v_cmp_eq_u32_e32 vcc_lo, 31, v34
	v_lshlrev_b32_e32 v15, 2, v14
	ds_bpermute_b32 v20, v15, v12
	ds_bpermute_b32 v21, v15, v13
	;; [unrolled: 1-line block ×8, first 2 shown]
	s_and_b32 exec_lo, exec_lo, vcc_lo
	s_cbranch_execz .LBB163_10
; %bb.40:
	s_wait_dscnt 0x6
	v_add_f64_e32 v[12:13], v[12:13], v[20:21]
	s_wait_dscnt 0x4
	v_add_f64_e32 v[6:7], v[6:7], v[18:19]
	;; [unrolled: 2-line block ×4, first 2 shown]
	s_load_b64 s[0:1], s[0:1], 0x58
	v_lshlrev_b64_e32 v[10:11], 5, v[10:11]
	s_mov_b32 s2, exec_lo
	v_mul_f64_e32 v[4:5], v[2:3], v[12:13]
	v_mul_f64_e32 v[6:7], v[2:3], v[6:7]
	;; [unrolled: 1-line block ×4, first 2 shown]
	v_cmpx_eq_f64_e32 0, v[8:9]
	s_wait_alu 0xfffe
	s_xor_b32 s2, exec_lo, s2
	s_cbranch_execz .LBB163_42
; %bb.41:
	s_wait_kmcnt 0x0
	v_add_co_u32 v8, vcc_lo, s0, v10
	s_wait_alu 0xfffd
	v_add_co_ci_u32_e64 v9, null, s1, v11, vcc_lo
                                        ; implicit-def: $vgpr10_vgpr11
	s_clause 0x1
	global_store_b128 v[8:9], v[4:7], off
	global_store_b128 v[8:9], v[0:3], off offset:16
                                        ; implicit-def: $vgpr8_vgpr9
                                        ; implicit-def: $vgpr4_vgpr5
                                        ; implicit-def: $vgpr0_vgpr1
.LBB163_42:
	s_wait_alu 0xfffe
	s_and_not1_saveexec_b32 s2, s2
	s_cbranch_execz .LBB163_10
; %bb.43:
	s_wait_kmcnt 0x0
	v_add_co_u32 v18, vcc_lo, s0, v10
	s_wait_alu 0xfffd
	v_add_co_ci_u32_e64 v19, null, s1, v11, vcc_lo
	s_clause 0x1
	global_load_b128 v[10:13], v[18:19], off
	global_load_b128 v[14:17], v[18:19], off offset:16
	s_wait_loadcnt 0x1
	v_fma_f64 v[4:5], v[8:9], v[10:11], v[4:5]
	v_fma_f64 v[6:7], v[8:9], v[12:13], v[6:7]
	s_wait_loadcnt 0x0
	v_fma_f64 v[0:1], v[8:9], v[14:15], v[0:1]
	v_fma_f64 v[2:3], v[8:9], v[16:17], v[2:3]
	s_clause 0x1
	global_store_b128 v[18:19], v[4:7], off
	global_store_b128 v[18:19], v[0:3], off offset:16
	s_nop 0
	s_sendmsg sendmsg(MSG_DEALLOC_VGPRS)
	s_endpgm
	.section	.rodata,"a",@progbits
	.p2align	6, 0x0
	.amdhsa_kernel _ZN9rocsparseL18bsrxmvn_4x4_kernelILj128ELj32EdllfddEEvT3_20rocsparse_direction_NS_24const_host_device_scalarIT1_EES1_PKS1_PKT2_SA_S7_PKT4_PKT5_S5_PT6_21rocsparse_index_base_b
		.amdhsa_group_segment_fixed_size 0
		.amdhsa_private_segment_fixed_size 0
		.amdhsa_kernarg_size 104
		.amdhsa_user_sgpr_count 2
		.amdhsa_user_sgpr_dispatch_ptr 0
		.amdhsa_user_sgpr_queue_ptr 0
		.amdhsa_user_sgpr_kernarg_segment_ptr 1
		.amdhsa_user_sgpr_dispatch_id 0
		.amdhsa_user_sgpr_private_segment_size 0
		.amdhsa_wavefront_size32 1
		.amdhsa_uses_dynamic_stack 0
		.amdhsa_enable_private_segment 0
		.amdhsa_system_sgpr_workgroup_id_x 1
		.amdhsa_system_sgpr_workgroup_id_y 0
		.amdhsa_system_sgpr_workgroup_id_z 0
		.amdhsa_system_sgpr_workgroup_info 0
		.amdhsa_system_vgpr_workitem_id 0
		.amdhsa_next_free_vgpr 115
		.amdhsa_next_free_sgpr 12
		.amdhsa_reserve_vcc 1
		.amdhsa_float_round_mode_32 0
		.amdhsa_float_round_mode_16_64 0
		.amdhsa_float_denorm_mode_32 3
		.amdhsa_float_denorm_mode_16_64 3
		.amdhsa_fp16_overflow 0
		.amdhsa_workgroup_processor_mode 1
		.amdhsa_memory_ordered 1
		.amdhsa_forward_progress 1
		.amdhsa_inst_pref_size 51
		.amdhsa_round_robin_scheduling 0
		.amdhsa_exception_fp_ieee_invalid_op 0
		.amdhsa_exception_fp_denorm_src 0
		.amdhsa_exception_fp_ieee_div_zero 0
		.amdhsa_exception_fp_ieee_overflow 0
		.amdhsa_exception_fp_ieee_underflow 0
		.amdhsa_exception_fp_ieee_inexact 0
		.amdhsa_exception_int_div_zero 0
	.end_amdhsa_kernel
	.section	.text._ZN9rocsparseL18bsrxmvn_4x4_kernelILj128ELj32EdllfddEEvT3_20rocsparse_direction_NS_24const_host_device_scalarIT1_EES1_PKS1_PKT2_SA_S7_PKT4_PKT5_S5_PT6_21rocsparse_index_base_b,"axG",@progbits,_ZN9rocsparseL18bsrxmvn_4x4_kernelILj128ELj32EdllfddEEvT3_20rocsparse_direction_NS_24const_host_device_scalarIT1_EES1_PKS1_PKT2_SA_S7_PKT4_PKT5_S5_PT6_21rocsparse_index_base_b,comdat
.Lfunc_end163:
	.size	_ZN9rocsparseL18bsrxmvn_4x4_kernelILj128ELj32EdllfddEEvT3_20rocsparse_direction_NS_24const_host_device_scalarIT1_EES1_PKS1_PKT2_SA_S7_PKT4_PKT5_S5_PT6_21rocsparse_index_base_b, .Lfunc_end163-_ZN9rocsparseL18bsrxmvn_4x4_kernelILj128ELj32EdllfddEEvT3_20rocsparse_direction_NS_24const_host_device_scalarIT1_EES1_PKS1_PKT2_SA_S7_PKT4_PKT5_S5_PT6_21rocsparse_index_base_b
                                        ; -- End function
	.set _ZN9rocsparseL18bsrxmvn_4x4_kernelILj128ELj32EdllfddEEvT3_20rocsparse_direction_NS_24const_host_device_scalarIT1_EES1_PKS1_PKT2_SA_S7_PKT4_PKT5_S5_PT6_21rocsparse_index_base_b.num_vgpr, 115
	.set _ZN9rocsparseL18bsrxmvn_4x4_kernelILj128ELj32EdllfddEEvT3_20rocsparse_direction_NS_24const_host_device_scalarIT1_EES1_PKS1_PKT2_SA_S7_PKT4_PKT5_S5_PT6_21rocsparse_index_base_b.num_agpr, 0
	.set _ZN9rocsparseL18bsrxmvn_4x4_kernelILj128ELj32EdllfddEEvT3_20rocsparse_direction_NS_24const_host_device_scalarIT1_EES1_PKS1_PKT2_SA_S7_PKT4_PKT5_S5_PT6_21rocsparse_index_base_b.numbered_sgpr, 12
	.set _ZN9rocsparseL18bsrxmvn_4x4_kernelILj128ELj32EdllfddEEvT3_20rocsparse_direction_NS_24const_host_device_scalarIT1_EES1_PKS1_PKT2_SA_S7_PKT4_PKT5_S5_PT6_21rocsparse_index_base_b.num_named_barrier, 0
	.set _ZN9rocsparseL18bsrxmvn_4x4_kernelILj128ELj32EdllfddEEvT3_20rocsparse_direction_NS_24const_host_device_scalarIT1_EES1_PKS1_PKT2_SA_S7_PKT4_PKT5_S5_PT6_21rocsparse_index_base_b.private_seg_size, 0
	.set _ZN9rocsparseL18bsrxmvn_4x4_kernelILj128ELj32EdllfddEEvT3_20rocsparse_direction_NS_24const_host_device_scalarIT1_EES1_PKS1_PKT2_SA_S7_PKT4_PKT5_S5_PT6_21rocsparse_index_base_b.uses_vcc, 1
	.set _ZN9rocsparseL18bsrxmvn_4x4_kernelILj128ELj32EdllfddEEvT3_20rocsparse_direction_NS_24const_host_device_scalarIT1_EES1_PKS1_PKT2_SA_S7_PKT4_PKT5_S5_PT6_21rocsparse_index_base_b.uses_flat_scratch, 0
	.set _ZN9rocsparseL18bsrxmvn_4x4_kernelILj128ELj32EdllfddEEvT3_20rocsparse_direction_NS_24const_host_device_scalarIT1_EES1_PKS1_PKT2_SA_S7_PKT4_PKT5_S5_PT6_21rocsparse_index_base_b.has_dyn_sized_stack, 0
	.set _ZN9rocsparseL18bsrxmvn_4x4_kernelILj128ELj32EdllfddEEvT3_20rocsparse_direction_NS_24const_host_device_scalarIT1_EES1_PKS1_PKT2_SA_S7_PKT4_PKT5_S5_PT6_21rocsparse_index_base_b.has_recursion, 0
	.set _ZN9rocsparseL18bsrxmvn_4x4_kernelILj128ELj32EdllfddEEvT3_20rocsparse_direction_NS_24const_host_device_scalarIT1_EES1_PKS1_PKT2_SA_S7_PKT4_PKT5_S5_PT6_21rocsparse_index_base_b.has_indirect_call, 0
	.section	.AMDGPU.csdata,"",@progbits
; Kernel info:
; codeLenInByte = 6508
; TotalNumSgprs: 14
; NumVgprs: 115
; ScratchSize: 0
; MemoryBound: 0
; FloatMode: 240
; IeeeMode: 1
; LDSByteSize: 0 bytes/workgroup (compile time only)
; SGPRBlocks: 0
; VGPRBlocks: 14
; NumSGPRsForWavesPerEU: 14
; NumVGPRsForWavesPerEU: 115
; Occupancy: 12
; WaveLimiterHint : 1
; COMPUTE_PGM_RSRC2:SCRATCH_EN: 0
; COMPUTE_PGM_RSRC2:USER_SGPR: 2
; COMPUTE_PGM_RSRC2:TRAP_HANDLER: 0
; COMPUTE_PGM_RSRC2:TGID_X_EN: 1
; COMPUTE_PGM_RSRC2:TGID_Y_EN: 0
; COMPUTE_PGM_RSRC2:TGID_Z_EN: 0
; COMPUTE_PGM_RSRC2:TIDIG_COMP_CNT: 0
	.section	.text._ZN9rocsparseL18bsrxmvn_4x4_kernelILj128ELj64EdllfddEEvT3_20rocsparse_direction_NS_24const_host_device_scalarIT1_EES1_PKS1_PKT2_SA_S7_PKT4_PKT5_S5_PT6_21rocsparse_index_base_b,"axG",@progbits,_ZN9rocsparseL18bsrxmvn_4x4_kernelILj128ELj64EdllfddEEvT3_20rocsparse_direction_NS_24const_host_device_scalarIT1_EES1_PKS1_PKT2_SA_S7_PKT4_PKT5_S5_PT6_21rocsparse_index_base_b,comdat
	.globl	_ZN9rocsparseL18bsrxmvn_4x4_kernelILj128ELj64EdllfddEEvT3_20rocsparse_direction_NS_24const_host_device_scalarIT1_EES1_PKS1_PKT2_SA_S7_PKT4_PKT5_S5_PT6_21rocsparse_index_base_b ; -- Begin function _ZN9rocsparseL18bsrxmvn_4x4_kernelILj128ELj64EdllfddEEvT3_20rocsparse_direction_NS_24const_host_device_scalarIT1_EES1_PKS1_PKT2_SA_S7_PKT4_PKT5_S5_PT6_21rocsparse_index_base_b
	.p2align	8
	.type	_ZN9rocsparseL18bsrxmvn_4x4_kernelILj128ELj64EdllfddEEvT3_20rocsparse_direction_NS_24const_host_device_scalarIT1_EES1_PKS1_PKT2_SA_S7_PKT4_PKT5_S5_PT6_21rocsparse_index_base_b,@function
_ZN9rocsparseL18bsrxmvn_4x4_kernelILj128ELj64EdllfddEEvT3_20rocsparse_direction_NS_24const_host_device_scalarIT1_EES1_PKS1_PKT2_SA_S7_PKT4_PKT5_S5_PT6_21rocsparse_index_base_b: ; @_ZN9rocsparseL18bsrxmvn_4x4_kernelILj128ELj64EdllfddEEvT3_20rocsparse_direction_NS_24const_host_device_scalarIT1_EES1_PKS1_PKT2_SA_S7_PKT4_PKT5_S5_PT6_21rocsparse_index_base_b
; %bb.0:
	s_clause 0x2
	s_load_b64 s[8:9], s[0:1], 0x60
	s_load_b128 s[4:7], s[0:1], 0x10
	s_load_b64 s[2:3], s[0:1], 0x50
	s_wait_kmcnt 0x0
	s_bitcmp1_b32 s9, 0
	v_dual_mov_b32 v2, s4 :: v_dual_mov_b32 v3, s5
	s_cselect_b32 s9, -1, 0
	s_delay_alu instid0(SALU_CYCLE_1)
	s_and_b32 vcc_lo, exec_lo, s9
	s_xor_b32 s9, s9, -1
	s_cbranch_vccnz .LBB164_2
; %bb.1:
	v_dual_mov_b32 v1, s4 :: v_dual_mov_b32 v2, s5
	flat_load_b64 v[2:3], v[1:2]
.LBB164_2:
	v_dual_mov_b32 v9, s3 :: v_dual_mov_b32 v8, s2
	s_and_not1_b32 vcc_lo, exec_lo, s9
	s_cbranch_vccnz .LBB164_4
; %bb.3:
	v_dual_mov_b32 v5, s3 :: v_dual_mov_b32 v4, s2
	flat_load_b64 v[8:9], v[4:5]
.LBB164_4:
	s_wait_loadcnt_dscnt 0x0
	v_cmp_neq_f64_e32 vcc_lo, 0, v[2:3]
	v_cmp_neq_f64_e64 s2, 1.0, v[8:9]
	s_or_b32 s2, vcc_lo, s2
	s_wait_alu 0xfffe
	s_and_saveexec_b32 s3, s2
	s_cbranch_execz .LBB164_10
; %bb.5:
	s_load_b64 s[2:3], s[0:1], 0x20
	v_lshrrev_b32_e32 v1, 6, v0
	v_mov_b32_e32 v7, 0
	s_delay_alu instid0(VALU_DEP_2)
	v_lshl_or_b32 v6, ttmp9, 1, v1
	s_wait_kmcnt 0x0
	s_cmp_lg_u64 s[2:3], 0
	s_cbranch_scc0 .LBB164_11
; %bb.6:
	s_delay_alu instid0(VALU_DEP_1)
	v_cmp_gt_i64_e32 vcc_lo, s[6:7], v[6:7]
	s_mov_b32 s5, 0
	s_mov_b32 s4, 0
                                        ; implicit-def: $vgpr10_vgpr11
                                        ; implicit-def: $vgpr4_vgpr5
	s_and_saveexec_b32 s6, vcc_lo
	s_wait_alu 0xfffe
	s_xor_b32 s6, exec_lo, s6
	s_cbranch_execz .LBB164_8
; %bb.7:
	v_lshlrev_b64_e32 v[4:5], 3, v[6:7]
	s_mov_b32 s9, 0
	s_mov_b32 s4, exec_lo
	s_delay_alu instid0(VALU_DEP_1) | instskip(NEXT) | instid1(VALU_DEP_1)
	v_add_co_u32 v4, vcc_lo, s2, v4
	v_add_co_ci_u32_e64 v5, null, s3, v5, vcc_lo
	global_load_b64 v[4:5], v[4:5], off
	s_wait_loadcnt 0x0
	v_sub_co_u32 v10, vcc_lo, v4, s8
	s_wait_alu 0xfffd
	v_subrev_co_ci_u32_e64 v11, null, 0, v5, vcc_lo
	v_dual_mov_b32 v4, s8 :: v_dual_mov_b32 v5, s9
.LBB164_8:
	s_wait_alu 0xfffe
	s_or_b32 exec_lo, exec_lo, s6
	s_delay_alu instid0(SALU_CYCLE_1)
	s_and_b32 vcc_lo, exec_lo, s5
	s_wait_alu 0xfffe
	s_cbranch_vccnz .LBB164_12
.LBB164_9:
	s_wait_alu 0xfffe
	s_and_b32 exec_lo, exec_lo, s4
	s_cbranch_execnz .LBB164_15
.LBB164_10:
	s_nop 0
	s_sendmsg sendmsg(MSG_DEALLOC_VGPRS)
	s_endpgm
.LBB164_11:
	s_mov_b32 s4, 0
                                        ; implicit-def: $vgpr10_vgpr11
                                        ; implicit-def: $vgpr4_vgpr5
	s_cbranch_execz .LBB164_9
.LBB164_12:
	s_load_b64 s[2:3], s[0:1], 0x0
	s_wait_kmcnt 0x0
	v_cmp_gt_i64_e32 vcc_lo, s[2:3], v[6:7]
	s_and_saveexec_b32 s2, vcc_lo
; %bb.13:
	s_mov_b32 s9, 0
	s_or_b32 s4, s4, exec_lo
; %bb.14:
	s_wait_alu 0xfffe
	s_or_b32 exec_lo, exec_lo, s2
	v_dual_mov_b32 v4, s8 :: v_dual_mov_b32 v5, s9
	v_dual_mov_b32 v11, v7 :: v_dual_mov_b32 v10, v6
	s_and_b32 exec_lo, exec_lo, s4
	s_cbranch_execz .LBB164_10
.LBB164_15:
	s_load_b256 s[4:11], s[0:1], 0x28
	s_delay_alu instid0(VALU_DEP_1) | instskip(SKIP_3) | instid1(VALU_DEP_2)
	v_lshlrev_b64_e32 v[6:7], 3, v[10:11]
	v_and_b32_e32 v34, 63, v0
	s_load_b32 s3, s[0:1], 0x8
	s_wait_kmcnt 0x0
	v_add_co_u32 v12, vcc_lo, s4, v6
	s_wait_alu 0xfffd
	v_add_co_ci_u32_e64 v13, null, s5, v7, vcc_lo
	v_add_co_u32 v1, vcc_lo, s6, v6
	s_wait_alu 0xfffd
	v_add_co_ci_u32_e64 v6, null, s7, v7, vcc_lo
	v_add_co_u32 v14, vcc_lo, v12, 8
	global_load_b64 v[22:23], v[12:13], off
	s_wait_alu 0xfffd
	v_add_co_ci_u32_e64 v7, null, 0, v13, vcc_lo
	s_cmp_eq_u64 s[6:7], 0
	s_load_b64 s[4:5], s[0:1], 0x48
	s_cselect_b32 vcc_lo, -1, 0
	s_cmp_eq_u32 s3, 1
	s_wait_alu 0xfffe
	v_dual_cndmask_b32 v7, v6, v7 :: v_dual_cndmask_b32 v6, v1, v14
	global_load_b64 v[6:7], v[6:7], off
	s_wait_loadcnt 0x1
	v_sub_co_u32 v0, vcc_lo, v22, v4
	s_wait_alu 0xfffd
	v_sub_co_ci_u32_e64 v1, null, v23, v5, vcc_lo
	s_delay_alu instid0(VALU_DEP_2) | instskip(SKIP_1) | instid1(VALU_DEP_2)
	v_add_co_u32 v0, vcc_lo, v0, v34
	s_wait_alu 0xfffd
	v_add_co_ci_u32_e64 v1, null, 0, v1, vcc_lo
	s_delay_alu instid0(VALU_DEP_1) | instskip(SKIP_4) | instid1(VALU_DEP_3)
	v_lshlrev_b64_e32 v[12:13], 6, v[0:1]
	s_wait_loadcnt 0x0
	v_sub_co_u32 v6, vcc_lo, v6, v4
	s_wait_alu 0xfffd
	v_sub_co_ci_u32_e64 v7, null, v7, v5, vcc_lo
	v_add_co_u32 v12, vcc_lo, s10, v12
	s_delay_alu instid0(VALU_DEP_2)
	v_cmp_lt_i64_e64 s2, v[0:1], v[6:7]
	s_wait_alu 0xfffd
	v_add_co_ci_u32_e64 v13, null, s11, v13, vcc_lo
	s_cbranch_scc1 .LBB164_27
; %bb.16:
	v_mov_b32_e32 v14, 0
	v_dual_mov_b32 v20, 0 :: v_dual_mov_b32 v15, 0
	v_dual_mov_b32 v16, 0 :: v_dual_mov_b32 v21, 0
	v_dual_mov_b32 v18, 0 :: v_dual_mov_b32 v17, 0
	v_mov_b32_e32 v19, 0
	s_and_saveexec_b32 s6, s2
	s_cbranch_execz .LBB164_26
; %bb.17:
	v_or_b32_e32 v14, 64, v34
	v_not_b32_e32 v17, v22
	v_sub_co_u32 v18, s3, v4, v34
	v_not_b32_e32 v16, v23
	s_delay_alu instid0(VALU_DEP_4)
	v_sub_co_u32 v14, vcc_lo, v14, v4
	s_wait_alu 0xfffd
	v_sub_co_ci_u32_e64 v15, null, 0, v5, vcc_lo
	s_wait_alu 0xf1ff
	v_subrev_co_ci_u32_e64 v19, null, 0, v5, s3
	v_add_co_u32 v14, vcc_lo, v14, v22
	s_wait_alu 0xfffd
	v_add_co_ci_u32_e64 v15, null, v15, v23, vcc_lo
	v_dual_mov_b32 v27, v1 :: v_dual_mov_b32 v26, v0
	v_mov_b32_e32 v20, 0
	s_delay_alu instid0(VALU_DEP_3)
	v_cmp_gt_i64_e32 vcc_lo, v[14:15], v[6:7]
	v_mov_b32_e32 v21, 0
	s_wait_alu 0xfffd
	v_dual_cndmask_b32 v15, v7, v15 :: v_dual_cndmask_b32 v14, v6, v14
	v_add_co_u32 v17, vcc_lo, v18, v17
	s_wait_alu 0xfffd
	v_add_co_ci_u32_e64 v16, null, v19, v16, vcc_lo
	v_mov_b32_e32 v18, 0
	s_delay_alu instid0(VALU_DEP_3) | instskip(SKIP_3) | instid1(VALU_DEP_3)
	v_add_co_u32 v28, vcc_lo, v17, v14
	v_mov_b32_e32 v25, 0
	s_wait_alu 0xfffd
	v_add_co_ci_u32_e64 v29, null, v16, v15, vcc_lo
	v_and_b32_e32 v24, 0xc0, v28
	v_dual_mov_b32 v16, 0 :: v_dual_mov_b32 v19, 0
	v_dual_mov_b32 v17, 0 :: v_dual_mov_b32 v14, 0
	s_delay_alu instid0(VALU_DEP_3)
	v_cmp_ne_u64_e32 vcc_lo, 0xc0, v[24:25]
	v_mov_b32_e32 v15, 0
	v_dual_mov_b32 v25, v13 :: v_dual_mov_b32 v24, v12
	s_and_saveexec_b32 s7, vcc_lo
	s_cbranch_execz .LBB164_21
; %bb.18:
	v_lshrrev_b32_e32 v14, 6, v28
	v_lshlrev_b64_e32 v[18:19], 3, v[0:1]
	v_mov_b32_e32 v16, 0
	v_mov_b32_e32 v20, 0
	s_delay_alu instid0(VALU_DEP_4) | instskip(SKIP_3) | instid1(VALU_DEP_4)
	v_dual_mov_b32 v21, 0 :: v_dual_add_nc_u32 v26, 1, v14
	v_dual_mov_b32 v14, 0 :: v_dual_mov_b32 v25, v13
	v_mov_b32_e32 v15, 0
	v_add_co_u32 v30, vcc_lo, s8, v18
	v_and_b32_e32 v26, 3, v26
	s_wait_alu 0xfffd
	v_add_co_ci_u32_e64 v31, null, s9, v19, vcc_lo
	v_mov_b32_e32 v18, 0
	v_dual_mov_b32 v24, v12 :: v_dual_mov_b32 v17, 0
	v_sub_co_u32 v32, s3, 0, v26
	v_mov_b32_e32 v27, v1
	s_wait_alu 0xf1ff
	v_sub_co_ci_u32_e64 v33, null, 0, 0, s3
	v_dual_mov_b32 v19, 0 :: v_dual_mov_b32 v26, v0
	s_mov_b32 s10, 0
.LBB164_19:                             ; =>This Inner Loop Header: Depth=1
	global_load_b64 v[51:52], v[30:31], off
	s_clause 0x3
	global_load_b128 v[35:38], v[24:25], off
	global_load_b128 v[39:42], v[24:25], off offset:16
	global_load_b128 v[43:46], v[24:25], off offset:32
	;; [unrolled: 1-line block ×3, first 2 shown]
	v_add_co_u32 v30, s3, 0x200, v30
	s_wait_alu 0xf1ff
	v_add_co_ci_u32_e64 v31, null, 0, v31, s3
	s_wait_loadcnt 0x4
	v_sub_co_u32 v51, vcc_lo, v51, v4
	s_wait_alu 0xfffd
	v_sub_co_ci_u32_e64 v52, null, v52, v5, vcc_lo
	s_wait_loadcnt 0x3
	v_cvt_f64_f32_e32 v[59:60], v35
	s_wait_loadcnt 0x2
	v_cvt_f64_f32_e32 v[61:62], v39
	;; [unrolled: 2-line block ×3, first 2 shown]
	v_lshlrev_b64_e32 v[51:52], 5, v[51:52]
	s_wait_loadcnt 0x0
	v_cvt_f64_f32_e32 v[65:66], v47
	v_cvt_f64_f32_e32 v[35:36], v36
	;; [unrolled: 1-line block ×5, first 2 shown]
	s_wait_kmcnt 0x0
	v_add_co_u32 v55, vcc_lo, s4, v51
	s_wait_alu 0xfffd
	v_add_co_ci_u32_e64 v56, null, s5, v52, vcc_lo
	v_add_co_u32 v24, vcc_lo, 0x1000, v24
	s_wait_alu 0xfffd
	v_add_co_ci_u32_e64 v25, null, 0, v25, vcc_lo
	s_clause 0x1
	global_load_b128 v[51:54], v[55:56], off
	global_load_b128 v[55:58], v[55:56], off offset:16
	v_add_co_u32 v32, vcc_lo, v32, 1
	s_wait_alu 0xfffd
	v_add_co_ci_u32_e64 v33, null, 0, v33, vcc_lo
	v_add_co_u32 v26, vcc_lo, v26, 64
	s_wait_alu 0xfffd
	v_add_co_ci_u32_e64 v27, null, 0, v27, vcc_lo
	s_delay_alu instid0(VALU_DEP_3)
	v_cmp_eq_u64_e32 vcc_lo, 0, v[32:33]
	s_wait_alu 0xfffe
	s_or_b32 s10, vcc_lo, s10
	s_wait_loadcnt 0x1
	v_fma_f64 v[18:19], v[59:60], v[51:52], v[18:19]
	v_fma_f64 v[20:21], v[61:62], v[51:52], v[20:21]
	;; [unrolled: 1-line block ×4, first 2 shown]
	v_cvt_f64_f32_e32 v[51:52], v37
	v_cvt_f64_f32_e32 v[59:60], v41
	;; [unrolled: 1-line block ×4, first 2 shown]
	v_fma_f64 v[18:19], v[35:36], v[53:54], v[18:19]
	v_fma_f64 v[20:21], v[39:40], v[53:54], v[20:21]
	;; [unrolled: 1-line block ×4, first 2 shown]
	v_cvt_f64_f32_e32 v[35:36], v38
	v_cvt_f64_f32_e32 v[37:38], v42
	;; [unrolled: 1-line block ×4, first 2 shown]
	s_wait_loadcnt 0x0
	v_fma_f64 v[18:19], v[51:52], v[55:56], v[18:19]
	v_fma_f64 v[20:21], v[59:60], v[55:56], v[20:21]
	;; [unrolled: 1-line block ×4, first 2 shown]
	s_delay_alu instid0(VALU_DEP_4) | instskip(NEXT) | instid1(VALU_DEP_4)
	v_fma_f64 v[18:19], v[35:36], v[57:58], v[18:19]
	v_fma_f64 v[20:21], v[37:38], v[57:58], v[20:21]
	s_delay_alu instid0(VALU_DEP_4) | instskip(NEXT) | instid1(VALU_DEP_4)
	v_fma_f64 v[16:17], v[39:40], v[57:58], v[16:17]
	v_fma_f64 v[14:15], v[41:42], v[57:58], v[14:15]
	s_wait_alu 0xfffe
	s_and_not1_b32 exec_lo, exec_lo, s10
	s_cbranch_execnz .LBB164_19
; %bb.20:
	s_or_b32 exec_lo, exec_lo, s10
.LBB164_21:
	s_wait_alu 0xfffe
	s_or_b32 exec_lo, exec_lo, s7
	s_delay_alu instid0(SALU_CYCLE_1)
	s_mov_b32 s7, exec_lo
	v_cmpx_lt_u64_e32 0xbf, v[28:29]
	s_cbranch_execz .LBB164_25
; %bb.22:
	v_lshlrev_b64_e32 v[28:29], 3, v[26:27]
	s_mov_b32 s10, 0
	s_delay_alu instid0(VALU_DEP_1) | instskip(SKIP_1) | instid1(VALU_DEP_2)
	v_add_co_u32 v28, vcc_lo, s8, v28
	s_wait_alu 0xfffd
	v_add_co_ci_u32_e64 v29, null, s9, v29, vcc_lo
	s_delay_alu instid0(VALU_DEP_2) | instskip(SKIP_1) | instid1(VALU_DEP_2)
	v_add_co_u32 v28, vcc_lo, 0x400, v28
	s_wait_alu 0xfffd
	v_add_co_ci_u32_e64 v29, null, 0, v29, vcc_lo
.LBB164_23:                             ; =>This Inner Loop Header: Depth=1
	s_clause 0x1
	global_load_b64 v[47:48], v[28:29], off offset:-1024
	global_load_b64 v[71:72], v[28:29], off offset:-512
	s_clause 0x3
	global_load_b128 v[30:33], v[24:25], off
	global_load_b128 v[35:38], v[24:25], off offset:16
	global_load_b128 v[39:42], v[24:25], off offset:32
	;; [unrolled: 1-line block ×3, first 2 shown]
	s_clause 0x1
	global_load_b64 v[95:96], v[28:29], off
	global_load_b64 v[99:100], v[28:29], off offset:512
	v_add_co_u32 v28, s3, 0x800, v28
	s_wait_alu 0xf1ff
	v_add_co_ci_u32_e64 v29, null, 0, v29, s3
	s_wait_loadcnt 0x7
	v_sub_co_u32 v47, vcc_lo, v47, v4
	s_wait_alu 0xfffd
	v_sub_co_ci_u32_e64 v48, null, v48, v5, vcc_lo
	s_wait_loadcnt 0x5
	v_cvt_f64_f32_e32 v[101:102], v30
	s_wait_loadcnt 0x4
	v_cvt_f64_f32_e32 v[103:104], v35
	;; [unrolled: 2-line block ×3, first 2 shown]
	v_lshlrev_b64_e32 v[47:48], 5, v[47:48]
	s_wait_loadcnt 0x2
	v_cvt_f64_f32_e32 v[107:108], v43
	v_cvt_f64_f32_e32 v[30:31], v31
	;; [unrolled: 1-line block ×5, first 2 shown]
	s_wait_kmcnt 0x0
	v_add_co_u32 v51, vcc_lo, s4, v47
	s_wait_alu 0xfffd
	v_add_co_ci_u32_e64 v52, null, s5, v48, vcc_lo
	v_sub_co_u32 v71, vcc_lo, v71, v4
	s_wait_alu 0xfffd
	v_sub_co_ci_u32_e64 v72, null, v72, v5, vcc_lo
	s_clause 0x1
	global_load_b128 v[47:50], v[51:52], off
	global_load_b128 v[51:54], v[51:52], off offset:16
	s_clause 0x3
	global_load_b128 v[55:58], v[24:25], off offset:4096
	global_load_b128 v[59:62], v[24:25], off offset:4112
	global_load_b128 v[63:66], v[24:25], off offset:4128
	global_load_b128 v[67:70], v[24:25], off offset:4144
	v_lshlrev_b64_e32 v[71:72], 5, v[71:72]
	s_delay_alu instid0(VALU_DEP_1) | instskip(SKIP_1) | instid1(VALU_DEP_2)
	v_add_co_u32 v75, vcc_lo, s4, v71
	s_wait_alu 0xfffd
	v_add_co_ci_u32_e64 v76, null, s5, v72, vcc_lo
	s_wait_loadcnt 0x7
	v_sub_co_u32 v95, vcc_lo, v95, v4
	s_clause 0x1
	global_load_b128 v[71:74], v[75:76], off
	global_load_b128 v[75:78], v[75:76], off offset:16
	s_clause 0x3
	global_load_b128 v[79:82], v[24:25], off offset:8192
	global_load_b128 v[83:86], v[24:25], off offset:8208
	;; [unrolled: 1-line block ×4, first 2 shown]
	s_wait_alu 0xfffd
	v_sub_co_ci_u32_e64 v96, null, v96, v5, vcc_lo
	s_delay_alu instid0(VALU_DEP_1) | instskip(NEXT) | instid1(VALU_DEP_1)
	v_lshlrev_b64_e32 v[95:96], 5, v[95:96]
	v_add_co_u32 v109, vcc_lo, s4, v95
	s_wait_alu 0xfffd
	s_delay_alu instid0(VALU_DEP_2)
	v_add_co_ci_u32_e64 v110, null, s5, v96, vcc_lo
	s_wait_loadcnt 0xc
	v_sub_co_u32 v99, vcc_lo, v99, v4
	s_wait_alu 0xfffd
	v_sub_co_ci_u32_e64 v100, null, v100, v5, vcc_lo
	global_load_b128 v[95:98], v[109:110], off
	s_wait_loadcnt 0xc
	v_fma_f64 v[18:19], v[101:102], v[47:48], v[18:19]
	v_fma_f64 v[20:21], v[103:104], v[47:48], v[20:21]
	;; [unrolled: 1-line block ×4, first 2 shown]
	v_cvt_f64_f32_e32 v[47:48], v32
	v_cvt_f64_f32_e32 v[101:102], v37
	;; [unrolled: 1-line block ×6, first 2 shown]
	s_wait_loadcnt 0x8
	v_cvt_f64_f32_e32 v[111:112], v63
	s_wait_loadcnt 0x7
	v_cvt_f64_f32_e32 v[113:114], v67
	v_cvt_f64_f32_e32 v[63:64], v64
	;; [unrolled: 1-line block ×3, first 2 shown]
	v_fma_f64 v[18:19], v[30:31], v[49:50], v[18:19]
	v_fma_f64 v[20:21], v[35:36], v[49:50], v[20:21]
	;; [unrolled: 1-line block ×4, first 2 shown]
	global_load_b128 v[14:17], v[109:110], off offset:16
	v_cvt_f64_f32_e32 v[43:44], v33
	v_cvt_f64_f32_e32 v[49:50], v38
	;; [unrolled: 1-line block ×4, first 2 shown]
	v_fma_f64 v[47:48], v[47:48], v[51:52], v[18:19]
	v_fma_f64 v[101:102], v[101:102], v[51:52], v[20:21]
	;; [unrolled: 1-line block ×4, first 2 shown]
	s_clause 0x3
	global_load_b128 v[18:21], v[24:25], off offset:12288
	global_load_b128 v[30:33], v[24:25], off offset:12304
	;; [unrolled: 1-line block ×4, first 2 shown]
	v_cvt_f64_f32_e32 v[105:106], v55
	v_cvt_f64_f32_e32 v[55:56], v56
	v_fma_f64 v[47:48], v[43:44], v[53:54], v[47:48]
	v_fma_f64 v[49:50], v[49:50], v[53:54], v[101:102]
	v_fma_f64 v[101:102], v[107:108], v[53:54], v[103:104]
	v_fma_f64 v[51:52], v[45:46], v[53:54], v[51:52]
	v_lshlrev_b64_e32 v[43:44], 5, v[99:100]
	v_cvt_f64_f32_e32 v[103:104], v65
	s_delay_alu instid0(VALU_DEP_2) | instskip(SKIP_1) | instid1(VALU_DEP_3)
	v_add_co_u32 v53, vcc_lo, s4, v43
	s_wait_alu 0xfffd
	v_add_co_ci_u32_e64 v54, null, s5, v44, vcc_lo
	v_add_co_u32 v26, vcc_lo, 0x100, v26
	s_wait_alu 0xfffd
	v_add_co_ci_u32_e64 v27, null, 0, v27, vcc_lo
	global_load_b128 v[43:46], v[53:54], off
	v_add_co_u32 v24, vcc_lo, 0x4000, v24
	s_wait_alu 0xfffd
	v_add_co_ci_u32_e64 v25, null, 0, v25, vcc_lo
	v_cmp_ge_i64_e32 vcc_lo, v[26:27], v[6:7]
	s_wait_alu 0xfffe
	s_or_b32 s10, vcc_lo, s10
	s_wait_loadcnt 0xc
	v_fma_f64 v[47:48], v[105:106], v[71:72], v[47:48]
	v_fma_f64 v[49:50], v[109:110], v[71:72], v[49:50]
	;; [unrolled: 1-line block ×4, first 2 shown]
	v_cvt_f64_f32_e32 v[71:72], v57
	v_cvt_f64_f32_e32 v[101:102], v61
	;; [unrolled: 1-line block ×3, first 2 shown]
	v_fma_f64 v[55:56], v[55:56], v[73:74], v[47:48]
	v_fma_f64 v[59:60], v[59:60], v[73:74], v[49:50]
	;; [unrolled: 1-line block ×4, first 2 shown]
	global_load_b128 v[47:50], v[53:54], off offset:16
	v_cvt_f64_f32_e32 v[53:54], v58
	v_cvt_f64_f32_e32 v[57:58], v62
	;; [unrolled: 1-line block ×4, first 2 shown]
	s_wait_loadcnt 0xb
	v_cvt_f64_f32_e32 v[67:68], v79
	s_wait_loadcnt 0xa
	v_cvt_f64_f32_e32 v[69:70], v83
	;; [unrolled: 2-line block ×3, first 2 shown]
	v_fma_f64 v[55:56], v[71:72], v[75:76], v[55:56]
	v_fma_f64 v[59:60], v[101:102], v[75:76], v[59:60]
	;; [unrolled: 1-line block ×4, first 2 shown]
	v_cvt_f64_f32_e32 v[71:72], v87
	v_fma_f64 v[53:54], v[53:54], v[77:78], v[55:56]
	v_fma_f64 v[55:56], v[57:58], v[77:78], v[59:60]
	;; [unrolled: 1-line block ×4, first 2 shown]
	v_cvt_f64_f32_e32 v[59:60], v80
	v_cvt_f64_f32_e32 v[61:62], v84
	;; [unrolled: 1-line block ×4, first 2 shown]
	s_wait_loadcnt 0x7
	v_fma_f64 v[53:54], v[67:68], v[95:96], v[53:54]
	v_fma_f64 v[55:56], v[69:70], v[95:96], v[55:56]
	;; [unrolled: 1-line block ×4, first 2 shown]
	v_cvt_f64_f32_e32 v[67:68], v81
	v_cvt_f64_f32_e32 v[69:70], v85
	;; [unrolled: 1-line block ×4, first 2 shown]
	v_fma_f64 v[53:54], v[59:60], v[97:98], v[53:54]
	v_fma_f64 v[55:56], v[61:62], v[97:98], v[55:56]
	;; [unrolled: 1-line block ×4, first 2 shown]
	v_cvt_f64_f32_e32 v[59:60], v82
	v_cvt_f64_f32_e32 v[61:62], v86
	;; [unrolled: 1-line block ×4, first 2 shown]
	s_wait_loadcnt 0x6
	v_fma_f64 v[53:54], v[67:68], v[14:15], v[53:54]
	v_fma_f64 v[55:56], v[69:70], v[14:15], v[55:56]
	;; [unrolled: 1-line block ×4, first 2 shown]
	s_wait_loadcnt 0x5
	v_cvt_f64_f32_e32 v[51:52], v18
	s_wait_loadcnt 0x4
	v_cvt_f64_f32_e32 v[67:68], v30
	;; [unrolled: 2-line block ×4, first 2 shown]
	v_fma_f64 v[53:54], v[59:60], v[16:17], v[53:54]
	v_fma_f64 v[55:56], v[61:62], v[16:17], v[55:56]
	;; [unrolled: 1-line block ×4, first 2 shown]
	v_cvt_f64_f32_e32 v[16:17], v19
	v_cvt_f64_f32_e32 v[18:19], v31
	;; [unrolled: 1-line block ×5, first 2 shown]
	s_wait_loadcnt 0x1
	v_fma_f64 v[39:40], v[51:52], v[43:44], v[53:54]
	v_fma_f64 v[51:52], v[67:68], v[43:44], v[55:56]
	;; [unrolled: 1-line block ×4, first 2 shown]
	v_cvt_f64_f32_e32 v[43:44], v20
	v_cvt_f64_f32_e32 v[55:56], v32
	;; [unrolled: 1-line block ×5, first 2 shown]
	v_fma_f64 v[16:17], v[16:17], v[45:46], v[39:40]
	v_fma_f64 v[18:19], v[18:19], v[45:46], v[51:52]
	;; [unrolled: 1-line block ×4, first 2 shown]
	v_cvt_f64_f32_e32 v[35:36], v38
	v_cvt_f64_f32_e32 v[37:38], v42
	s_wait_loadcnt 0x0
	v_fma_f64 v[16:17], v[43:44], v[47:48], v[16:17]
	v_fma_f64 v[39:40], v[55:56], v[47:48], v[18:19]
	v_fma_f64 v[30:31], v[57:58], v[47:48], v[30:31]
	v_fma_f64 v[14:15], v[59:60], v[47:48], v[14:15]
	s_delay_alu instid0(VALU_DEP_4) | instskip(NEXT) | instid1(VALU_DEP_4)
	v_fma_f64 v[18:19], v[20:21], v[49:50], v[16:17]
	v_fma_f64 v[20:21], v[32:33], v[49:50], v[39:40]
	s_delay_alu instid0(VALU_DEP_4) | instskip(NEXT) | instid1(VALU_DEP_4)
	v_fma_f64 v[16:17], v[35:36], v[49:50], v[30:31]
	v_fma_f64 v[14:15], v[37:38], v[49:50], v[14:15]
	s_wait_alu 0xfffe
	s_and_not1_b32 exec_lo, exec_lo, s10
	s_cbranch_execnz .LBB164_23
; %bb.24:
	s_or_b32 exec_lo, exec_lo, s10
.LBB164_25:
	s_wait_alu 0xfffe
	s_or_b32 exec_lo, exec_lo, s7
.LBB164_26:
	s_wait_alu 0xfffe
	s_or_b32 exec_lo, exec_lo, s6
	s_cbranch_execz .LBB164_28
	s_branch .LBB164_39
.LBB164_27:
                                        ; implicit-def: $vgpr14_vgpr15
                                        ; implicit-def: $vgpr16_vgpr17
                                        ; implicit-def: $vgpr20_vgpr21
                                        ; implicit-def: $vgpr18_vgpr19
.LBB164_28:
	v_mov_b32_e32 v14, 0
	v_dual_mov_b32 v20, 0 :: v_dual_mov_b32 v15, 0
	v_dual_mov_b32 v16, 0 :: v_dual_mov_b32 v21, 0
	;; [unrolled: 1-line block ×3, first 2 shown]
	v_mov_b32_e32 v19, 0
	s_and_saveexec_b32 s3, s2
	s_cbranch_execz .LBB164_38
; %bb.29:
	v_or_b32_e32 v14, 64, v34
	v_not_b32_e32 v17, v22
	v_sub_co_u32 v18, s2, v4, v34
	v_not_b32_e32 v16, v23
	s_delay_alu instid0(VALU_DEP_4)
	v_sub_co_u32 v14, vcc_lo, v14, v4
	s_wait_alu 0xfffd
	v_sub_co_ci_u32_e64 v15, null, 0, v5, vcc_lo
	s_wait_alu 0xf1ff
	v_subrev_co_ci_u32_e64 v19, null, 0, v5, s2
	v_add_co_u32 v14, vcc_lo, v14, v22
	s_wait_alu 0xfffd
	v_add_co_ci_u32_e64 v15, null, v15, v23, vcc_lo
	s_delay_alu instid0(VALU_DEP_1)
	v_cmp_gt_i64_e32 vcc_lo, v[14:15], v[6:7]
	s_wait_alu 0xfffd
	v_cndmask_b32_e32 v20, v7, v15, vcc_lo
	v_cndmask_b32_e32 v14, v6, v14, vcc_lo
	v_add_co_u32 v15, vcc_lo, v18, v17
	s_wait_alu 0xfffd
	v_add_co_ci_u32_e64 v16, null, v19, v16, vcc_lo
	v_mov_b32_e32 v18, 0
	v_mov_b32_e32 v19, 0
	v_add_co_u32 v22, vcc_lo, v15, v14
	v_mov_b32_e32 v15, 0
	s_wait_alu 0xfffd
	v_add_co_ci_u32_e64 v23, null, v16, v20, vcc_lo
	s_delay_alu instid0(VALU_DEP_3) | instskip(SKIP_3) | instid1(VALU_DEP_4)
	v_and_b32_e32 v14, 0xc0, v22
	v_mov_b32_e32 v20, 0
	v_dual_mov_b32 v21, 0 :: v_dual_mov_b32 v16, 0
	v_mov_b32_e32 v17, 0
	v_cmp_ne_u64_e32 vcc_lo, 0xc0, v[14:15]
	v_mov_b32_e32 v14, 0
	v_mov_b32_e32 v15, 0
	s_and_saveexec_b32 s6, vcc_lo
	s_cbranch_execz .LBB164_33
; %bb.30:
	v_lshrrev_b32_e32 v14, 6, v22
	v_lshlrev_b64_e32 v[24:25], 3, v[0:1]
	v_mov_b32_e32 v16, 0
	v_mov_b32_e32 v20, 0
	;; [unrolled: 1-line block ×3, first 2 shown]
	v_add_nc_u32_e32 v26, 1, v14
	v_dual_mov_b32 v14, 0 :: v_dual_mov_b32 v17, 0
	v_mov_b32_e32 v15, 0
	v_add_co_u32 v24, vcc_lo, s8, v24
	s_delay_alu instid0(VALU_DEP_4) | instskip(SKIP_3) | instid1(VALU_DEP_3)
	v_dual_mov_b32 v21, 0 :: v_dual_and_b32 v26, 3, v26
	v_mov_b32_e32 v19, 0
	s_wait_alu 0xfffd
	v_add_co_ci_u32_e64 v25, null, s9, v25, vcc_lo
	v_sub_co_u32 v26, s2, 0, v26
	s_wait_alu 0xf1ff
	v_sub_co_ci_u32_e64 v27, null, 0, 0, s2
	s_mov_b32 s7, 0
.LBB164_31:                             ; =>This Inner Loop Header: Depth=1
	global_load_b64 v[32:33], v[24:25], off
	s_clause 0x1
	global_load_b128 v[28:31], v[12:13], off
	global_load_b128 v[35:38], v[12:13], off offset:16
	v_add_co_u32 v24, s2, 0x200, v24
	s_wait_alu 0xf1ff
	v_add_co_ci_u32_e64 v25, null, 0, v25, s2
	s_wait_loadcnt 0x2
	v_sub_co_u32 v32, vcc_lo, v32, v4
	s_wait_alu 0xfffd
	v_sub_co_ci_u32_e64 v33, null, v33, v5, vcc_lo
	s_wait_loadcnt 0x1
	v_cvt_f64_f32_e32 v[55:56], v30
	v_cvt_f64_f32_e32 v[30:31], v31
	s_wait_loadcnt 0x0
	v_cvt_f64_f32_e32 v[57:58], v35
	v_lshlrev_b64_e32 v[32:33], 5, v[32:33]
	v_cvt_f64_f32_e32 v[35:36], v36
	v_cvt_f64_f32_e32 v[59:60], v37
	;; [unrolled: 1-line block ×3, first 2 shown]
	s_wait_kmcnt 0x0
	s_delay_alu instid0(VALU_DEP_4)
	v_add_co_u32 v32, vcc_lo, s4, v32
	s_wait_alu 0xfffd
	v_add_co_ci_u32_e64 v33, null, s5, v33, vcc_lo
	s_clause 0x1
	global_load_b128 v[39:42], v[32:33], off
	global_load_b128 v[43:46], v[32:33], off offset:16
	s_clause 0x1
	global_load_b128 v[47:50], v[12:13], off offset:32
	global_load_b128 v[51:54], v[12:13], off offset:48
	v_cvt_f64_f32_e32 v[32:33], v28
	v_cvt_f64_f32_e32 v[28:29], v29
	v_add_co_u32 v12, vcc_lo, 0x1000, v12
	s_wait_alu 0xfffd
	v_add_co_ci_u32_e64 v13, null, 0, v13, vcc_lo
	v_add_co_u32 v26, vcc_lo, v26, 1
	s_wait_alu 0xfffd
	v_add_co_ci_u32_e64 v27, null, 0, v27, vcc_lo
	;; [unrolled: 3-line block ×3, first 2 shown]
	s_delay_alu instid0(VALU_DEP_3)
	v_cmp_eq_u64_e32 vcc_lo, 0, v[26:27]
	s_wait_alu 0xfffe
	s_or_b32 s7, vcc_lo, s7
	s_wait_loadcnt 0x3
	v_fma_f64 v[18:19], v[32:33], v[39:40], v[18:19]
	v_fma_f64 v[20:21], v[28:29], v[39:40], v[20:21]
	;; [unrolled: 1-line block ×4, first 2 shown]
	s_wait_loadcnt 0x1
	v_cvt_f64_f32_e32 v[28:29], v47
	v_cvt_f64_f32_e32 v[30:31], v48
	;; [unrolled: 1-line block ×4, first 2 shown]
	s_wait_loadcnt 0x0
	v_cvt_f64_f32_e32 v[47:48], v54
	v_fma_f64 v[18:19], v[57:58], v[41:42], v[18:19]
	v_fma_f64 v[20:21], v[35:36], v[41:42], v[20:21]
	;; [unrolled: 1-line block ×4, first 2 shown]
	v_cvt_f64_f32_e32 v[35:36], v51
	v_cvt_f64_f32_e32 v[37:38], v52
	;; [unrolled: 1-line block ×3, first 2 shown]
	v_fma_f64 v[18:19], v[28:29], v[43:44], v[18:19]
	v_fma_f64 v[20:21], v[30:31], v[43:44], v[20:21]
	;; [unrolled: 1-line block ×4, first 2 shown]
	s_delay_alu instid0(VALU_DEP_4) | instskip(NEXT) | instid1(VALU_DEP_4)
	v_fma_f64 v[18:19], v[35:36], v[45:46], v[18:19]
	v_fma_f64 v[20:21], v[37:38], v[45:46], v[20:21]
	s_delay_alu instid0(VALU_DEP_4) | instskip(NEXT) | instid1(VALU_DEP_4)
	v_fma_f64 v[16:17], v[41:42], v[45:46], v[16:17]
	v_fma_f64 v[14:15], v[47:48], v[45:46], v[14:15]
	s_wait_alu 0xfffe
	s_and_not1_b32 exec_lo, exec_lo, s7
	s_cbranch_execnz .LBB164_31
; %bb.32:
	s_or_b32 exec_lo, exec_lo, s7
.LBB164_33:
	s_wait_alu 0xfffe
	s_or_b32 exec_lo, exec_lo, s6
	s_delay_alu instid0(SALU_CYCLE_1)
	s_mov_b32 s6, exec_lo
	v_cmpx_lt_u64_e32 0xbf, v[22:23]
	s_cbranch_execz .LBB164_37
; %bb.34:
	v_lshlrev_b64_e32 v[22:23], 3, v[0:1]
	s_mov_b32 s7, 0
	s_delay_alu instid0(VALU_DEP_1) | instskip(SKIP_1) | instid1(VALU_DEP_2)
	v_add_co_u32 v22, vcc_lo, s8, v22
	s_wait_alu 0xfffd
	v_add_co_ci_u32_e64 v23, null, s9, v23, vcc_lo
	s_delay_alu instid0(VALU_DEP_2) | instskip(SKIP_1) | instid1(VALU_DEP_2)
	v_add_co_u32 v22, vcc_lo, 0x400, v22
	s_wait_alu 0xfffd
	v_add_co_ci_u32_e64 v23, null, 0, v23, vcc_lo
.LBB164_35:                             ; =>This Inner Loop Header: Depth=1
	s_clause 0x1
	global_load_b64 v[32:33], v[22:23], off offset:-1024
	global_load_b64 v[55:56], v[22:23], off offset:-512
	global_load_b128 v[24:27], v[12:13], off
	global_load_b64 v[79:80], v[22:23], off
	global_load_b128 v[28:31], v[12:13], off offset:16
	global_load_b64 v[83:84], v[22:23], off offset:512
	v_add_co_u32 v22, s2, 0x800, v22
	s_wait_alu 0xf1ff
	v_add_co_ci_u32_e64 v23, null, 0, v23, s2
	s_wait_loadcnt 0x5
	v_sub_co_u32 v32, vcc_lo, v32, v4
	s_wait_alu 0xfffd
	v_sub_co_ci_u32_e64 v33, null, v33, v5, vcc_lo
	s_wait_loadcnt 0x3
	v_cvt_f64_f32_e32 v[85:86], v25
	v_cvt_f64_f32_e32 v[87:88], v26
	;; [unrolled: 1-line block ×3, first 2 shown]
	v_lshlrev_b64_e32 v[32:33], 5, v[32:33]
	s_wait_loadcnt 0x1
	v_cvt_f64_f32_e32 v[93:94], v28
	v_cvt_f64_f32_e32 v[28:29], v29
	;; [unrolled: 1-line block ×4, first 2 shown]
	s_wait_kmcnt 0x0
	v_add_co_u32 v32, vcc_lo, s4, v32
	s_wait_alu 0xfffd
	v_add_co_ci_u32_e64 v33, null, s5, v33, vcc_lo
	global_load_b128 v[35:38], v[32:33], off
	s_clause 0x1
	global_load_b128 v[39:42], v[12:13], off offset:32
	global_load_b128 v[43:46], v[12:13], off offset:48
	;; [unrolled: 1-line block ×4, first 2 shown]
	v_sub_co_u32 v32, vcc_lo, v55, v4
	s_wait_alu 0xfffd
	v_sub_co_ci_u32_e64 v33, null, v56, v5, vcc_lo
	s_delay_alu instid0(VALU_DEP_1) | instskip(NEXT) | instid1(VALU_DEP_1)
	v_lshlrev_b64_e32 v[32:33], 5, v[32:33]
	v_add_co_u32 v32, vcc_lo, s4, v32
	s_wait_alu 0xfffd
	s_delay_alu instid0(VALU_DEP_2)
	v_add_co_ci_u32_e64 v33, null, s5, v33, vcc_lo
	global_load_b128 v[55:58], v[12:13], off offset:4112
	global_load_b128 v[59:62], v[32:33], off
	s_clause 0x1
	global_load_b128 v[63:66], v[12:13], off offset:4128
	global_load_b128 v[67:70], v[12:13], off offset:4144
	;; [unrolled: 1-line block ×4, first 2 shown]
	v_cvt_f64_f32_e32 v[32:33], v24
	v_sub_co_u32 v24, vcc_lo, v79, v4
	s_wait_alu 0xfffd
	v_sub_co_ci_u32_e64 v25, null, v80, v5, vcc_lo
	s_delay_alu instid0(VALU_DEP_1) | instskip(NEXT) | instid1(VALU_DEP_1)
	v_lshlrev_b64_e32 v[24:25], 5, v[24:25]
	v_add_co_u32 v91, vcc_lo, s4, v24
	s_wait_alu 0xfffd
	s_delay_alu instid0(VALU_DEP_2)
	v_add_co_ci_u32_e64 v92, null, s5, v25, vcc_lo
	global_load_b128 v[24:27], v[12:13], off offset:8208
	global_load_b128 v[79:82], v[91:92], off
	s_wait_loadcnt 0xd
	v_sub_co_u32 v83, vcc_lo, v83, v4
	s_wait_alu 0xfffd
	v_sub_co_ci_u32_e64 v84, null, v84, v5, vcc_lo
	s_wait_loadcnt 0xc
	v_fma_f64 v[18:19], v[32:33], v[35:36], v[18:19]
	v_fma_f64 v[20:21], v[85:86], v[35:36], v[20:21]
	;; [unrolled: 1-line block ×4, first 2 shown]
	global_load_b128 v[14:17], v[12:13], off offset:8224
	s_wait_loadcnt 0xc
	v_cvt_f64_f32_e32 v[85:86], v39
	v_cvt_f64_f32_e32 v[39:40], v40
	;; [unrolled: 1-line block ×4, first 2 shown]
	v_fma_f64 v[89:90], v[93:94], v[37:38], v[18:19]
	v_fma_f64 v[93:94], v[28:29], v[37:38], v[20:21]
	;; [unrolled: 1-line block ×4, first 2 shown]
	global_load_b128 v[18:21], v[12:13], off offset:8240
	global_load_b128 v[28:31], v[91:92], off offset:16
	s_wait_loadcnt 0xd
	v_cvt_f64_f32_e32 v[91:92], v43
	v_cvt_f64_f32_e32 v[43:44], v44
	;; [unrolled: 1-line block ×4, first 2 shown]
	s_wait_loadcnt 0xc
	v_fma_f64 v[85:86], v[85:86], v[47:48], v[89:90]
	v_fma_f64 v[39:40], v[39:40], v[47:48], v[93:94]
	;; [unrolled: 1-line block ×4, first 2 shown]
	global_load_b128 v[35:38], v[12:13], off offset:12288
	s_wait_loadcnt 0xc
	v_cvt_f64_f32_e32 v[47:48], v51
	v_cvt_f64_f32_e32 v[51:52], v52
	;; [unrolled: 1-line block ×4, first 2 shown]
	s_wait_loadcnt 0xb
	v_cvt_f64_f32_e32 v[93:94], v57
	v_cvt_f64_f32_e32 v[57:58], v58
	v_fma_f64 v[85:86], v[91:92], v[49:50], v[85:86]
	v_fma_f64 v[89:90], v[43:44], v[49:50], v[39:40]
	;; [unrolled: 1-line block ×4, first 2 shown]
	v_lshlrev_b64_e32 v[39:40], 5, v[83:84]
	v_cvt_f64_f32_e32 v[91:92], v55
	v_cvt_f64_f32_e32 v[55:56], v56
	s_delay_alu instid0(VALU_DEP_3) | instskip(SKIP_1) | instid1(VALU_DEP_4)
	v_add_co_u32 v83, vcc_lo, s4, v39
	s_wait_alu 0xfffd
	v_add_co_ci_u32_e64 v84, null, s5, v40, vcc_lo
	global_load_b128 v[39:42], v[12:13], off offset:12304
	global_load_b128 v[43:46], v[83:84], off
	v_add_co_u32 v0, vcc_lo, 0x100, v0
	s_wait_alu 0xfffd
	v_add_co_ci_u32_e64 v1, null, 0, v1, vcc_lo
	s_wait_loadcnt 0xc
	v_fma_f64 v[85:86], v[47:48], v[59:60], v[85:86]
	v_fma_f64 v[51:52], v[51:52], v[59:60], v[89:90]
	;; [unrolled: 1-line block ×4, first 2 shown]
	global_load_b128 v[47:50], v[12:13], off offset:12320
	s_wait_loadcnt 0xc
	v_cvt_f64_f32_e32 v[59:60], v63
	v_cvt_f64_f32_e32 v[63:64], v64
	v_cvt_f64_f32_e32 v[87:88], v65
	v_cvt_f64_f32_e32 v[65:66], v66
	v_fma_f64 v[85:86], v[91:92], v[61:62], v[85:86]
	v_fma_f64 v[89:90], v[55:56], v[61:62], v[51:52]
	;; [unrolled: 1-line block ×4, first 2 shown]
	global_load_b128 v[51:54], v[12:13], off offset:12336
	global_load_b128 v[55:58], v[83:84], off offset:16
	s_wait_loadcnt 0xd
	v_cvt_f64_f32_e32 v[83:84], v67
	v_cvt_f64_f32_e32 v[67:68], v68
	;; [unrolled: 1-line block ×4, first 2 shown]
	v_add_co_u32 v12, vcc_lo, 0x4000, v12
	s_wait_alu 0xfffd
	v_add_co_ci_u32_e64 v13, null, 0, v13, vcc_lo
	v_cmp_ge_i64_e32 vcc_lo, v[0:1], v[6:7]
	s_wait_alu 0xfffe
	s_or_b32 s7, vcc_lo, s7
	s_wait_loadcnt 0xc
	v_fma_f64 v[59:60], v[59:60], v[71:72], v[85:86]
	v_fma_f64 v[63:64], v[63:64], v[71:72], v[89:90]
	v_fma_f64 v[32:33], v[87:88], v[71:72], v[32:33]
	v_fma_f64 v[61:62], v[65:66], v[71:72], v[61:62]
	s_wait_loadcnt 0xb
	v_cvt_f64_f32_e32 v[65:66], v75
	v_cvt_f64_f32_e32 v[71:72], v76
	v_cvt_f64_f32_e32 v[75:76], v77
	v_cvt_f64_f32_e32 v[77:78], v78
	v_fma_f64 v[59:60], v[83:84], v[73:74], v[59:60]
	v_fma_f64 v[63:64], v[67:68], v[73:74], v[63:64]
	v_fma_f64 v[32:33], v[91:92], v[73:74], v[32:33]
	v_fma_f64 v[61:62], v[69:70], v[73:74], v[61:62]
	s_wait_loadcnt 0xa
	v_cvt_f64_f32_e32 v[67:68], v24
	v_cvt_f64_f32_e32 v[24:25], v25
	v_cvt_f64_f32_e32 v[69:70], v26
	v_cvt_f64_f32_e32 v[26:27], v27
	s_wait_loadcnt 0x9
	v_fma_f64 v[59:60], v[65:66], v[79:80], v[59:60]
	v_fma_f64 v[63:64], v[71:72], v[79:80], v[63:64]
	v_fma_f64 v[32:33], v[75:76], v[79:80], v[32:33]
	v_fma_f64 v[61:62], v[77:78], v[79:80], v[61:62]
	s_wait_loadcnt 0x8
	v_cvt_f64_f32_e32 v[65:66], v14
	v_cvt_f64_f32_e32 v[14:15], v15
	v_cvt_f64_f32_e32 v[71:72], v16
	v_cvt_f64_f32_e32 v[16:17], v17
	v_fma_f64 v[59:60], v[67:68], v[81:82], v[59:60]
	v_fma_f64 v[24:25], v[24:25], v[81:82], v[63:64]
	v_fma_f64 v[32:33], v[69:70], v[81:82], v[32:33]
	v_fma_f64 v[26:27], v[26:27], v[81:82], v[61:62]
	s_wait_loadcnt 0x7
	v_cvt_f64_f32_e32 v[61:62], v18
	v_cvt_f64_f32_e32 v[18:19], v19
	v_cvt_f64_f32_e32 v[63:64], v20
	v_cvt_f64_f32_e32 v[20:21], v21
	;; [unrolled: 19-line block ×4, first 2 shown]
	s_wait_loadcnt 0x0
	v_fma_f64 v[20:21], v[28:29], v[55:56], v[20:21]
	v_fma_f64 v[14:15], v[32:33], v[55:56], v[14:15]
	v_fma_f64 v[28:29], v[35:36], v[55:56], v[18:19]
	v_fma_f64 v[32:33], v[37:38], v[55:56], v[16:17]
	s_delay_alu instid0(VALU_DEP_4) | instskip(NEXT) | instid1(VALU_DEP_4)
	v_fma_f64 v[18:19], v[24:25], v[57:58], v[20:21]
	v_fma_f64 v[20:21], v[26:27], v[57:58], v[14:15]
	s_delay_alu instid0(VALU_DEP_4) | instskip(NEXT) | instid1(VALU_DEP_4)
	v_fma_f64 v[16:17], v[30:31], v[57:58], v[28:29]
	v_fma_f64 v[14:15], v[39:40], v[57:58], v[32:33]
	s_wait_alu 0xfffe
	s_and_not1_b32 exec_lo, exec_lo, s7
	s_cbranch_execnz .LBB164_35
; %bb.36:
	s_or_b32 exec_lo, exec_lo, s7
.LBB164_37:
	s_wait_alu 0xfffe
	s_or_b32 exec_lo, exec_lo, s6
.LBB164_38:
	s_wait_alu 0xfffe
	s_or_b32 exec_lo, exec_lo, s3
.LBB164_39:
	v_mbcnt_lo_u32_b32 v24, -1, 0
	s_delay_alu instid0(VALU_DEP_1) | instskip(NEXT) | instid1(VALU_DEP_1)
	v_or_b32_e32 v0, 32, v24
	v_cmp_gt_i32_e32 vcc_lo, 32, v0
	s_wait_alu 0xfffd
	v_cndmask_b32_e32 v0, v24, v0, vcc_lo
	s_delay_alu instid0(VALU_DEP_1)
	v_lshlrev_b32_e32 v13, 2, v0
	ds_bpermute_b32 v0, v13, v18
	ds_bpermute_b32 v1, v13, v19
	;; [unrolled: 1-line block ×8, first 2 shown]
	s_wait_dscnt 0x6
	v_add_f64_e32 v[0:1], v[18:19], v[0:1]
	s_wait_dscnt 0x4
	v_add_f64_e32 v[4:5], v[20:21], v[4:5]
	;; [unrolled: 2-line block ×4, first 2 shown]
	v_xor_b32_e32 v14, 16, v24
	s_delay_alu instid0(VALU_DEP_1) | instskip(SKIP_2) | instid1(VALU_DEP_1)
	v_cmp_gt_i32_e32 vcc_lo, 32, v14
	s_wait_alu 0xfffd
	v_cndmask_b32_e32 v14, v24, v14, vcc_lo
	v_lshlrev_b32_e32 v21, 2, v14
	ds_bpermute_b32 v14, v21, v0
	ds_bpermute_b32 v15, v21, v1
	;; [unrolled: 1-line block ×8, first 2 shown]
	s_wait_dscnt 0x6
	v_add_f64_e32 v[0:1], v[0:1], v[14:15]
	v_xor_b32_e32 v14, 8, v24
	s_wait_dscnt 0x4
	v_add_f64_e32 v[4:5], v[4:5], v[16:17]
	s_wait_dscnt 0x2
	v_add_f64_e32 v[6:7], v[6:7], v[18:19]
	s_wait_dscnt 0x0
	v_add_f64_e32 v[12:13], v[12:13], v[20:21]
	v_cmp_gt_i32_e32 vcc_lo, 32, v14
	s_wait_alu 0xfffd
	v_cndmask_b32_e32 v14, v24, v14, vcc_lo
	s_delay_alu instid0(VALU_DEP_1)
	v_lshlrev_b32_e32 v21, 2, v14
	ds_bpermute_b32 v14, v21, v0
	ds_bpermute_b32 v15, v21, v1
	;; [unrolled: 1-line block ×8, first 2 shown]
	s_wait_dscnt 0x6
	v_add_f64_e32 v[0:1], v[0:1], v[14:15]
	v_xor_b32_e32 v14, 4, v24
	s_wait_dscnt 0x4
	v_add_f64_e32 v[4:5], v[4:5], v[16:17]
	s_wait_dscnt 0x2
	v_add_f64_e32 v[6:7], v[6:7], v[18:19]
	;; [unrolled: 2-line block ×3, first 2 shown]
	v_cmp_gt_i32_e32 vcc_lo, 32, v14
	s_wait_alu 0xfffd
	v_cndmask_b32_e32 v14, v24, v14, vcc_lo
	s_delay_alu instid0(VALU_DEP_1)
	v_lshlrev_b32_e32 v21, 2, v14
	ds_bpermute_b32 v14, v21, v0
	ds_bpermute_b32 v15, v21, v1
	ds_bpermute_b32 v16, v21, v4
	ds_bpermute_b32 v17, v21, v5
	ds_bpermute_b32 v18, v21, v6
	ds_bpermute_b32 v19, v21, v7
	ds_bpermute_b32 v20, v21, v12
	ds_bpermute_b32 v21, v21, v13
	s_wait_dscnt 0x6
	v_add_f64_e32 v[0:1], v[0:1], v[14:15]
	s_wait_dscnt 0x4
	v_add_f64_e32 v[4:5], v[4:5], v[16:17]
	;; [unrolled: 2-line block ×3, first 2 shown]
	v_xor_b32_e32 v6, 2, v24
	s_wait_dscnt 0x0
	v_add_f64_e32 v[16:17], v[12:13], v[20:21]
	s_delay_alu instid0(VALU_DEP_2) | instskip(SKIP_2) | instid1(VALU_DEP_1)
	v_cmp_gt_i32_e32 vcc_lo, 32, v6
	s_wait_alu 0xfffd
	v_cndmask_b32_e32 v6, v24, v6, vcc_lo
	v_lshlrev_b32_e32 v12, 2, v6
	ds_bpermute_b32 v6, v12, v0
	ds_bpermute_b32 v7, v12, v1
	ds_bpermute_b32 v18, v12, v4
	ds_bpermute_b32 v19, v12, v5
	ds_bpermute_b32 v20, v12, v14
	ds_bpermute_b32 v21, v12, v15
	ds_bpermute_b32 v22, v12, v16
	ds_bpermute_b32 v23, v12, v17
	s_wait_dscnt 0x6
	v_add_f64_e32 v[12:13], v[0:1], v[6:7]
	s_wait_dscnt 0x4
	v_add_f64_e32 v[6:7], v[4:5], v[18:19]
	;; [unrolled: 2-line block ×3, first 2 shown]
	v_xor_b32_e32 v14, 1, v24
	s_wait_dscnt 0x0
	v_add_f64_e32 v[4:5], v[16:17], v[22:23]
	s_delay_alu instid0(VALU_DEP_2) | instskip(SKIP_3) | instid1(VALU_DEP_2)
	v_cmp_gt_i32_e32 vcc_lo, 32, v14
	s_wait_alu 0xfffd
	v_cndmask_b32_e32 v14, v24, v14, vcc_lo
	v_cmp_eq_u32_e32 vcc_lo, 63, v34
	v_lshlrev_b32_e32 v15, 2, v14
	ds_bpermute_b32 v20, v15, v12
	ds_bpermute_b32 v21, v15, v13
	;; [unrolled: 1-line block ×8, first 2 shown]
	s_and_b32 exec_lo, exec_lo, vcc_lo
	s_cbranch_execz .LBB164_10
; %bb.40:
	s_wait_dscnt 0x6
	v_add_f64_e32 v[12:13], v[12:13], v[20:21]
	s_wait_dscnt 0x4
	v_add_f64_e32 v[6:7], v[6:7], v[18:19]
	;; [unrolled: 2-line block ×4, first 2 shown]
	s_load_b64 s[0:1], s[0:1], 0x58
	v_lshlrev_b64_e32 v[10:11], 5, v[10:11]
	s_mov_b32 s2, exec_lo
	v_mul_f64_e32 v[4:5], v[2:3], v[12:13]
	v_mul_f64_e32 v[6:7], v[2:3], v[6:7]
	;; [unrolled: 1-line block ×4, first 2 shown]
	v_cmpx_eq_f64_e32 0, v[8:9]
	s_wait_alu 0xfffe
	s_xor_b32 s2, exec_lo, s2
	s_cbranch_execz .LBB164_42
; %bb.41:
	s_wait_kmcnt 0x0
	v_add_co_u32 v8, vcc_lo, s0, v10
	s_wait_alu 0xfffd
	v_add_co_ci_u32_e64 v9, null, s1, v11, vcc_lo
                                        ; implicit-def: $vgpr10_vgpr11
	s_clause 0x1
	global_store_b128 v[8:9], v[4:7], off
	global_store_b128 v[8:9], v[0:3], off offset:16
                                        ; implicit-def: $vgpr8_vgpr9
                                        ; implicit-def: $vgpr4_vgpr5
                                        ; implicit-def: $vgpr0_vgpr1
.LBB164_42:
	s_wait_alu 0xfffe
	s_and_not1_saveexec_b32 s2, s2
	s_cbranch_execz .LBB164_10
; %bb.43:
	s_wait_kmcnt 0x0
	v_add_co_u32 v18, vcc_lo, s0, v10
	s_wait_alu 0xfffd
	v_add_co_ci_u32_e64 v19, null, s1, v11, vcc_lo
	s_clause 0x1
	global_load_b128 v[10:13], v[18:19], off
	global_load_b128 v[14:17], v[18:19], off offset:16
	s_wait_loadcnt 0x1
	v_fma_f64 v[4:5], v[8:9], v[10:11], v[4:5]
	v_fma_f64 v[6:7], v[8:9], v[12:13], v[6:7]
	s_wait_loadcnt 0x0
	v_fma_f64 v[0:1], v[8:9], v[14:15], v[0:1]
	v_fma_f64 v[2:3], v[8:9], v[16:17], v[2:3]
	s_clause 0x1
	global_store_b128 v[18:19], v[4:7], off
	global_store_b128 v[18:19], v[0:3], off offset:16
	s_nop 0
	s_sendmsg sendmsg(MSG_DEALLOC_VGPRS)
	s_endpgm
	.section	.rodata,"a",@progbits
	.p2align	6, 0x0
	.amdhsa_kernel _ZN9rocsparseL18bsrxmvn_4x4_kernelILj128ELj64EdllfddEEvT3_20rocsparse_direction_NS_24const_host_device_scalarIT1_EES1_PKS1_PKT2_SA_S7_PKT4_PKT5_S5_PT6_21rocsparse_index_base_b
		.amdhsa_group_segment_fixed_size 0
		.amdhsa_private_segment_fixed_size 0
		.amdhsa_kernarg_size 104
		.amdhsa_user_sgpr_count 2
		.amdhsa_user_sgpr_dispatch_ptr 0
		.amdhsa_user_sgpr_queue_ptr 0
		.amdhsa_user_sgpr_kernarg_segment_ptr 1
		.amdhsa_user_sgpr_dispatch_id 0
		.amdhsa_user_sgpr_private_segment_size 0
		.amdhsa_wavefront_size32 1
		.amdhsa_uses_dynamic_stack 0
		.amdhsa_enable_private_segment 0
		.amdhsa_system_sgpr_workgroup_id_x 1
		.amdhsa_system_sgpr_workgroup_id_y 0
		.amdhsa_system_sgpr_workgroup_id_z 0
		.amdhsa_system_sgpr_workgroup_info 0
		.amdhsa_system_vgpr_workitem_id 0
		.amdhsa_next_free_vgpr 115
		.amdhsa_next_free_sgpr 12
		.amdhsa_reserve_vcc 1
		.amdhsa_float_round_mode_32 0
		.amdhsa_float_round_mode_16_64 0
		.amdhsa_float_denorm_mode_32 3
		.amdhsa_float_denorm_mode_16_64 3
		.amdhsa_fp16_overflow 0
		.amdhsa_workgroup_processor_mode 1
		.amdhsa_memory_ordered 1
		.amdhsa_forward_progress 1
		.amdhsa_inst_pref_size 52
		.amdhsa_round_robin_scheduling 0
		.amdhsa_exception_fp_ieee_invalid_op 0
		.amdhsa_exception_fp_denorm_src 0
		.amdhsa_exception_fp_ieee_div_zero 0
		.amdhsa_exception_fp_ieee_overflow 0
		.amdhsa_exception_fp_ieee_underflow 0
		.amdhsa_exception_fp_ieee_inexact 0
		.amdhsa_exception_int_div_zero 0
	.end_amdhsa_kernel
	.section	.text._ZN9rocsparseL18bsrxmvn_4x4_kernelILj128ELj64EdllfddEEvT3_20rocsparse_direction_NS_24const_host_device_scalarIT1_EES1_PKS1_PKT2_SA_S7_PKT4_PKT5_S5_PT6_21rocsparse_index_base_b,"axG",@progbits,_ZN9rocsparseL18bsrxmvn_4x4_kernelILj128ELj64EdllfddEEvT3_20rocsparse_direction_NS_24const_host_device_scalarIT1_EES1_PKS1_PKT2_SA_S7_PKT4_PKT5_S5_PT6_21rocsparse_index_base_b,comdat
.Lfunc_end164:
	.size	_ZN9rocsparseL18bsrxmvn_4x4_kernelILj128ELj64EdllfddEEvT3_20rocsparse_direction_NS_24const_host_device_scalarIT1_EES1_PKS1_PKT2_SA_S7_PKT4_PKT5_S5_PT6_21rocsparse_index_base_b, .Lfunc_end164-_ZN9rocsparseL18bsrxmvn_4x4_kernelILj128ELj64EdllfddEEvT3_20rocsparse_direction_NS_24const_host_device_scalarIT1_EES1_PKS1_PKT2_SA_S7_PKT4_PKT5_S5_PT6_21rocsparse_index_base_b
                                        ; -- End function
	.set _ZN9rocsparseL18bsrxmvn_4x4_kernelILj128ELj64EdllfddEEvT3_20rocsparse_direction_NS_24const_host_device_scalarIT1_EES1_PKS1_PKT2_SA_S7_PKT4_PKT5_S5_PT6_21rocsparse_index_base_b.num_vgpr, 115
	.set _ZN9rocsparseL18bsrxmvn_4x4_kernelILj128ELj64EdllfddEEvT3_20rocsparse_direction_NS_24const_host_device_scalarIT1_EES1_PKS1_PKT2_SA_S7_PKT4_PKT5_S5_PT6_21rocsparse_index_base_b.num_agpr, 0
	.set _ZN9rocsparseL18bsrxmvn_4x4_kernelILj128ELj64EdllfddEEvT3_20rocsparse_direction_NS_24const_host_device_scalarIT1_EES1_PKS1_PKT2_SA_S7_PKT4_PKT5_S5_PT6_21rocsparse_index_base_b.numbered_sgpr, 12
	.set _ZN9rocsparseL18bsrxmvn_4x4_kernelILj128ELj64EdllfddEEvT3_20rocsparse_direction_NS_24const_host_device_scalarIT1_EES1_PKS1_PKT2_SA_S7_PKT4_PKT5_S5_PT6_21rocsparse_index_base_b.num_named_barrier, 0
	.set _ZN9rocsparseL18bsrxmvn_4x4_kernelILj128ELj64EdllfddEEvT3_20rocsparse_direction_NS_24const_host_device_scalarIT1_EES1_PKS1_PKT2_SA_S7_PKT4_PKT5_S5_PT6_21rocsparse_index_base_b.private_seg_size, 0
	.set _ZN9rocsparseL18bsrxmvn_4x4_kernelILj128ELj64EdllfddEEvT3_20rocsparse_direction_NS_24const_host_device_scalarIT1_EES1_PKS1_PKT2_SA_S7_PKT4_PKT5_S5_PT6_21rocsparse_index_base_b.uses_vcc, 1
	.set _ZN9rocsparseL18bsrxmvn_4x4_kernelILj128ELj64EdllfddEEvT3_20rocsparse_direction_NS_24const_host_device_scalarIT1_EES1_PKS1_PKT2_SA_S7_PKT4_PKT5_S5_PT6_21rocsparse_index_base_b.uses_flat_scratch, 0
	.set _ZN9rocsparseL18bsrxmvn_4x4_kernelILj128ELj64EdllfddEEvT3_20rocsparse_direction_NS_24const_host_device_scalarIT1_EES1_PKS1_PKT2_SA_S7_PKT4_PKT5_S5_PT6_21rocsparse_index_base_b.has_dyn_sized_stack, 0
	.set _ZN9rocsparseL18bsrxmvn_4x4_kernelILj128ELj64EdllfddEEvT3_20rocsparse_direction_NS_24const_host_device_scalarIT1_EES1_PKS1_PKT2_SA_S7_PKT4_PKT5_S5_PT6_21rocsparse_index_base_b.has_recursion, 0
	.set _ZN9rocsparseL18bsrxmvn_4x4_kernelILj128ELj64EdllfddEEvT3_20rocsparse_direction_NS_24const_host_device_scalarIT1_EES1_PKS1_PKT2_SA_S7_PKT4_PKT5_S5_PT6_21rocsparse_index_base_b.has_indirect_call, 0
	.section	.AMDGPU.csdata,"",@progbits
; Kernel info:
; codeLenInByte = 6628
; TotalNumSgprs: 14
; NumVgprs: 115
; ScratchSize: 0
; MemoryBound: 0
; FloatMode: 240
; IeeeMode: 1
; LDSByteSize: 0 bytes/workgroup (compile time only)
; SGPRBlocks: 0
; VGPRBlocks: 14
; NumSGPRsForWavesPerEU: 14
; NumVGPRsForWavesPerEU: 115
; Occupancy: 12
; WaveLimiterHint : 1
; COMPUTE_PGM_RSRC2:SCRATCH_EN: 0
; COMPUTE_PGM_RSRC2:USER_SGPR: 2
; COMPUTE_PGM_RSRC2:TRAP_HANDLER: 0
; COMPUTE_PGM_RSRC2:TGID_X_EN: 1
; COMPUTE_PGM_RSRC2:TGID_Y_EN: 0
; COMPUTE_PGM_RSRC2:TGID_Z_EN: 0
; COMPUTE_PGM_RSRC2:TIDIG_COMP_CNT: 0
	.section	.text._ZN9rocsparseL18bsrxmvn_4x4_kernelILj128ELj4E21rocsparse_complex_numIdEiiS1_IfES2_S2_EEvT3_20rocsparse_direction_NS_24const_host_device_scalarIT1_EES4_PKS4_PKT2_SD_SA_PKT4_PKT5_S8_PT6_21rocsparse_index_base_b,"axG",@progbits,_ZN9rocsparseL18bsrxmvn_4x4_kernelILj128ELj4E21rocsparse_complex_numIdEiiS1_IfES2_S2_EEvT3_20rocsparse_direction_NS_24const_host_device_scalarIT1_EES4_PKS4_PKT2_SD_SA_PKT4_PKT5_S8_PT6_21rocsparse_index_base_b,comdat
	.globl	_ZN9rocsparseL18bsrxmvn_4x4_kernelILj128ELj4E21rocsparse_complex_numIdEiiS1_IfES2_S2_EEvT3_20rocsparse_direction_NS_24const_host_device_scalarIT1_EES4_PKS4_PKT2_SD_SA_PKT4_PKT5_S8_PT6_21rocsparse_index_base_b ; -- Begin function _ZN9rocsparseL18bsrxmvn_4x4_kernelILj128ELj4E21rocsparse_complex_numIdEiiS1_IfES2_S2_EEvT3_20rocsparse_direction_NS_24const_host_device_scalarIT1_EES4_PKS4_PKT2_SD_SA_PKT4_PKT5_S8_PT6_21rocsparse_index_base_b
	.p2align	8
	.type	_ZN9rocsparseL18bsrxmvn_4x4_kernelILj128ELj4E21rocsparse_complex_numIdEiiS1_IfES2_S2_EEvT3_20rocsparse_direction_NS_24const_host_device_scalarIT1_EES4_PKS4_PKT2_SD_SA_PKT4_PKT5_S8_PT6_21rocsparse_index_base_b,@function
_ZN9rocsparseL18bsrxmvn_4x4_kernelILj128ELj4E21rocsparse_complex_numIdEiiS1_IfES2_S2_EEvT3_20rocsparse_direction_NS_24const_host_device_scalarIT1_EES4_PKS4_PKT2_SD_SA_PKT4_PKT5_S8_PT6_21rocsparse_index_base_b: ; @_ZN9rocsparseL18bsrxmvn_4x4_kernelILj128ELj4E21rocsparse_complex_numIdEiiS1_IfES2_S2_EEvT3_20rocsparse_direction_NS_24const_host_device_scalarIT1_EES4_PKS4_PKT2_SD_SA_PKT4_PKT5_S8_PT6_21rocsparse_index_base_b
; %bb.0:
	s_clause 0x1
	s_load_b64 s[12:13], s[0:1], 0x68
	s_load_b64 s[2:3], s[0:1], 0x8
	s_add_nc_u64 s[4:5], s[0:1], 8
	s_load_b64 s[6:7], s[0:1], 0x50
	s_wait_kmcnt 0x0
	s_bitcmp1_b32 s13, 0
	s_cselect_b32 s2, s4, s2
	s_cselect_b32 s3, s5, s3
	s_delay_alu instid0(SALU_CYCLE_1)
	v_dual_mov_b32 v1, s2 :: v_dual_mov_b32 v2, s3
	s_add_nc_u64 s[2:3], s[0:1], 0x50
	s_wait_alu 0xfffe
	s_cselect_b32 s2, s2, s6
	s_cselect_b32 s3, s3, s7
	flat_load_b128 v[5:8], v[1:2]
	s_wait_alu 0xfffe
	v_dual_mov_b32 v1, s2 :: v_dual_mov_b32 v2, s3
	flat_load_b128 v[1:4], v[1:2]
	s_wait_loadcnt_dscnt 0x101
	v_cmp_eq_f64_e32 vcc_lo, 0, v[5:6]
	v_cmp_eq_f64_e64 s2, 0, v[7:8]
	s_and_b32 s4, vcc_lo, s2
	s_mov_b32 s2, -1
	s_and_saveexec_b32 s3, s4
	s_cbranch_execz .LBB165_2
; %bb.1:
	s_wait_loadcnt_dscnt 0x0
	v_cmp_neq_f64_e32 vcc_lo, 1.0, v[1:2]
	v_cmp_neq_f64_e64 s2, 0, v[3:4]
	s_wait_alu 0xfffe
	s_or_b32 s2, vcc_lo, s2
	s_wait_alu 0xfffe
	s_or_not1_b32 s2, s2, exec_lo
.LBB165_2:
	s_wait_alu 0xfffe
	s_or_b32 exec_lo, exec_lo, s3
	s_and_saveexec_b32 s3, s2
	s_cbranch_execz .LBB165_8
; %bb.3:
	s_clause 0x1
	s_load_b64 s[4:5], s[0:1], 0x20
	s_load_b64 s[2:3], s[0:1], 0x0
	v_lshrrev_b32_e32 v9, 2, v0
	s_delay_alu instid0(VALU_DEP_1)
	v_lshl_or_b32 v21, ttmp9, 5, v9
	s_wait_kmcnt 0x0
	s_cmp_lg_u64 s[4:5], 0
	s_cbranch_scc0 .LBB165_9
; %bb.4:
	s_load_b32 s6, s[0:1], 0x18
	s_mov_b32 s7, 0
                                        ; implicit-def: $vgpr9
	s_wait_kmcnt 0x0
	v_cmp_gt_i32_e32 vcc_lo, s6, v21
	s_mov_b32 s6, 0
	s_and_saveexec_b32 s8, vcc_lo
	s_delay_alu instid0(SALU_CYCLE_1)
	s_xor_b32 s8, exec_lo, s8
	s_cbranch_execz .LBB165_6
; %bb.5:
	v_ashrrev_i32_e32 v22, 31, v21
	s_mov_b32 s6, exec_lo
	s_delay_alu instid0(VALU_DEP_1) | instskip(NEXT) | instid1(VALU_DEP_1)
	v_lshlrev_b64_e32 v[9:10], 2, v[21:22]
	v_add_co_u32 v9, vcc_lo, s4, v9
	s_delay_alu instid0(VALU_DEP_1)
	v_add_co_ci_u32_e64 v10, null, s5, v10, vcc_lo
	global_load_b32 v9, v[9:10], off
	s_wait_loadcnt 0x0
	v_subrev_nc_u32_e32 v9, s12, v9
.LBB165_6:
	s_or_b32 exec_lo, exec_lo, s8
	s_delay_alu instid0(SALU_CYCLE_1)
	s_and_b32 vcc_lo, exec_lo, s7
	s_wait_alu 0xfffe
	s_cbranch_vccz .LBB165_10
.LBB165_7:
	v_cmp_gt_i32_e32 vcc_lo, s2, v21
	s_and_not1_b32 s2, s6, exec_lo
	s_and_b32 s4, vcc_lo, exec_lo
	s_wait_alu 0xfffe
	s_or_b32 s6, s2, s4
	s_wait_alu 0xfffe
	s_and_b32 exec_lo, exec_lo, s6
	s_cbranch_execnz .LBB165_11
.LBB165_8:
	s_nop 0
	s_sendmsg sendmsg(MSG_DEALLOC_VGPRS)
	s_endpgm
.LBB165_9:
	s_mov_b32 s6, 0
                                        ; implicit-def: $vgpr9
	s_cbranch_execnz .LBB165_7
.LBB165_10:
	v_mov_b32_e32 v21, v9
	s_and_b32 exec_lo, exec_lo, s6
	s_cbranch_execz .LBB165_8
.LBB165_11:
	s_load_b256 s[4:11], s[0:1], 0x28
	s_delay_alu instid0(VALU_DEP_1) | instskip(SKIP_1) | instid1(VALU_DEP_2)
	v_ashrrev_i32_e32 v22, 31, v21
	v_and_b32_e32 v0, 3, v0
	v_lshlrev_b64_e32 v[9:10], 2, v[21:22]
	s_wait_kmcnt 0x0
	s_delay_alu instid0(VALU_DEP_1) | instskip(SKIP_1) | instid1(VALU_DEP_2)
	v_add_co_u32 v11, vcc_lo, s4, v9
	s_wait_alu 0xfffd
	v_add_co_ci_u32_e64 v12, null, s5, v10, vcc_lo
	v_add_co_u32 v9, vcc_lo, s6, v9
	s_wait_alu 0xfffd
	v_add_co_ci_u32_e64 v10, null, s7, v10, vcc_lo
	global_load_b32 v35, v[11:12], off
	v_add_co_u32 v11, vcc_lo, v11, 4
	s_wait_alu 0xfffd
	v_add_co_ci_u32_e64 v12, null, 0, v12, vcc_lo
	s_cmp_eq_u64 s[6:7], 0
	s_load_b64 s[4:5], s[0:1], 0x48
	s_cselect_b32 vcc_lo, -1, 0
	s_cmp_eq_u32 s3, 1
	s_wait_alu 0xfffe
	v_dual_cndmask_b32 v10, v10, v12 :: v_dual_cndmask_b32 v9, v9, v11
	global_load_b32 v13, v[9:10], off
	s_wait_loadcnt 0x1
	v_subrev_nc_u32_e32 v9, s12, v35
	s_delay_alu instid0(VALU_DEP_1) | instskip(NEXT) | instid1(VALU_DEP_1)
	v_add_nc_u32_e32 v9, v9, v0
	v_ashrrev_i32_e32 v10, 31, v9
	s_wait_loadcnt 0x0
	v_subrev_nc_u32_e32 v34, s12, v13
	s_delay_alu instid0(VALU_DEP_2) | instskip(NEXT) | instid1(VALU_DEP_2)
	v_lshlrev_b64_e32 v[11:12], 7, v[9:10]
	v_cmp_lt_i32_e64 s2, v9, v34
	s_delay_alu instid0(VALU_DEP_2) | instskip(SKIP_1) | instid1(VALU_DEP_3)
	v_add_co_u32 v11, vcc_lo, s10, v11
	s_wait_alu 0xfffd
	v_add_co_ci_u32_e64 v12, null, s11, v12, vcc_lo
	s_cbranch_scc1 .LBB165_23
; %bb.12:
	v_dual_mov_b32 v13, 0 :: v_dual_mov_b32 v26, 0
	v_dual_mov_b32 v14, 0 :: v_dual_mov_b32 v19, 0
	;; [unrolled: 1-line block ×5, first 2 shown]
	v_mov_b32_e32 v20, 0
	v_dual_mov_b32 v18, 0 :: v_dual_mov_b32 v25, 0
	v_mov_b32_e32 v29, 0
	v_dual_mov_b32 v23, 0 :: v_dual_mov_b32 v16, 0
	s_and_saveexec_b32 s6, s2
	s_cbranch_execz .LBB165_22
; %bb.13:
	v_dual_mov_b32 v15, 0 :: v_dual_add_nc_u32 v10, v35, v0
	v_mov_b32_e32 v22, 0
	v_not_b32_e32 v13, v35
	v_dual_mov_b32 v26, 0 :: v_dual_mov_b32 v17, 0
	s_delay_alu instid0(VALU_DEP_4) | instskip(SKIP_2) | instid1(VALU_DEP_3)
	v_subrev_nc_u32_e32 v10, s12, v10
	v_mov_b32_e32 v28, 0
	v_dual_mov_b32 v24, 0 :: v_dual_mov_b32 v19, 0
	v_dual_mov_b32 v23, 0 :: v_dual_add_nc_u32 v10, 4, v10
	v_dual_mov_b32 v18, 0 :: v_dual_mov_b32 v33, v12
	v_dual_mov_b32 v16, 0 :: v_dual_mov_b32 v29, 0
	s_delay_alu instid0(VALU_DEP_3) | instskip(SKIP_3) | instid1(VALU_DEP_4)
	v_max_i32_e32 v10, v10, v34
	v_mov_b32_e32 v27, 0
	v_dual_mov_b32 v25, 0 :: v_dual_mov_b32 v20, 0
	v_mov_b32_e32 v32, v11
	v_add3_u32 v10, s12, v10, v13
	v_mov_b32_e32 v13, 0
	v_mov_b32_e32 v14, 0
	s_delay_alu instid0(VALU_DEP_3) | instskip(NEXT) | instid1(VALU_DEP_1)
	v_sub_nc_u32_e32 v10, v10, v0
	v_and_b32_e32 v30, 12, v10
	s_delay_alu instid0(VALU_DEP_1)
	v_cmp_ne_u32_e32 vcc_lo, 12, v30
	v_mov_b32_e32 v30, v9
	s_and_saveexec_b32 s3, vcc_lo
	s_cbranch_execz .LBB165_17
; %bb.14:
	v_lshrrev_b32_e32 v15, 2, v10
	v_dual_mov_b32 v13, 0 :: v_dual_mov_b32 v30, v9
	v_dual_mov_b32 v14, 0 :: v_dual_mov_b32 v19, 0
	s_delay_alu instid0(VALU_DEP_3) | instskip(SKIP_2) | instid1(VALU_DEP_3)
	v_dual_mov_b32 v24, 0 :: v_dual_add_nc_u32 v15, 1, v15
	v_dual_mov_b32 v25, 0 :: v_dual_mov_b32 v26, 0
	v_dual_mov_b32 v27, 0 :: v_dual_mov_b32 v28, 0
	v_dual_mov_b32 v20, 0 :: v_dual_and_b32 v31, 3, v15
	v_mov_b32_e32 v17, 0
	v_dual_mov_b32 v29, 0 :: v_dual_mov_b32 v22, 0
	v_mov_b32_e32 v15, 0
	v_dual_mov_b32 v33, v12 :: v_dual_mov_b32 v18, 0
	v_dual_mov_b32 v23, 0 :: v_dual_mov_b32 v16, 0
	v_sub_nc_u32_e32 v36, 0, v31
	v_mov_b32_e32 v32, v11
	s_mov_b32 s7, 0
.LBB165_15:                             ; =>This Inner Loop Header: Depth=1
	v_ashrrev_i32_e32 v31, 31, v30
	s_delay_alu instid0(VALU_DEP_3) | instskip(SKIP_2) | instid1(VALU_DEP_2)
	v_add_co_u32 v36, s10, v36, 1
	s_wait_alu 0xfffe
	s_or_b32 s7, s10, s7
	v_lshlrev_b64_e32 v[37:38], 2, v[30:31]
	v_add_nc_u32_e32 v30, 4, v30
	s_delay_alu instid0(VALU_DEP_2) | instskip(SKIP_1) | instid1(VALU_DEP_3)
	v_add_co_u32 v37, vcc_lo, s8, v37
	s_wait_alu 0xfffd
	v_add_co_ci_u32_e64 v38, null, s9, v38, vcc_lo
	global_load_b32 v31, v[37:38], off
	s_clause 0x7
	global_load_b128 v[37:40], v[32:33], off
	global_load_b128 v[41:44], v[32:33], off offset:32
	global_load_b128 v[45:48], v[32:33], off offset:64
	;; [unrolled: 1-line block ×7, first 2 shown]
	s_wait_loadcnt 0x8
	v_subrev_nc_u32_e32 v31, s12, v31
	s_wait_loadcnt 0x7
	v_cvt_f64_f32_e32 v[85:86], v37
	v_cvt_f64_f32_e32 v[37:38], v38
	s_wait_loadcnt 0x6
	v_cvt_f64_f32_e32 v[87:88], v41
	v_cvt_f64_f32_e32 v[41:42], v42
	v_lshlrev_b32_e32 v69, 2, v31
	s_wait_loadcnt 0x5
	v_cvt_f64_f32_e32 v[89:90], v45
	v_cvt_f64_f32_e32 v[45:46], v46
	s_wait_loadcnt 0x3
	v_cvt_f64_f32_e32 v[91:92], v53
	v_cvt_f64_f32_e32 v[53:54], v54
	v_ashrrev_i32_e32 v70, 31, v69
	v_cvt_f64_f32_e32 v[93:94], v43
	v_cvt_f64_f32_e32 v[43:44], v44
	;; [unrolled: 1-line block ×4, first 2 shown]
	v_lshlrev_b64_e32 v[69:70], 4, v[69:70]
	v_cvt_f64_f32_e32 v[97:98], v55
	v_cvt_f64_f32_e32 v[55:56], v56
	s_wait_kmcnt 0x0
	s_delay_alu instid0(VALU_DEP_3)
	v_add_co_u32 v81, vcc_lo, s4, v69
	s_wait_alu 0xfffd
	v_add_co_ci_u32_e64 v82, null, s5, v70, vcc_lo
	v_add_co_u32 v32, vcc_lo, 0x200, v32
	s_wait_alu 0xfffd
	v_add_co_ci_u32_e64 v33, null, 0, v33, vcc_lo
	s_clause 0x3
	global_load_b128 v[69:72], v[81:82], off
	global_load_b128 v[73:76], v[81:82], off offset:16
	global_load_b128 v[77:80], v[81:82], off offset:32
	;; [unrolled: 1-line block ×3, first 2 shown]
	s_wait_loadcnt 0x3
	v_fma_f64 v[19:20], v[85:86], v[69:70], v[19:20]
	v_fma_f64 v[13:14], v[37:38], v[69:70], v[13:14]
	v_fma_f64 v[24:25], v[87:88], v[69:70], v[24:25]
	v_fma_f64 v[17:18], v[41:42], v[69:70], v[17:18]
	v_fma_f64 v[28:29], v[89:90], v[69:70], v[28:29]
	v_fma_f64 v[26:27], v[45:46], v[69:70], v[26:27]
	v_fma_f64 v[15:16], v[91:92], v[69:70], v[15:16]
	v_fma_f64 v[22:23], v[53:54], v[69:70], v[22:23]
	v_cvt_f64_f32_e32 v[69:70], v39
	v_cvt_f64_f32_e32 v[39:40], v40
	v_fma_f64 v[19:20], -v[37:38], v[71:72], v[19:20]
	v_fma_f64 v[13:14], v[85:86], v[71:72], v[13:14]
	v_fma_f64 v[24:25], -v[41:42], v[71:72], v[24:25]
	v_fma_f64 v[17:18], v[87:88], v[71:72], v[17:18]
	;; [unrolled: 2-line block ×4, first 2 shown]
	v_cvt_f64_f32_e32 v[37:38], v57
	v_cvt_f64_f32_e32 v[41:42], v58
	;; [unrolled: 1-line block ×8, first 2 shown]
	s_wait_loadcnt 0x2
	v_fma_f64 v[19:20], v[69:70], v[73:74], v[19:20]
	v_fma_f64 v[13:14], v[39:40], v[73:74], v[13:14]
	;; [unrolled: 1-line block ×8, first 2 shown]
	v_fma_f64 v[19:20], -v[39:40], v[75:76], v[19:20]
	v_fma_f64 v[13:14], v[69:70], v[75:76], v[13:14]
	v_fma_f64 v[24:25], -v[43:44], v[75:76], v[24:25]
	v_fma_f64 v[17:18], v[93:94], v[75:76], v[17:18]
	;; [unrolled: 2-line block ×4, first 2 shown]
	v_cvt_f64_f32_e32 v[39:40], v59
	v_cvt_f64_f32_e32 v[43:44], v60
	;; [unrolled: 1-line block ×8, first 2 shown]
	s_wait_loadcnt 0x1
	v_fma_f64 v[19:20], v[37:38], v[77:78], v[19:20]
	v_fma_f64 v[13:14], v[41:42], v[77:78], v[13:14]
	;; [unrolled: 1-line block ×8, first 2 shown]
	v_fma_f64 v[19:20], -v[41:42], v[79:80], v[19:20]
	v_fma_f64 v[13:14], v[37:38], v[79:80], v[13:14]
	v_fma_f64 v[24:25], -v[49:50], v[79:80], v[24:25]
	v_fma_f64 v[17:18], v[45:46], v[79:80], v[17:18]
	;; [unrolled: 2-line block ×4, first 2 shown]
	s_wait_loadcnt 0x0
	v_fma_f64 v[19:20], v[39:40], v[81:82], v[19:20]
	v_fma_f64 v[13:14], v[43:44], v[81:82], v[13:14]
	;; [unrolled: 1-line block ×8, first 2 shown]
	v_fma_f64 v[19:20], -v[43:44], v[83:84], v[19:20]
	v_fma_f64 v[13:14], v[39:40], v[83:84], v[13:14]
	v_fma_f64 v[24:25], -v[51:52], v[83:84], v[24:25]
	v_fma_f64 v[17:18], v[47:48], v[83:84], v[17:18]
	;; [unrolled: 2-line block ×4, first 2 shown]
	s_wait_alu 0xfffe
	s_and_not1_b32 exec_lo, exec_lo, s7
	s_cbranch_execnz .LBB165_15
; %bb.16:
	s_or_b32 exec_lo, exec_lo, s7
.LBB165_17:
	s_wait_alu 0xfffe
	s_or_b32 exec_lo, exec_lo, s3
	s_delay_alu instid0(SALU_CYCLE_1)
	s_mov_b32 s7, exec_lo
	v_cmpx_lt_u32_e32 11, v10
	s_cbranch_execz .LBB165_21
; %bb.18:
	s_mov_b32 s10, 0
.LBB165_19:                             ; =>This Inner Loop Header: Depth=1
	v_ashrrev_i32_e32 v31, 31, v30
	s_delay_alu instid0(VALU_DEP_1) | instskip(SKIP_1) | instid1(VALU_DEP_2)
	v_lshlrev_b64_e32 v[36:37], 2, v[30:31]
	v_add_nc_u32_e32 v30, 16, v30
	v_add_co_u32 v52, vcc_lo, s8, v36
	s_wait_alu 0xfffd
	s_delay_alu instid0(VALU_DEP_3)
	v_add_co_ci_u32_e64 v53, null, s9, v37, vcc_lo
	global_load_b32 v31, v[52:53], off
	s_clause 0x3
	global_load_b128 v[36:39], v[32:33], off
	global_load_b128 v[40:43], v[32:33], off offset:32
	global_load_b128 v[44:47], v[32:33], off offset:64
	;; [unrolled: 1-line block ×3, first 2 shown]
	s_clause 0x2
	global_load_b32 v100, v[52:53], off offset:16
	global_load_b32 v128, v[52:53], off offset:32
	;; [unrolled: 1-line block ×3, first 2 shown]
	s_wait_loadcnt 0x7
	v_subrev_nc_u32_e32 v31, s12, v31
	s_wait_loadcnt 0x6
	v_cvt_f64_f32_e32 v[104:105], v36
	v_cvt_f64_f32_e32 v[36:37], v37
	s_wait_loadcnt 0x5
	v_cvt_f64_f32_e32 v[106:107], v40
	v_cvt_f64_f32_e32 v[40:41], v41
	v_lshlrev_b32_e32 v52, 2, v31
	s_wait_loadcnt 0x2
	v_subrev_nc_u32_e32 v31, s12, v100
	v_cvt_f64_f32_e32 v[108:109], v44
	v_cvt_f64_f32_e32 v[44:45], v45
	;; [unrolled: 1-line block ×3, first 2 shown]
	v_ashrrev_i32_e32 v53, 31, v52
	v_lshlrev_b32_e32 v100, 2, v31
	v_cvt_f64_f32_e32 v[48:49], v49
	v_cvt_f64_f32_e32 v[114:115], v39
	;; [unrolled: 1-line block ×3, first 2 shown]
	v_lshlrev_b64_e32 v[52:53], 4, v[52:53]
	v_ashrrev_i32_e32 v101, 31, v100
	v_cvt_f64_f32_e32 v[42:43], v43
	v_cvt_f64_f32_e32 v[118:119], v46
	;; [unrolled: 1-line block ×4, first 2 shown]
	s_wait_kmcnt 0x0
	v_add_co_u32 v80, vcc_lo, s4, v52
	s_wait_alu 0xfffd
	v_add_co_ci_u32_e64 v81, null, s5, v53, vcc_lo
	v_lshlrev_b64_e32 v[100:101], 4, v[100:101]
	v_cvt_f64_f32_e32 v[50:51], v51
	s_wait_loadcnt 0x1
	v_subrev_nc_u32_e32 v31, s12, v128
	s_clause 0x1
	global_load_b128 v[52:55], v[80:81], off
	global_load_b128 v[56:59], v[80:81], off offset:16
	s_clause 0x3
	global_load_b128 v[60:63], v[32:33], off offset:16
	global_load_b128 v[64:67], v[32:33], off offset:48
	;; [unrolled: 1-line block ×4, first 2 shown]
	s_clause 0x1
	global_load_b128 v[76:79], v[80:81], off offset:32
	global_load_b128 v[80:83], v[80:81], off offset:48
	s_clause 0x3
	global_load_b128 v[84:87], v[32:33], off offset:512
	global_load_b128 v[88:91], v[32:33], off offset:544
	;; [unrolled: 1-line block ×4, first 2 shown]
	s_wait_loadcnt 0xc
	v_subrev_nc_u32_e32 v10, s12, v10
	v_add_co_u32 v112, vcc_lo, s4, v100
	s_wait_alu 0xfffd
	v_add_co_ci_u32_e64 v113, null, s5, v101, vcc_lo
	global_load_b128 v[100:103], v[112:113], off
	s_wait_loadcnt 0xc
	v_fma_f64 v[19:20], v[104:105], v[52:53], v[19:20]
	v_fma_f64 v[13:14], v[36:37], v[52:53], v[13:14]
	;; [unrolled: 1-line block ×8, first 2 shown]
	v_cvt_f64_f32_e32 v[52:53], v38
	s_wait_loadcnt 0x9
	v_cvt_f64_f32_e32 v[122:123], v64
	v_cvt_f64_f32_e32 v[64:65], v65
	s_wait_loadcnt 0x8
	v_cvt_f64_f32_e32 v[124:125], v68
	v_cvt_f64_f32_e32 v[68:69], v69
	s_wait_loadcnt 0x7
	v_cvt_f64_f32_e32 v[126:127], v72
	v_cvt_f64_f32_e32 v[72:73], v73
	v_fma_f64 v[19:20], -v[36:37], v[54:55], v[19:20]
	v_fma_f64 v[36:37], v[104:105], v[54:55], v[13:14]
	v_fma_f64 v[24:25], -v[40:41], v[54:55], v[24:25]
	v_fma_f64 v[17:18], v[106:107], v[54:55], v[17:18]
	;; [unrolled: 2-line block ×4, first 2 shown]
	global_load_b128 v[13:16], v[112:113], off offset:16
	v_cvt_f64_f32_e32 v[110:111], v60
	v_cvt_f64_f32_e32 v[60:61], v61
	v_fma_f64 v[40:41], v[52:53], v[56:57], v[19:20]
	v_fma_f64 v[44:45], v[114:115], v[56:57], v[36:37]
	;; [unrolled: 1-line block ×8, first 2 shown]
	s_clause 0x3
	global_load_b128 v[17:20], v[32:33], off offset:528
	global_load_b128 v[22:25], v[32:33], off offset:560
	;; [unrolled: 1-line block ×4, first 2 shown]
	v_fma_f64 v[114:115], -v[114:115], v[58:59], v[40:41]
	v_fma_f64 v[44:45], v[52:53], v[58:59], v[44:45]
	v_fma_f64 v[48:49], -v[42:43], v[58:59], v[48:49]
	v_fma_f64 v[52:53], v[116:117], v[58:59], v[54:55]
	;; [unrolled: 2-line block ×4, first 2 shown]
	global_load_b128 v[40:43], v[112:113], off offset:32
	v_cvt_f64_f32_e32 v[104:105], v63
	v_cvt_f64_f32_e32 v[106:107], v66
	;; [unrolled: 1-line block ×5, first 2 shown]
	s_wait_loadcnt 0xa
	v_cvt_f64_f32_e32 v[118:119], v84
	v_cvt_f64_f32_e32 v[84:85], v85
	s_wait_loadcnt 0x9
	v_cvt_f64_f32_e32 v[120:121], v88
	v_cvt_f64_f32_e32 v[88:89], v89
	v_fma_f64 v[58:59], v[110:111], v[76:77], v[114:115]
	v_fma_f64 v[44:45], v[60:61], v[76:77], v[44:45]
	;; [unrolled: 1-line block ×8, first 2 shown]
	v_cvt_f64_f32_e32 v[76:77], v62
	v_cvt_f64_f32_e32 v[114:115], v74
	;; [unrolled: 1-line block ×3, first 2 shown]
	v_fma_f64 v[58:59], -v[60:61], v[78:79], v[58:59]
	v_fma_f64 v[60:61], v[110:111], v[78:79], v[44:45]
	v_fma_f64 v[62:63], -v[64:65], v[78:79], v[48:49]
	v_fma_f64 v[64:65], v[122:123], v[78:79], v[52:53]
	;; [unrolled: 2-line block ×4, first 2 shown]
	global_load_b128 v[44:47], v[112:113], off offset:48
	s_clause 0x1
	global_load_b128 v[48:51], v[32:33], off offset:1056
	global_load_b128 v[52:55], v[32:33], off offset:1024
	v_lshlrev_b32_e32 v126, 2, v31
	s_wait_loadcnt 0xb
	v_cvt_f64_f32_e32 v[122:123], v92
	v_cvt_f64_f32_e32 v[92:93], v93
	s_wait_loadcnt 0xa
	v_cvt_f64_f32_e32 v[124:125], v96
	v_cvt_f64_f32_e32 v[96:97], v97
	v_ashrrev_i32_e32 v127, 31, v126
	v_fma_f64 v[78:79], v[76:77], v[80:81], v[58:59]
	v_fma_f64 v[112:113], v[104:105], v[80:81], v[60:61]
	;; [unrolled: 1-line block ×8, first 2 shown]
	s_clause 0x1
	global_load_b128 v[56:59], v[32:33], off offset:1088
	global_load_b128 v[60:63], v[32:33], off offset:1120
	v_fma_f64 v[78:79], -v[104:105], v[82:83], v[78:79]
	v_fma_f64 v[76:77], v[76:77], v[82:83], v[112:113]
	v_fma_f64 v[104:105], -v[66:67], v[82:83], v[116:117]
	v_fma_f64 v[106:107], v[106:107], v[82:83], v[64:65]
	;; [unrolled: 2-line block ×4, first 2 shown]
	v_lshlrev_b64_e32 v[64:65], 4, v[126:127]
	v_cvt_f64_f32_e32 v[110:111], v94
	v_cvt_f64_f32_e32 v[94:95], v95
	;; [unrolled: 1-line block ×4, first 2 shown]
	v_add_co_u32 v108, vcc_lo, s4, v64
	s_wait_alu 0xfffd
	v_add_co_ci_u32_e64 v109, null, s5, v65, vcc_lo
	global_load_b128 v[64:67], v[108:109], off
	s_wait_loadcnt 0xc
	v_fma_f64 v[78:79], v[118:119], v[100:101], v[78:79]
	v_fma_f64 v[76:77], v[84:85], v[100:101], v[76:77]
	v_fma_f64 v[80:81], v[120:121], v[100:101], v[104:105]
	v_fma_f64 v[82:83], v[88:89], v[100:101], v[106:107]
	v_fma_f64 v[68:69], v[122:123], v[100:101], v[68:69]
	v_fma_f64 v[70:71], v[92:93], v[100:101], v[70:71]
	v_fma_f64 v[72:73], v[124:125], v[100:101], v[72:73]
	v_fma_f64 v[74:75], v[96:97], v[100:101], v[74:75]
	v_cvt_f64_f32_e32 v[100:101], v86
	v_cvt_f64_f32_e32 v[104:105], v87
	;; [unrolled: 1-line block ×4, first 2 shown]
	v_fma_f64 v[78:79], -v[84:85], v[102:103], v[78:79]
	v_fma_f64 v[76:77], v[118:119], v[102:103], v[76:77]
	v_fma_f64 v[80:81], -v[88:89], v[102:103], v[80:81]
	v_fma_f64 v[82:83], v[120:121], v[102:103], v[82:83]
	;; [unrolled: 2-line block ×4, first 2 shown]
	global_load_b128 v[68:71], v[108:109], off offset:16
	s_wait_loadcnt 0xc
	v_fma_f64 v[88:89], v[100:101], v[13:14], v[78:79]
	v_fma_f64 v[92:93], v[104:105], v[13:14], v[76:77]
	;; [unrolled: 1-line block ×8, first 2 shown]
	s_clause 0x3
	global_load_b128 v[72:75], v[32:33], off offset:1040
	global_load_b128 v[76:79], v[32:33], off offset:1072
	;; [unrolled: 1-line block ×4, first 2 shown]
	s_wait_loadcnt 0xf
	v_cvt_f64_f32_e32 v[120:121], v17
	v_cvt_f64_f32_e32 v[17:18], v18
	s_wait_loadcnt 0xe
	v_cvt_f64_f32_e32 v[122:123], v22
	v_cvt_f64_f32_e32 v[22:23], v23
	;; [unrolled: 3-line block ×4, first 2 shown]
	v_fma_f64 v[88:89], -v[104:105], v[15:16], v[88:89]
	v_fma_f64 v[92:93], v[100:101], v[15:16], v[92:93]
	v_fma_f64 v[90:91], -v[90:91], v[15:16], v[96:97]
	v_fma_f64 v[96:97], v[106:107], v[15:16], v[102:103]
	v_fma_f64 v[94:95], -v[94:95], v[15:16], v[114:115]
	v_fma_f64 v[100:101], v[110:111], v[15:16], v[116:117]
	v_fma_f64 v[98:99], -v[98:99], v[15:16], v[118:119]
	v_fma_f64 v[102:103], v[112:113], v[15:16], v[13:14]
	global_load_b128 v[13:16], v[108:109], off offset:32
	v_cvt_f64_f32_e32 v[104:105], v20
	v_cvt_f64_f32_e32 v[106:107], v24
	;; [unrolled: 1-line block ×7, first 2 shown]
	s_wait_loadcnt 0xc
	v_fma_f64 v[88:89], v[120:121], v[40:41], v[88:89]
	v_fma_f64 v[92:93], v[17:18], v[40:41], v[92:93]
	;; [unrolled: 1-line block ×8, first 2 shown]
	v_cvt_f64_f32_e32 v[102:103], v19
	v_fma_f64 v[24:25], -v[17:18], v[42:43], v[88:89]
	v_fma_f64 v[28:29], v[120:121], v[42:43], v[92:93]
	v_fma_f64 v[22:23], -v[22:23], v[42:43], v[90:91]
	v_fma_f64 v[38:39], v[122:123], v[42:43], v[96:97]
	;; [unrolled: 2-line block ×4, first 2 shown]
	global_load_b128 v[17:20], v[108:109], off offset:48
	v_lshlrev_b32_e32 v126, 2, v10
	s_delay_alu instid0(VALU_DEP_1)
	v_ashrrev_i32_e32 v127, 31, v126
	s_wait_loadcnt 0xb
	v_cvt_f64_f32_e32 v[120:121], v48
	s_wait_loadcnt 0xa
	v_cvt_f64_f32_e32 v[108:109], v52
	v_cvt_f64_f32_e32 v[52:53], v53
	;; [unrolled: 1-line block ×3, first 2 shown]
	v_fma_f64 v[90:91], v[102:103], v[44:45], v[24:25]
	v_fma_f64 v[92:93], v[104:105], v[44:45], v[28:29]
	;; [unrolled: 1-line block ×8, first 2 shown]
	s_clause 0x3
	global_load_b128 v[22:25], v[32:33], off offset:1536
	global_load_b128 v[26:29], v[32:33], off offset:1568
	;; [unrolled: 1-line block ×4, first 2 shown]
	s_wait_loadcnt 0xd
	v_cvt_f64_f32_e32 v[122:123], v56
	v_cvt_f64_f32_e32 v[56:57], v57
	s_wait_loadcnt 0xc
	v_cvt_f64_f32_e32 v[124:125], v60
	v_cvt_f64_f32_e32 v[60:61], v61
	v_fma_f64 v[90:91], -v[104:105], v[46:47], v[90:91]
	v_fma_f64 v[92:93], v[102:103], v[46:47], v[92:93]
	v_fma_f64 v[94:95], -v[110:111], v[46:47], v[94:95]
	v_fma_f64 v[96:97], v[106:107], v[46:47], v[96:97]
	;; [unrolled: 2-line block ×4, first 2 shown]
	v_lshlrev_b64_e32 v[44:45], 4, v[126:127]
	v_cvt_f64_f32_e32 v[106:107], v55
	v_cvt_f64_f32_e32 v[110:111], v50
	;; [unrolled: 1-line block ×5, first 2 shown]
	v_add_co_u32 v104, vcc_lo, s4, v44
	s_wait_alu 0xfffd
	v_add_co_ci_u32_e64 v105, null, s5, v45, vcc_lo
	v_cvt_f64_f32_e32 v[118:119], v62
	v_cvt_f64_f32_e32 v[126:127], v63
	v_cmp_ge_i32_e32 vcc_lo, v30, v34
	global_load_b128 v[44:47], v[104:105], off
	s_wait_alu 0xfffe
	s_or_b32 s10, vcc_lo, s10
	s_wait_loadcnt 0xc
	v_fma_f64 v[90:91], v[108:109], v[64:65], v[90:91]
	v_fma_f64 v[92:93], v[52:53], v[64:65], v[92:93]
	;; [unrolled: 1-line block ×8, first 2 shown]
	v_cvt_f64_f32_e32 v[102:103], v54
	v_fma_f64 v[52:53], -v[52:53], v[66:67], v[90:91]
	v_fma_f64 v[54:55], v[108:109], v[66:67], v[92:93]
	v_fma_f64 v[58:59], -v[48:49], v[66:67], v[94:95]
	v_fma_f64 v[62:63], v[120:121], v[66:67], v[96:97]
	;; [unrolled: 2-line block ×4, first 2 shown]
	global_load_b128 v[48:51], v[104:105], off offset:16
	s_wait_loadcnt 0xc
	v_fma_f64 v[90:91], v[102:103], v[68:69], v[52:53]
	v_fma_f64 v[92:93], v[106:107], v[68:69], v[54:55]
	;; [unrolled: 1-line block ×8, first 2 shown]
	s_clause 0x3
	global_load_b128 v[52:55], v[32:33], off offset:1552
	global_load_b128 v[56:59], v[32:33], off offset:1584
	;; [unrolled: 1-line block ×4, first 2 shown]
	v_add_co_u32 v32, s3, 0x800, v32
	s_wait_alu 0xf1ff
	v_add_co_ci_u32_e64 v33, null, 0, v33, s3
	s_wait_loadcnt 0xf
	v_cvt_f64_f32_e32 v[108:109], v72
	v_cvt_f64_f32_e32 v[72:73], v73
	s_wait_loadcnt 0xe
	v_cvt_f64_f32_e32 v[120:121], v76
	v_cvt_f64_f32_e32 v[76:77], v77
	;; [unrolled: 3-line block ×4, first 2 shown]
	v_fma_f64 v[90:91], -v[106:107], v[70:71], v[90:91]
	v_fma_f64 v[92:93], v[102:103], v[70:71], v[92:93]
	v_fma_f64 v[94:95], -v[112:113], v[70:71], v[94:95]
	v_fma_f64 v[96:97], v[110:111], v[70:71], v[96:97]
	;; [unrolled: 2-line block ×4, first 2 shown]
	global_load_b128 v[68:71], v[104:105], off offset:32
	v_cvt_f64_f32_e32 v[106:107], v75
	v_cvt_f64_f32_e32 v[110:111], v78
	;; [unrolled: 1-line block ×7, first 2 shown]
	s_wait_loadcnt 0xc
	v_fma_f64 v[90:91], v[108:109], v[13:14], v[90:91]
	v_fma_f64 v[92:93], v[72:73], v[13:14], v[92:93]
	;; [unrolled: 1-line block ×8, first 2 shown]
	v_cvt_f64_f32_e32 v[102:103], v74
	v_fma_f64 v[90:91], -v[72:73], v[15:16], v[90:91]
	v_fma_f64 v[92:93], v[108:109], v[15:16], v[92:93]
	v_fma_f64 v[76:77], -v[76:77], v[15:16], v[94:95]
	v_fma_f64 v[94:95], v[120:121], v[15:16], v[96:97]
	;; [unrolled: 2-line block ×4, first 2 shown]
	global_load_b128 v[72:75], v[104:105], off offset:48
	s_wait_loadcnt 0xc
	v_fma_f64 v[15:16], v[102:103], v[17:18], v[90:91]
	v_fma_f64 v[90:91], v[106:107], v[17:18], v[92:93]
	v_fma_f64 v[76:77], v[110:111], v[17:18], v[76:77]
	v_fma_f64 v[92:93], v[78:79], v[17:18], v[94:95]
	v_fma_f64 v[80:81], v[112:113], v[17:18], v[80:81]
	v_fma_f64 v[88:89], v[82:83], v[17:18], v[88:89]
	v_fma_f64 v[84:85], v[114:115], v[17:18], v[84:85]
	v_fma_f64 v[13:14], v[86:87], v[17:18], v[13:14]
	s_wait_loadcnt 0xb
	v_cvt_f64_f32_e32 v[17:18], v22
	v_cvt_f64_f32_e32 v[22:23], v23
	s_wait_loadcnt 0xa
	v_cvt_f64_f32_e32 v[94:95], v26
	v_cvt_f64_f32_e32 v[26:27], v27
	s_wait_loadcnt 0x9
	v_cvt_f64_f32_e32 v[96:97], v36
	v_cvt_f64_f32_e32 v[36:37], v37
	s_wait_loadcnt 0x8
	v_cvt_f64_f32_e32 v[98:99], v40
	v_cvt_f64_f32_e32 v[40:41], v41
	v_fma_f64 v[15:16], -v[106:107], v[19:20], v[15:16]
	v_fma_f64 v[90:91], v[102:103], v[19:20], v[90:91]
	v_fma_f64 v[76:77], -v[78:79], v[19:20], v[76:77]
	v_fma_f64 v[78:79], v[110:111], v[19:20], v[92:93]
	;; [unrolled: 2-line block ×4, first 2 shown]
	v_cvt_f64_f32_e32 v[86:87], v28
	v_cvt_f64_f32_e32 v[28:29], v29
	;; [unrolled: 1-line block ×4, first 2 shown]
	s_wait_loadcnt 0x7
	v_fma_f64 v[15:16], v[17:18], v[44:45], v[15:16]
	v_fma_f64 v[19:20], v[22:23], v[44:45], v[90:91]
	;; [unrolled: 1-line block ×8, first 2 shown]
	v_cvt_f64_f32_e32 v[44:45], v24
	v_cvt_f64_f32_e32 v[24:25], v25
	;; [unrolled: 1-line block ×4, first 2 shown]
	v_fma_f64 v[15:16], -v[22:23], v[46:47], v[15:16]
	v_fma_f64 v[17:18], v[17:18], v[46:47], v[19:20]
	v_fma_f64 v[19:20], -v[26:27], v[46:47], v[76:77]
	v_fma_f64 v[22:23], v[94:95], v[46:47], v[78:79]
	;; [unrolled: 2-line block ×4, first 2 shown]
	s_wait_loadcnt 0x6
	v_fma_f64 v[15:16], v[44:45], v[48:49], v[15:16]
	v_fma_f64 v[17:18], v[24:25], v[48:49], v[17:18]
	;; [unrolled: 1-line block ×8, first 2 shown]
	s_wait_loadcnt 0x5
	v_cvt_f64_f32_e32 v[46:47], v52
	v_cvt_f64_f32_e32 v[48:49], v53
	s_wait_loadcnt 0x4
	v_cvt_f64_f32_e32 v[52:53], v56
	v_cvt_f64_f32_e32 v[56:57], v57
	;; [unrolled: 3-line block ×4, first 2 shown]
	v_fma_f64 v[15:16], -v[24:25], v[50:51], v[15:16]
	v_fma_f64 v[17:18], v[44:45], v[50:51], v[17:18]
	v_fma_f64 v[19:20], -v[28:29], v[50:51], v[19:20]
	v_fma_f64 v[22:23], v[86:87], v[50:51], v[22:23]
	;; [unrolled: 2-line block ×4, first 2 shown]
	v_cvt_f64_f32_e32 v[36:37], v54
	v_cvt_f64_f32_e32 v[38:39], v55
	;; [unrolled: 1-line block ×8, first 2 shown]
	s_wait_loadcnt 0x1
	v_fma_f64 v[15:16], v[46:47], v[68:69], v[15:16]
	v_fma_f64 v[17:18], v[48:49], v[68:69], v[17:18]
	;; [unrolled: 1-line block ×8, first 2 shown]
	v_fma_f64 v[15:16], -v[48:49], v[70:71], v[15:16]
	v_fma_f64 v[17:18], v[46:47], v[70:71], v[17:18]
	v_fma_f64 v[19:20], -v[56:57], v[70:71], v[19:20]
	v_fma_f64 v[22:23], v[52:53], v[70:71], v[22:23]
	;; [unrolled: 2-line block ×4, first 2 shown]
	s_wait_loadcnt 0x0
	v_fma_f64 v[15:16], v[36:37], v[72:73], v[15:16]
	v_fma_f64 v[17:18], v[38:39], v[72:73], v[17:18]
	;; [unrolled: 1-line block ×8, first 2 shown]
	v_fma_f64 v[19:20], -v[38:39], v[74:75], v[15:16]
	v_fma_f64 v[13:14], v[36:37], v[74:75], v[17:18]
	v_fma_f64 v[24:25], -v[42:43], v[74:75], v[46:47]
	v_fma_f64 v[17:18], v[40:41], v[74:75], v[22:23]
	v_fma_f64 v[28:29], -v[50:51], v[74:75], v[48:49]
	v_fma_f64 v[26:27], v[44:45], v[74:75], v[26:27]
	v_fma_f64 v[15:16], -v[58:59], v[74:75], v[52:53]
	v_fma_f64 v[22:23], v[54:55], v[74:75], v[56:57]
	s_wait_alu 0xfffe
	s_and_not1_b32 exec_lo, exec_lo, s10
	s_cbranch_execnz .LBB165_19
; %bb.20:
	s_or_b32 exec_lo, exec_lo, s10
.LBB165_21:
	s_wait_alu 0xfffe
	s_or_b32 exec_lo, exec_lo, s7
.LBB165_22:
	s_wait_alu 0xfffe
	s_or_b32 exec_lo, exec_lo, s6
	s_cbranch_execz .LBB165_24
	s_branch .LBB165_35
.LBB165_23:
                                        ; implicit-def: $vgpr13_vgpr14
                                        ; implicit-def: $vgpr19_vgpr20
                                        ; implicit-def: $vgpr17_vgpr18
                                        ; implicit-def: $vgpr24_vgpr25
                                        ; implicit-def: $vgpr26_vgpr27
                                        ; implicit-def: $vgpr28_vgpr29
                                        ; implicit-def: $vgpr22_vgpr23
                                        ; implicit-def: $vgpr15_vgpr16
.LBB165_24:
	v_dual_mov_b32 v13, 0 :: v_dual_mov_b32 v26, 0
	v_dual_mov_b32 v14, 0 :: v_dual_mov_b32 v19, 0
	;; [unrolled: 1-line block ×5, first 2 shown]
	v_mov_b32_e32 v20, 0
	v_dual_mov_b32 v18, 0 :: v_dual_mov_b32 v25, 0
	v_mov_b32_e32 v29, 0
	v_dual_mov_b32 v23, 0 :: v_dual_mov_b32 v16, 0
	s_and_saveexec_b32 s3, s2
	s_cbranch_execz .LBB165_34
; %bb.25:
	v_dual_mov_b32 v15, 0 :: v_dual_add_nc_u32 v10, v35, v0
	v_mov_b32_e32 v22, 0
	v_not_b32_e32 v13, v35
	v_mov_b32_e32 v28, 0
	s_delay_alu instid0(VALU_DEP_4) | instskip(SKIP_3) | instid1(VALU_DEP_4)
	v_subrev_nc_u32_e32 v10, s12, v10
	v_dual_mov_b32 v26, 0 :: v_dual_mov_b32 v19, 0
	v_mov_b32_e32 v24, 0
	v_dual_mov_b32 v16, 0 :: v_dual_mov_b32 v29, 0
	v_dual_mov_b32 v23, 0 :: v_dual_add_nc_u32 v10, 4, v10
	v_mov_b32_e32 v27, 0
	v_dual_mov_b32 v25, 0 :: v_dual_mov_b32 v20, 0
	s_delay_alu instid0(VALU_DEP_3) | instskip(SKIP_3) | instid1(VALU_DEP_3)
	v_max_i32_e32 v10, v10, v34
	s_mov_b32 s2, exec_lo
	v_mov_b32_e32 v17, 0
	v_mov_b32_e32 v18, 0
	v_add3_u32 v10, s12, v10, v13
	v_mov_b32_e32 v13, 0
	v_mov_b32_e32 v14, 0
	s_delay_alu instid0(VALU_DEP_3) | instskip(NEXT) | instid1(VALU_DEP_1)
	v_sub_nc_u32_e32 v30, v10, v0
	v_and_b32_e32 v10, 12, v30
	s_delay_alu instid0(VALU_DEP_1)
	v_cmpx_ne_u32_e32 12, v10
	s_cbranch_execz .LBB165_29
; %bb.26:
	v_lshrrev_b32_e32 v10, 2, v30
	v_mov_b32_e32 v24, 0
	v_mov_b32_e32 v26, 0
	v_dual_mov_b32 v28, 0 :: v_dual_mov_b32 v15, 0
	s_delay_alu instid0(VALU_DEP_4) | instskip(SKIP_2) | instid1(VALU_DEP_3)
	v_dual_mov_b32 v13, 0 :: v_dual_add_nc_u32 v10, 1, v10
	v_dual_mov_b32 v14, 0 :: v_dual_mov_b32 v19, 0
	v_dual_mov_b32 v20, 0 :: v_dual_mov_b32 v17, 0
	v_dual_mov_b32 v27, 0 :: v_dual_and_b32 v10, 3, v10
	v_mov_b32_e32 v22, 0
	v_dual_mov_b32 v18, 0 :: v_dual_mov_b32 v25, 0
	v_mov_b32_e32 v29, 0
	v_dual_mov_b32 v23, 0 :: v_dual_mov_b32 v16, 0
	v_sub_nc_u32_e32 v31, 0, v10
	s_mov_b32 s6, 0
.LBB165_27:                             ; =>This Inner Loop Header: Depth=1
	v_ashrrev_i32_e32 v10, 31, v9
	s_delay_alu instid0(VALU_DEP_2) | instskip(SKIP_2) | instid1(VALU_DEP_2)
	v_add_co_u32 v31, s7, v31, 1
	s_wait_alu 0xfffe
	s_or_b32 s6, s7, s6
	v_lshlrev_b64_e32 v[32:33], 2, v[9:10]
	v_add_nc_u32_e32 v9, 4, v9
	s_delay_alu instid0(VALU_DEP_2) | instskip(SKIP_1) | instid1(VALU_DEP_3)
	v_add_co_u32 v32, vcc_lo, s8, v32
	s_wait_alu 0xfffd
	v_add_co_ci_u32_e64 v33, null, s9, v33, vcc_lo
	global_load_b32 v10, v[32:33], off
	s_clause 0x1
	global_load_b128 v[35:38], v[11:12], off
	global_load_b128 v[39:42], v[11:12], off offset:16
	s_wait_loadcnt 0x2
	v_subrev_nc_u32_e32 v10, s12, v10
	s_wait_loadcnt 0x1
	v_cvt_f64_f32_e32 v[83:84], v37
	v_cvt_f64_f32_e32 v[37:38], v38
	s_wait_loadcnt 0x0
	v_cvt_f64_f32_e32 v[85:86], v39
	v_cvt_f64_f32_e32 v[39:40], v40
	v_lshlrev_b32_e32 v32, 2, v10
	v_cvt_f64_f32_e32 v[87:88], v41
	v_cvt_f64_f32_e32 v[41:42], v42
	s_delay_alu instid0(VALU_DEP_3) | instskip(NEXT) | instid1(VALU_DEP_1)
	v_ashrrev_i32_e32 v33, 31, v32
	v_lshlrev_b64_e32 v[32:33], 4, v[32:33]
	s_wait_kmcnt 0x0
	s_delay_alu instid0(VALU_DEP_1) | instskip(SKIP_1) | instid1(VALU_DEP_2)
	v_add_co_u32 v32, vcc_lo, s4, v32
	s_wait_alu 0xfffd
	v_add_co_ci_u32_e64 v33, null, s5, v33, vcc_lo
	s_clause 0x1
	global_load_b128 v[43:46], v[32:33], off
	global_load_b128 v[47:50], v[32:33], off offset:16
	s_clause 0x3
	global_load_b128 v[51:54], v[11:12], off offset:32
	global_load_b128 v[55:58], v[11:12], off offset:48
	;; [unrolled: 1-line block ×4, first 2 shown]
	s_clause 0x1
	global_load_b128 v[67:70], v[32:33], off offset:32
	global_load_b128 v[71:74], v[32:33], off offset:48
	s_clause 0x1
	global_load_b128 v[75:78], v[11:12], off offset:96
	global_load_b128 v[79:82], v[11:12], off offset:112
	v_cvt_f64_f32_e32 v[32:33], v35
	v_cvt_f64_f32_e32 v[35:36], v36
	v_add_co_u32 v11, vcc_lo, 0x200, v11
	s_wait_alu 0xfffd
	v_add_co_ci_u32_e64 v12, null, 0, v12, vcc_lo
	s_wait_loadcnt 0x9
	s_delay_alu instid0(VALU_DEP_4) | instskip(NEXT) | instid1(VALU_DEP_4)
	v_fma_f64 v[19:20], v[32:33], v[43:44], v[19:20]
	v_fma_f64 v[13:14], v[35:36], v[43:44], v[13:14]
	;; [unrolled: 1-line block ×8, first 2 shown]
	s_wait_loadcnt 0x7
	v_cvt_f64_f32_e32 v[43:44], v51
	v_cvt_f64_f32_e32 v[51:52], v52
	;; [unrolled: 1-line block ×4, first 2 shown]
	s_wait_loadcnt 0x6
	v_cvt_f64_f32_e32 v[91:92], v55
	v_cvt_f64_f32_e32 v[55:56], v56
	;; [unrolled: 1-line block ×4, first 2 shown]
	v_fma_f64 v[19:20], -v[35:36], v[45:46], v[19:20]
	v_fma_f64 v[13:14], v[32:33], v[45:46], v[13:14]
	v_fma_f64 v[24:25], -v[37:38], v[45:46], v[24:25]
	v_fma_f64 v[17:18], v[83:84], v[45:46], v[17:18]
	;; [unrolled: 2-line block ×4, first 2 shown]
	s_wait_loadcnt 0x5
	v_cvt_f64_f32_e32 v[32:33], v59
	v_cvt_f64_f32_e32 v[35:36], v60
	;; [unrolled: 1-line block ×4, first 2 shown]
	s_wait_loadcnt 0x4
	v_cvt_f64_f32_e32 v[41:42], v63
	v_cvt_f64_f32_e32 v[45:46], v64
	v_cvt_f64_f32_e32 v[59:60], v66
	s_wait_loadcnt 0x0
	v_cvt_f64_f32_e32 v[61:62], v81
	v_cvt_f64_f32_e32 v[63:64], v82
	v_fma_f64 v[19:20], v[43:44], v[47:48], v[19:20]
	v_fma_f64 v[13:14], v[51:52], v[47:48], v[13:14]
	;; [unrolled: 1-line block ×8, first 2 shown]
	v_cvt_f64_f32_e32 v[47:48], v65
	v_fma_f64 v[19:20], -v[51:52], v[49:50], v[19:20]
	v_fma_f64 v[13:14], v[43:44], v[49:50], v[13:14]
	v_fma_f64 v[24:25], -v[53:54], v[49:50], v[24:25]
	v_fma_f64 v[17:18], v[89:90], v[49:50], v[17:18]
	;; [unrolled: 2-line block ×4, first 2 shown]
	v_cvt_f64_f32_e32 v[43:44], v75
	v_cvt_f64_f32_e32 v[49:50], v76
	;; [unrolled: 1-line block ×6, first 2 shown]
	v_fma_f64 v[19:20], v[32:33], v[67:68], v[19:20]
	v_fma_f64 v[13:14], v[35:36], v[67:68], v[13:14]
	v_fma_f64 v[24:25], v[37:38], v[67:68], v[24:25]
	v_fma_f64 v[17:18], v[39:40], v[67:68], v[17:18]
	v_fma_f64 v[28:29], v[41:42], v[67:68], v[28:29]
	v_fma_f64 v[26:27], v[45:46], v[67:68], v[26:27]
	v_fma_f64 v[15:16], v[47:48], v[67:68], v[15:16]
	v_fma_f64 v[22:23], v[59:60], v[67:68], v[22:23]
	v_fma_f64 v[19:20], -v[35:36], v[69:70], v[19:20]
	v_fma_f64 v[13:14], v[32:33], v[69:70], v[13:14]
	v_fma_f64 v[24:25], -v[39:40], v[69:70], v[24:25]
	v_fma_f64 v[17:18], v[37:38], v[69:70], v[17:18]
	;; [unrolled: 2-line block ×4, first 2 shown]
	v_fma_f64 v[19:20], v[43:44], v[71:72], v[19:20]
	v_fma_f64 v[13:14], v[49:50], v[71:72], v[13:14]
	;; [unrolled: 1-line block ×8, first 2 shown]
	v_fma_f64 v[19:20], -v[49:50], v[73:74], v[19:20]
	v_fma_f64 v[13:14], v[43:44], v[73:74], v[13:14]
	v_fma_f64 v[24:25], -v[53:54], v[73:74], v[24:25]
	v_fma_f64 v[17:18], v[51:52], v[73:74], v[17:18]
	v_fma_f64 v[28:29], -v[57:58], v[73:74], v[28:29]
	v_fma_f64 v[26:27], v[55:56], v[73:74], v[26:27]
	v_fma_f64 v[15:16], -v[63:64], v[73:74], v[15:16]
	v_fma_f64 v[22:23], v[61:62], v[73:74], v[22:23]
	s_wait_alu 0xfffe
	s_and_not1_b32 exec_lo, exec_lo, s6
	s_cbranch_execnz .LBB165_27
; %bb.28:
	s_or_b32 exec_lo, exec_lo, s6
.LBB165_29:
	s_wait_alu 0xfffe
	s_or_b32 exec_lo, exec_lo, s2
	s_delay_alu instid0(SALU_CYCLE_1)
	s_mov_b32 s6, exec_lo
	v_cmpx_lt_u32_e32 11, v30
	s_cbranch_execz .LBB165_33
; %bb.30:
	s_mov_b32 s7, 0
.LBB165_31:                             ; =>This Inner Loop Header: Depth=1
	v_ashrrev_i32_e32 v10, 31, v9
	s_delay_alu instid0(VALU_DEP_1) | instskip(SKIP_1) | instid1(VALU_DEP_2)
	v_lshlrev_b64_e32 v[30:31], 2, v[9:10]
	v_add_nc_u32_e32 v9, 16, v9
	v_add_co_u32 v39, vcc_lo, s8, v30
	s_wait_alu 0xfffd
	s_delay_alu instid0(VALU_DEP_3)
	v_add_co_ci_u32_e64 v40, null, s9, v31, vcc_lo
	global_load_b32 v10, v[39:40], off
	s_clause 0x1
	global_load_b128 v[30:33], v[11:12], off
	global_load_b128 v[35:38], v[11:12], off offset:16
	s_clause 0x2
	global_load_b32 v99, v[39:40], off offset:16
	global_load_b32 v117, v[39:40], off offset:32
	;; [unrolled: 1-line block ×3, first 2 shown]
	s_wait_loadcnt 0x5
	v_subrev_nc_u32_e32 v10, s12, v10
	s_wait_loadcnt 0x4
	v_cvt_f64_f32_e32 v[87:88], v30
	v_cvt_f64_f32_e32 v[89:90], v31
	;; [unrolled: 1-line block ×4, first 2 shown]
	v_lshlrev_b32_e32 v39, 2, v10
	s_wait_loadcnt 0x2
	v_subrev_nc_u32_e32 v10, s12, v99
	v_cvt_f64_f32_e32 v[95:96], v35
	v_cvt_f64_f32_e32 v[35:36], v36
	;; [unrolled: 1-line block ×3, first 2 shown]
	v_ashrrev_i32_e32 v40, 31, v39
	v_lshlrev_b32_e32 v30, 2, v10
	v_cvt_f64_f32_e32 v[37:38], v38
	s_wait_loadcnt 0x1
	v_subrev_nc_u32_e32 v10, s12, v117
	v_lshlrev_b64_e32 v[39:40], 4, v[39:40]
	v_ashrrev_i32_e32 v31, 31, v30
	s_delay_alu instid0(VALU_DEP_1) | instskip(SKIP_1) | instid1(VALU_DEP_3)
	v_lshlrev_b64_e32 v[30:31], 4, v[30:31]
	s_wait_kmcnt 0x0
	v_add_co_u32 v75, vcc_lo, s4, v39
	s_wait_alu 0xfffd
	v_add_co_ci_u32_e64 v76, null, s5, v40, vcc_lo
	global_load_b128 v[39:42], v[75:76], off
	s_clause 0x1
	global_load_b128 v[43:46], v[11:12], off offset:32
	global_load_b128 v[47:50], v[11:12], off offset:48
	global_load_b128 v[51:54], v[75:76], off offset:16
	s_clause 0x1
	global_load_b128 v[55:58], v[11:12], off offset:64
	global_load_b128 v[59:62], v[11:12], off offset:80
	global_load_b128 v[63:66], v[75:76], off offset:32
	;; [unrolled: 4-line block ×3, first 2 shown]
	s_clause 0x1
	global_load_b128 v[79:82], v[11:12], off offset:512
	global_load_b128 v[83:86], v[11:12], off offset:528
	v_add_co_u32 v99, vcc_lo, s4, v30
	s_wait_alu 0xfffd
	v_add_co_ci_u32_e64 v100, null, s5, v31, vcc_lo
	global_load_b128 v[30:33], v[99:100], off
	s_wait_loadcnt 0xc
	v_fma_f64 v[101:102], v[87:88], v[39:40], v[19:20]
	v_fma_f64 v[103:104], v[89:90], v[39:40], v[13:14]
	;; [unrolled: 1-line block ×8, first 2 shown]
	s_clause 0x1
	global_load_b128 v[13:16], v[11:12], off offset:544
	global_load_b128 v[17:20], v[11:12], off offset:560
	s_wait_loadcnt 0xd
	v_cvt_f64_f32_e32 v[39:40], v43
	v_cvt_f64_f32_e32 v[43:44], v44
	;; [unrolled: 1-line block ×4, first 2 shown]
	s_wait_loadcnt 0xc
	v_cvt_f64_f32_e32 v[111:112], v47
	v_cvt_f64_f32_e32 v[47:48], v48
	;; [unrolled: 1-line block ×4, first 2 shown]
	v_fma_f64 v[89:90], -v[89:90], v[41:42], v[101:102]
	v_fma_f64 v[87:88], v[87:88], v[41:42], v[103:104]
	v_fma_f64 v[93:94], -v[93:94], v[41:42], v[24:25]
	v_fma_f64 v[91:92], v[91:92], v[41:42], v[105:106]
	;; [unrolled: 2-line block ×4, first 2 shown]
	global_load_b128 v[22:25], v[99:100], off offset:16
	s_wait_loadcnt 0xb
	v_cvt_f64_f32_e32 v[101:102], v55
	v_cvt_f64_f32_e32 v[55:56], v56
	;; [unrolled: 1-line block ×4, first 2 shown]
	s_wait_loadcnt 0xa
	v_cvt_f64_f32_e32 v[105:106], v59
	v_cvt_f64_f32_e32 v[59:60], v60
	;; [unrolled: 1-line block ×4, first 2 shown]
	v_fma_f64 v[41:42], v[39:40], v[51:52], v[89:90]
	v_fma_f64 v[87:88], v[43:44], v[51:52], v[87:88]
	;; [unrolled: 1-line block ×8, first 2 shown]
	s_clause 0x1
	global_load_b128 v[26:29], v[11:12], off offset:576
	global_load_b128 v[35:38], v[11:12], off offset:592
	v_fma_f64 v[43:44], -v[43:44], v[53:54], v[41:42]
	v_fma_f64 v[87:88], v[39:40], v[53:54], v[87:88]
	v_fma_f64 v[45:46], -v[45:46], v[53:54], v[89:90]
	v_fma_f64 v[89:90], v[109:110], v[53:54], v[91:92]
	;; [unrolled: 2-line block ×4, first 2 shown]
	global_load_b128 v[39:42], v[99:100], off offset:32
	s_wait_loadcnt 0xb
	v_cvt_f64_f32_e32 v[109:110], v69
	v_cvt_f64_f32_e32 v[69:70], v70
	s_wait_loadcnt 0xa
	v_cvt_f64_f32_e32 v[111:112], v71
	v_cvt_f64_f32_e32 v[71:72], v72
	;; [unrolled: 1-line block ×4, first 2 shown]
	v_fma_f64 v[53:54], v[101:102], v[63:64], v[43:44]
	v_fma_f64 v[87:88], v[55:56], v[63:64], v[87:88]
	;; [unrolled: 1-line block ×8, first 2 shown]
	s_clause 0x1
	global_load_b128 v[43:46], v[11:12], off offset:608
	global_load_b128 v[47:50], v[11:12], off offset:624
	v_cvt_f64_f32_e32 v[63:64], v67
	v_cvt_f64_f32_e32 v[67:68], v68
	v_fma_f64 v[115:116], -v[55:56], v[65:66], v[53:54]
	v_fma_f64 v[87:88], v[101:102], v[65:66], v[87:88]
	v_fma_f64 v[93:94], -v[57:58], v[65:66], v[93:94]
	v_fma_f64 v[89:90], v[103:104], v[65:66], v[89:90]
	;; [unrolled: 2-line block ×4, first 2 shown]
	global_load_b128 v[51:54], v[99:100], off offset:48
	global_load_b128 v[55:58], v[11:12], off offset:1024
	v_lshlrev_b32_e32 v107, 2, v10
	s_wait_loadcnt 0xc
	v_cvt_f64_f32_e32 v[101:102], v81
	v_cvt_f64_f32_e32 v[81:82], v82
	s_wait_loadcnt 0xb
	v_cvt_f64_f32_e32 v[103:104], v83
	v_cvt_f64_f32_e32 v[83:84], v84
	;; [unrolled: 1-line block ×4, first 2 shown]
	v_ashrrev_i32_e32 v108, 31, v107
	v_subrev_nc_u32_e32 v10, s12, v123
	v_fma_f64 v[95:96], v[63:64], v[75:76], v[115:116]
	v_fma_f64 v[87:88], v[67:68], v[75:76], v[87:88]
	;; [unrolled: 1-line block ×8, first 2 shown]
	global_load_b128 v[59:62], v[11:12], off offset:1040
	v_cvt_f64_f32_e32 v[75:76], v79
	v_cvt_f64_f32_e32 v[79:80], v80
	v_fma_f64 v[67:68], -v[67:68], v[77:78], v[95:96]
	v_fma_f64 v[87:88], v[63:64], v[77:78], v[87:88]
	v_fma_f64 v[69:70], -v[69:70], v[77:78], v[93:94]
	v_fma_f64 v[89:90], v[109:110], v[77:78], v[89:90]
	;; [unrolled: 2-line block ×4, first 2 shown]
	v_lshlrev_b64_e32 v[63:64], 4, v[107:108]
	s_delay_alu instid0(VALU_DEP_1) | instskip(SKIP_1) | instid1(VALU_DEP_2)
	v_add_co_u32 v93, vcc_lo, s4, v63
	s_wait_alu 0xfffd
	v_add_co_ci_u32_e64 v94, null, s5, v64, vcc_lo
	global_load_b128 v[63:66], v[93:94], off
	s_wait_loadcnt 0xc
	v_fma_f64 v[95:96], v[75:76], v[30:31], v[67:68]
	v_fma_f64 v[87:88], v[79:80], v[30:31], v[87:88]
	;; [unrolled: 1-line block ×8, first 2 shown]
	s_clause 0x1
	global_load_b128 v[67:70], v[11:12], off offset:1056
	global_load_b128 v[71:74], v[11:12], off offset:1072
	s_wait_loadcnt 0xd
	v_cvt_f64_f32_e32 v[77:78], v13
	v_cvt_f64_f32_e32 v[109:110], v14
	;; [unrolled: 1-line block ×4, first 2 shown]
	s_wait_loadcnt 0xc
	v_cvt_f64_f32_e32 v[115:116], v17
	v_cvt_f64_f32_e32 v[117:118], v18
	;; [unrolled: 1-line block ×4, first 2 shown]
	global_load_b128 v[13:16], v[93:94], off offset:16
	v_fma_f64 v[17:18], -v[79:80], v[32:33], v[95:96]
	v_fma_f64 v[19:20], v[75:76], v[32:33], v[87:88]
	v_fma_f64 v[75:76], -v[81:82], v[32:33], v[97:98]
	v_fma_f64 v[79:80], v[101:102], v[32:33], v[89:90]
	;; [unrolled: 2-line block ×4, first 2 shown]
	s_wait_loadcnt 0xc
	v_fma_f64 v[87:88], v[77:78], v[22:23], v[17:18]
	v_fma_f64 v[89:90], v[109:110], v[22:23], v[19:20]
	;; [unrolled: 1-line block ×8, first 2 shown]
	s_clause 0x1
	global_load_b128 v[17:20], v[11:12], off offset:1088
	global_load_b128 v[30:33], v[11:12], off offset:1104
	s_wait_loadcnt 0xd
	v_cvt_f64_f32_e32 v[91:92], v26
	v_cvt_f64_f32_e32 v[95:96], v27
	;; [unrolled: 1-line block ×4, first 2 shown]
	s_wait_loadcnt 0xc
	v_cvt_f64_f32_e32 v[101:102], v35
	v_cvt_f64_f32_e32 v[103:104], v36
	;; [unrolled: 1-line block ×4, first 2 shown]
	v_fma_f64 v[26:27], -v[109:110], v[24:25], v[87:88]
	v_fma_f64 v[28:29], v[77:78], v[24:25], v[89:90]
	v_fma_f64 v[35:36], -v[113:114], v[24:25], v[75:76]
	v_fma_f64 v[37:38], v[111:112], v[24:25], v[79:80]
	;; [unrolled: 2-line block ×4, first 2 shown]
	global_load_b128 v[22:25], v[93:94], off offset:32
	s_wait_loadcnt 0xc
	v_fma_f64 v[83:84], v[91:92], v[39:40], v[26:27]
	v_fma_f64 v[85:86], v[95:96], v[39:40], v[28:29]
	v_fma_f64 v[87:88], v[97:98], v[39:40], v[35:36]
	v_fma_f64 v[89:90], v[99:100], v[39:40], v[37:38]
	v_fma_f64 v[75:76], v[101:102], v[39:40], v[75:76]
	v_fma_f64 v[77:78], v[103:104], v[39:40], v[77:78]
	v_fma_f64 v[79:80], v[105:106], v[39:40], v[79:80]
	v_fma_f64 v[39:40], v[107:108], v[39:40], v[81:82]
	s_clause 0x1
	global_load_b128 v[26:29], v[11:12], off offset:1120
	global_load_b128 v[35:38], v[11:12], off offset:1136
	s_wait_loadcnt 0xd
	v_cvt_f64_f32_e32 v[81:82], v43
	v_cvt_f64_f32_e32 v[109:110], v44
	;; [unrolled: 1-line block ×4, first 2 shown]
	s_wait_loadcnt 0xc
	v_cvt_f64_f32_e32 v[115:116], v47
	v_cvt_f64_f32_e32 v[117:118], v48
	;; [unrolled: 1-line block ×4, first 2 shown]
	v_fma_f64 v[43:44], -v[95:96], v[41:42], v[83:84]
	v_fma_f64 v[45:46], v[91:92], v[41:42], v[85:86]
	v_fma_f64 v[47:48], -v[99:100], v[41:42], v[87:88]
	v_fma_f64 v[49:50], v[97:98], v[41:42], v[89:90]
	;; [unrolled: 2-line block ×4, first 2 shown]
	global_load_b128 v[39:42], v[93:94], off offset:48
	s_wait_loadcnt 0xb
	v_cvt_f64_f32_e32 v[93:94], v56
	v_cvt_f64_f32_e32 v[95:96], v57
	;; [unrolled: 1-line block ×3, first 2 shown]
	v_fma_f64 v[85:86], v[81:82], v[51:52], v[43:44]
	v_fma_f64 v[87:88], v[109:110], v[51:52], v[45:46]
	;; [unrolled: 1-line block ×8, first 2 shown]
	s_clause 0x1
	global_load_b128 v[43:46], v[11:12], off offset:1536
	global_load_b128 v[47:50], v[11:12], off offset:1552
	v_cvt_f64_f32_e32 v[83:84], v55
	v_lshlrev_b32_e32 v55, 2, v10
	s_delay_alu instid0(VALU_DEP_1)
	v_ashrrev_i32_e32 v56, 31, v55
	s_wait_loadcnt 0xc
	v_cvt_f64_f32_e32 v[99:100], v59
	v_cvt_f64_f32_e32 v[101:102], v60
	;; [unrolled: 1-line block ×4, first 2 shown]
	v_fma_f64 v[57:58], -v[109:110], v[53:54], v[85:86]
	v_fma_f64 v[59:60], v[81:82], v[53:54], v[87:88]
	v_fma_f64 v[61:62], -v[113:114], v[53:54], v[89:90]
	v_fma_f64 v[81:82], v[111:112], v[53:54], v[91:92]
	;; [unrolled: 2-line block ×4, first 2 shown]
	v_lshlrev_b64_e32 v[51:52], 4, v[55:56]
	s_delay_alu instid0(VALU_DEP_1) | instskip(SKIP_1) | instid1(VALU_DEP_2)
	v_add_co_u32 v87, vcc_lo, s4, v51
	s_wait_alu 0xfffd
	v_add_co_ci_u32_e64 v88, null, s5, v52, vcc_lo
	v_cmp_ge_i32_e32 vcc_lo, v9, v34
	global_load_b128 v[51:54], v[87:88], off
	s_wait_alu 0xfffe
	s_or_b32 s7, vcc_lo, s7
	s_wait_loadcnt 0xc
	v_fma_f64 v[89:90], v[83:84], v[63:64], v[57:58]
	v_fma_f64 v[91:92], v[93:94], v[63:64], v[59:60]
	;; [unrolled: 1-line block ×8, first 2 shown]
	s_clause 0x1
	global_load_b128 v[55:58], v[11:12], off offset:1568
	global_load_b128 v[59:62], v[11:12], off offset:1584
	s_wait_loadcnt 0xd
	v_cvt_f64_f32_e32 v[85:86], v67
	v_cvt_f64_f32_e32 v[109:110], v68
	;; [unrolled: 1-line block ×4, first 2 shown]
	s_wait_loadcnt 0xc
	v_cvt_f64_f32_e32 v[115:116], v71
	v_cvt_f64_f32_e32 v[117:118], v72
	;; [unrolled: 1-line block ×4, first 2 shown]
	v_fma_f64 v[67:68], -v[93:94], v[65:66], v[89:90]
	v_fma_f64 v[69:70], v[83:84], v[65:66], v[91:92]
	v_fma_f64 v[71:72], -v[97:98], v[65:66], v[107:108]
	v_fma_f64 v[73:74], v[95:96], v[65:66], v[81:82]
	;; [unrolled: 2-line block ×4, first 2 shown]
	global_load_b128 v[63:66], v[87:88], off offset:16
	s_wait_loadcnt 0xc
	v_fma_f64 v[83:84], v[85:86], v[13:14], v[67:68]
	v_fma_f64 v[89:90], v[109:110], v[13:14], v[69:70]
	;; [unrolled: 1-line block ×8, first 2 shown]
	s_clause 0x1
	global_load_b128 v[67:70], v[11:12], off offset:1600
	global_load_b128 v[71:74], v[11:12], off offset:1616
	s_wait_loadcnt 0xd
	v_cvt_f64_f32_e32 v[81:82], v17
	v_cvt_f64_f32_e32 v[95:96], v18
	v_cvt_f64_f32_e32 v[97:98], v19
	v_cvt_f64_f32_e32 v[99:100], v20
	s_wait_loadcnt 0xc
	v_cvt_f64_f32_e32 v[101:102], v30
	v_cvt_f64_f32_e32 v[103:104], v31
	;; [unrolled: 1-line block ×4, first 2 shown]
	v_fma_f64 v[17:18], -v[109:110], v[15:16], v[83:84]
	v_fma_f64 v[19:20], v[85:86], v[15:16], v[89:90]
	v_fma_f64 v[30:31], -v[113:114], v[15:16], v[91:92]
	v_fma_f64 v[32:33], v[111:112], v[15:16], v[93:94]
	;; [unrolled: 2-line block ×4, first 2 shown]
	global_load_b128 v[13:16], v[87:88], off offset:32
	s_wait_loadcnt 0xc
	v_fma_f64 v[85:86], v[81:82], v[22:23], v[17:18]
	v_fma_f64 v[89:90], v[95:96], v[22:23], v[19:20]
	;; [unrolled: 1-line block ×8, first 2 shown]
	s_clause 0x1
	global_load_b128 v[17:20], v[11:12], off offset:1632
	global_load_b128 v[30:33], v[11:12], off offset:1648
	v_add_co_u32 v11, s2, 0x800, v11
	s_wait_alu 0xf1ff
	v_add_co_ci_u32_e64 v12, null, 0, v12, s2
	s_wait_loadcnt 0xd
	v_cvt_f64_f32_e32 v[83:84], v26
	v_cvt_f64_f32_e32 v[26:27], v27
	;; [unrolled: 1-line block ×4, first 2 shown]
	s_wait_loadcnt 0xc
	v_cvt_f64_f32_e32 v[111:112], v35
	v_cvt_f64_f32_e32 v[113:114], v36
	;; [unrolled: 1-line block ×4, first 2 shown]
	global_load_b128 v[35:38], v[87:88], off offset:48
	v_fma_f64 v[85:86], -v[95:96], v[24:25], v[85:86]
	v_fma_f64 v[81:82], v[81:82], v[24:25], v[89:90]
	v_fma_f64 v[89:90], -v[99:100], v[24:25], v[91:92]
	v_fma_f64 v[91:92], v[97:98], v[24:25], v[93:94]
	v_fma_f64 v[75:76], -v[103:104], v[24:25], v[75:76]
	v_fma_f64 v[77:78], v[101:102], v[24:25], v[77:78]
	v_fma_f64 v[79:80], -v[107:108], v[24:25], v[79:80]
	v_fma_f64 v[22:23], v[105:106], v[24:25], v[22:23]
	s_wait_loadcnt 0xc
	v_fma_f64 v[24:25], v[83:84], v[39:40], v[85:86]
	v_fma_f64 v[81:82], v[26:27], v[39:40], v[81:82]
	v_fma_f64 v[85:86], v[109:110], v[39:40], v[89:90]
	v_fma_f64 v[87:88], v[28:29], v[39:40], v[91:92]
	v_fma_f64 v[75:76], v[111:112], v[39:40], v[75:76]
	v_fma_f64 v[77:78], v[113:114], v[39:40], v[77:78]
	v_fma_f64 v[79:80], v[115:116], v[39:40], v[79:80]
	v_fma_f64 v[22:23], v[117:118], v[39:40], v[22:23]
	s_wait_loadcnt 0xb
	v_cvt_f64_f32_e32 v[39:40], v43
	v_cvt_f64_f32_e32 v[43:44], v44
	v_cvt_f64_f32_e32 v[89:90], v45
	v_cvt_f64_f32_e32 v[45:46], v46
	s_wait_loadcnt 0xa
	v_cvt_f64_f32_e32 v[91:92], v47
	v_cvt_f64_f32_e32 v[47:48], v48
	v_cvt_f64_f32_e32 v[93:94], v49
	v_cvt_f64_f32_e32 v[49:50], v50
	v_fma_f64 v[24:25], -v[26:27], v[41:42], v[24:25]
	v_fma_f64 v[26:27], v[83:84], v[41:42], v[81:82]
	v_fma_f64 v[28:29], -v[28:29], v[41:42], v[85:86]
	v_fma_f64 v[81:82], v[109:110], v[41:42], v[87:88]
	v_fma_f64 v[75:76], -v[113:114], v[41:42], v[75:76]
	v_fma_f64 v[77:78], v[111:112], v[41:42], v[77:78]
	v_fma_f64 v[79:80], -v[117:118], v[41:42], v[79:80]
	v_fma_f64 v[22:23], v[115:116], v[41:42], v[22:23]
	s_wait_loadcnt 0x9
	v_fma_f64 v[24:25], v[39:40], v[51:52], v[24:25]
	v_fma_f64 v[26:27], v[43:44], v[51:52], v[26:27]
	v_fma_f64 v[28:29], v[89:90], v[51:52], v[28:29]
	v_fma_f64 v[41:42], v[45:46], v[51:52], v[81:82]
	v_fma_f64 v[75:76], v[91:92], v[51:52], v[75:76]
	v_fma_f64 v[77:78], v[47:48], v[51:52], v[77:78]
	v_fma_f64 v[79:80], v[93:94], v[51:52], v[79:80]
	v_fma_f64 v[22:23], v[49:50], v[51:52], v[22:23]
	s_wait_loadcnt 0x8
	v_cvt_f64_f32_e32 v[51:52], v55
	v_cvt_f64_f32_e32 v[55:56], v56
	v_cvt_f64_f32_e32 v[81:82], v57
	v_cvt_f64_f32_e32 v[57:58], v58
	s_wait_loadcnt 0x7
	v_cvt_f64_f32_e32 v[83:84], v59
	v_cvt_f64_f32_e32 v[59:60], v60
	v_cvt_f64_f32_e32 v[85:86], v61
	v_cvt_f64_f32_e32 v[61:62], v62
	;; [unrolled: 27-line block ×4, first 2 shown]
	v_fma_f64 v[19:20], -v[49:50], v[15:16], v[24:25]
	v_fma_f64 v[24:25], v[47:48], v[15:16], v[26:27]
	v_fma_f64 v[26:27], -v[63:64], v[15:16], v[28:29]
	v_fma_f64 v[28:29], v[53:54], v[15:16], v[39:40]
	v_fma_f64 v[39:40], -v[69:70], v[15:16], v[41:42]
	v_fma_f64 v[41:42], v[67:68], v[15:16], v[43:44]
	v_fma_f64 v[43:44], -v[73:74], v[15:16], v[45:46]
	v_fma_f64 v[13:14], v[71:72], v[15:16], v[13:14]
	s_wait_loadcnt 0x0
	v_fma_f64 v[15:16], v[22:23], v[35:36], v[19:20]
	v_fma_f64 v[24:25], v[17:18], v[35:36], v[24:25]
	v_fma_f64 v[26:27], v[51:52], v[35:36], v[26:27]
	v_fma_f64 v[28:29], v[55:56], v[35:36], v[28:29]
	v_fma_f64 v[39:40], v[57:58], v[35:36], v[39:40]
	v_fma_f64 v[41:42], v[30:31], v[35:36], v[41:42]
	v_fma_f64 v[43:44], v[59:60], v[35:36], v[43:44]
	v_fma_f64 v[35:36], v[32:33], v[35:36], v[13:14]
	v_fma_f64 v[19:20], -v[17:18], v[37:38], v[15:16]
	v_fma_f64 v[13:14], v[22:23], v[37:38], v[24:25]
	v_fma_f64 v[24:25], -v[55:56], v[37:38], v[26:27]
	v_fma_f64 v[17:18], v[51:52], v[37:38], v[28:29]
	;; [unrolled: 2-line block ×4, first 2 shown]
	s_wait_alu 0xfffe
	s_and_not1_b32 exec_lo, exec_lo, s7
	s_cbranch_execnz .LBB165_31
; %bb.32:
	s_or_b32 exec_lo, exec_lo, s7
.LBB165_33:
	s_wait_alu 0xfffe
	s_or_b32 exec_lo, exec_lo, s6
.LBB165_34:
	s_wait_alu 0xfffe
	s_or_b32 exec_lo, exec_lo, s3
.LBB165_35:
	v_mbcnt_lo_u32_b32 v44, -1, 0
	s_delay_alu instid0(VALU_DEP_1) | instskip(NEXT) | instid1(VALU_DEP_1)
	v_xor_b32_e32 v9, 2, v44
	v_cmp_gt_i32_e32 vcc_lo, 32, v9
	s_wait_alu 0xfffd
	v_cndmask_b32_e32 v9, v44, v9, vcc_lo
	s_delay_alu instid0(VALU_DEP_1)
	v_lshlrev_b32_e32 v30, 2, v9
	ds_bpermute_b32 v9, v30, v19
	ds_bpermute_b32 v10, v30, v20
	;; [unrolled: 1-line block ×16, first 2 shown]
	s_wait_dscnt 0xe
	v_add_f64_e32 v[9:10], v[19:20], v[9:10]
	s_wait_dscnt 0xc
	v_add_f64_e32 v[30:31], v[13:14], v[11:12]
	;; [unrolled: 2-line block ×8, first 2 shown]
	v_xor_b32_e32 v22, 1, v44
	s_delay_alu instid0(VALU_DEP_1) | instskip(SKIP_3) | instid1(VALU_DEP_2)
	v_cmp_gt_i32_e32 vcc_lo, 32, v22
	s_wait_alu 0xfffd
	v_cndmask_b32_e32 v22, v44, v22, vcc_lo
	v_cmp_eq_u32_e32 vcc_lo, 3, v0
	v_lshlrev_b32_e32 v35, 2, v22
	ds_bpermute_b32 v22, v35, v9
	ds_bpermute_b32 v23, v35, v10
	;; [unrolled: 1-line block ×16, first 2 shown]
	s_and_b32 exec_lo, exec_lo, vcc_lo
	s_cbranch_execz .LBB165_8
; %bb.36:
	s_wait_dscnt 0xc
	v_add_f64_e32 v[30:31], v[30:31], v[40:41]
	s_wait_dscnt 0x8
	v_add_f64_e32 v[24:25], v[24:25], v[38:39]
	;; [unrolled: 2-line block ×4, first 2 shown]
	v_add_f64_e32 v[9:10], v[9:10], v[22:23]
	v_add_f64_e32 v[11:12], v[11:12], v[26:27]
	;; [unrolled: 1-line block ×4, first 2 shown]
	v_cmp_eq_f64_e32 vcc_lo, 0, v[1:2]
	v_cmp_eq_f64_e64 s2, 0, v[3:4]
	s_load_b64 s[0:1], s[0:1], 0x60
	v_lshlrev_b32_e32 v21, 2, v21
	v_mul_f64_e64 v[13:14], v[30:31], -v[7:8]
	v_mul_f64_e32 v[15:16], v[5:6], v[30:31]
	v_mul_f64_e64 v[28:29], v[24:25], -v[7:8]
	v_mul_f64_e32 v[24:25], v[5:6], v[24:25]
	;; [unrolled: 2-line block ×4, first 2 shown]
	s_and_b32 s2, vcc_lo, s2
	v_fma_f64 v[17:18], v[5:6], v[9:10], v[13:14]
	v_fma_f64 v[19:20], v[7:8], v[9:10], v[15:16]
	;; [unrolled: 1-line block ×8, first 2 shown]
	s_wait_alu 0xfffe
	s_and_saveexec_b32 s3, s2
	s_wait_alu 0xfffe
	s_xor_b32 s2, exec_lo, s3
	s_cbranch_execz .LBB165_38
; %bb.37:
	v_ashrrev_i32_e32 v22, 31, v21
	s_delay_alu instid0(VALU_DEP_1) | instskip(SKIP_1) | instid1(VALU_DEP_1)
	v_lshlrev_b64_e32 v[0:1], 4, v[21:22]
                                        ; implicit-def: $vgpr21
	s_wait_kmcnt 0x0
	v_add_co_u32 v0, vcc_lo, s0, v0
	s_wait_alu 0xfffd
	s_delay_alu instid0(VALU_DEP_2)
	v_add_co_ci_u32_e64 v1, null, s1, v1, vcc_lo
	s_clause 0x3
	global_store_b128 v[0:1], v[17:20], off
	global_store_b128 v[0:1], v[13:16], off offset:16
	global_store_b128 v[0:1], v[9:12], off offset:32
	;; [unrolled: 1-line block ×3, first 2 shown]
                                        ; implicit-def: $vgpr3_vgpr4
                                        ; implicit-def: $vgpr17_vgpr18
                                        ; implicit-def: $vgpr13_vgpr14
                                        ; implicit-def: $vgpr9_vgpr10
                                        ; implicit-def: $vgpr5_vgpr6
.LBB165_38:
	s_wait_alu 0xfffe
	s_and_not1_saveexec_b32 s2, s2
	s_cbranch_execz .LBB165_8
; %bb.39:
	v_ashrrev_i32_e32 v22, 31, v21
	s_delay_alu instid0(VALU_DEP_1) | instskip(SKIP_1) | instid1(VALU_DEP_1)
	v_lshlrev_b64_e32 v[21:22], 4, v[21:22]
	s_wait_kmcnt 0x0
	v_add_co_u32 v37, vcc_lo, s0, v21
	s_wait_alu 0xfffd
	s_delay_alu instid0(VALU_DEP_2)
	v_add_co_ci_u32_e64 v38, null, s1, v22, vcc_lo
	s_clause 0x3
	global_load_b128 v[21:24], v[37:38], off
	global_load_b128 v[25:28], v[37:38], off offset:16
	global_load_b128 v[29:32], v[37:38], off offset:32
	;; [unrolled: 1-line block ×3, first 2 shown]
	s_wait_loadcnt 0x3
	v_fma_f64 v[17:18], v[1:2], v[21:22], v[17:18]
	v_fma_f64 v[19:20], v[3:4], v[21:22], v[19:20]
	s_wait_loadcnt 0x2
	v_fma_f64 v[13:14], v[1:2], v[25:26], v[13:14]
	v_fma_f64 v[15:16], v[3:4], v[25:26], v[15:16]
	;; [unrolled: 3-line block ×4, first 2 shown]
	v_fma_f64 v[5:6], -v[3:4], v[23:24], v[17:18]
	v_fma_f64 v[7:8], v[1:2], v[23:24], v[19:20]
	v_fma_f64 v[9:10], -v[3:4], v[27:28], v[13:14]
	v_fma_f64 v[11:12], v[1:2], v[27:28], v[15:16]
	;; [unrolled: 2-line block ×4, first 2 shown]
	s_clause 0x3
	global_store_b128 v[37:38], v[5:8], off
	global_store_b128 v[37:38], v[9:12], off offset:16
	global_store_b128 v[37:38], v[13:16], off offset:32
	;; [unrolled: 1-line block ×3, first 2 shown]
	s_nop 0
	s_sendmsg sendmsg(MSG_DEALLOC_VGPRS)
	s_endpgm
	.section	.rodata,"a",@progbits
	.p2align	6, 0x0
	.amdhsa_kernel _ZN9rocsparseL18bsrxmvn_4x4_kernelILj128ELj4E21rocsparse_complex_numIdEiiS1_IfES2_S2_EEvT3_20rocsparse_direction_NS_24const_host_device_scalarIT1_EES4_PKS4_PKT2_SD_SA_PKT4_PKT5_S8_PT6_21rocsparse_index_base_b
		.amdhsa_group_segment_fixed_size 0
		.amdhsa_private_segment_fixed_size 0
		.amdhsa_kernarg_size 112
		.amdhsa_user_sgpr_count 2
		.amdhsa_user_sgpr_dispatch_ptr 0
		.amdhsa_user_sgpr_queue_ptr 0
		.amdhsa_user_sgpr_kernarg_segment_ptr 1
		.amdhsa_user_sgpr_dispatch_id 0
		.amdhsa_user_sgpr_private_segment_size 0
		.amdhsa_wavefront_size32 1
		.amdhsa_uses_dynamic_stack 0
		.amdhsa_enable_private_segment 0
		.amdhsa_system_sgpr_workgroup_id_x 1
		.amdhsa_system_sgpr_workgroup_id_y 0
		.amdhsa_system_sgpr_workgroup_id_z 0
		.amdhsa_system_sgpr_workgroup_info 0
		.amdhsa_system_vgpr_workitem_id 0
		.amdhsa_next_free_vgpr 129
		.amdhsa_next_free_sgpr 14
		.amdhsa_reserve_vcc 1
		.amdhsa_float_round_mode_32 0
		.amdhsa_float_round_mode_16_64 0
		.amdhsa_float_denorm_mode_32 3
		.amdhsa_float_denorm_mode_16_64 3
		.amdhsa_fp16_overflow 0
		.amdhsa_workgroup_processor_mode 1
		.amdhsa_memory_ordered 1
		.amdhsa_forward_progress 1
		.amdhsa_inst_pref_size 92
		.amdhsa_round_robin_scheduling 0
		.amdhsa_exception_fp_ieee_invalid_op 0
		.amdhsa_exception_fp_denorm_src 0
		.amdhsa_exception_fp_ieee_div_zero 0
		.amdhsa_exception_fp_ieee_overflow 0
		.amdhsa_exception_fp_ieee_underflow 0
		.amdhsa_exception_fp_ieee_inexact 0
		.amdhsa_exception_int_div_zero 0
	.end_amdhsa_kernel
	.section	.text._ZN9rocsparseL18bsrxmvn_4x4_kernelILj128ELj4E21rocsparse_complex_numIdEiiS1_IfES2_S2_EEvT3_20rocsparse_direction_NS_24const_host_device_scalarIT1_EES4_PKS4_PKT2_SD_SA_PKT4_PKT5_S8_PT6_21rocsparse_index_base_b,"axG",@progbits,_ZN9rocsparseL18bsrxmvn_4x4_kernelILj128ELj4E21rocsparse_complex_numIdEiiS1_IfES2_S2_EEvT3_20rocsparse_direction_NS_24const_host_device_scalarIT1_EES4_PKS4_PKT2_SD_SA_PKT4_PKT5_S8_PT6_21rocsparse_index_base_b,comdat
.Lfunc_end165:
	.size	_ZN9rocsparseL18bsrxmvn_4x4_kernelILj128ELj4E21rocsparse_complex_numIdEiiS1_IfES2_S2_EEvT3_20rocsparse_direction_NS_24const_host_device_scalarIT1_EES4_PKS4_PKT2_SD_SA_PKT4_PKT5_S8_PT6_21rocsparse_index_base_b, .Lfunc_end165-_ZN9rocsparseL18bsrxmvn_4x4_kernelILj128ELj4E21rocsparse_complex_numIdEiiS1_IfES2_S2_EEvT3_20rocsparse_direction_NS_24const_host_device_scalarIT1_EES4_PKS4_PKT2_SD_SA_PKT4_PKT5_S8_PT6_21rocsparse_index_base_b
                                        ; -- End function
	.set _ZN9rocsparseL18bsrxmvn_4x4_kernelILj128ELj4E21rocsparse_complex_numIdEiiS1_IfES2_S2_EEvT3_20rocsparse_direction_NS_24const_host_device_scalarIT1_EES4_PKS4_PKT2_SD_SA_PKT4_PKT5_S8_PT6_21rocsparse_index_base_b.num_vgpr, 129
	.set _ZN9rocsparseL18bsrxmvn_4x4_kernelILj128ELj4E21rocsparse_complex_numIdEiiS1_IfES2_S2_EEvT3_20rocsparse_direction_NS_24const_host_device_scalarIT1_EES4_PKS4_PKT2_SD_SA_PKT4_PKT5_S8_PT6_21rocsparse_index_base_b.num_agpr, 0
	.set _ZN9rocsparseL18bsrxmvn_4x4_kernelILj128ELj4E21rocsparse_complex_numIdEiiS1_IfES2_S2_EEvT3_20rocsparse_direction_NS_24const_host_device_scalarIT1_EES4_PKS4_PKT2_SD_SA_PKT4_PKT5_S8_PT6_21rocsparse_index_base_b.numbered_sgpr, 14
	.set _ZN9rocsparseL18bsrxmvn_4x4_kernelILj128ELj4E21rocsparse_complex_numIdEiiS1_IfES2_S2_EEvT3_20rocsparse_direction_NS_24const_host_device_scalarIT1_EES4_PKS4_PKT2_SD_SA_PKT4_PKT5_S8_PT6_21rocsparse_index_base_b.num_named_barrier, 0
	.set _ZN9rocsparseL18bsrxmvn_4x4_kernelILj128ELj4E21rocsparse_complex_numIdEiiS1_IfES2_S2_EEvT3_20rocsparse_direction_NS_24const_host_device_scalarIT1_EES4_PKS4_PKT2_SD_SA_PKT4_PKT5_S8_PT6_21rocsparse_index_base_b.private_seg_size, 0
	.set _ZN9rocsparseL18bsrxmvn_4x4_kernelILj128ELj4E21rocsparse_complex_numIdEiiS1_IfES2_S2_EEvT3_20rocsparse_direction_NS_24const_host_device_scalarIT1_EES4_PKS4_PKT2_SD_SA_PKT4_PKT5_S8_PT6_21rocsparse_index_base_b.uses_vcc, 1
	.set _ZN9rocsparseL18bsrxmvn_4x4_kernelILj128ELj4E21rocsparse_complex_numIdEiiS1_IfES2_S2_EEvT3_20rocsparse_direction_NS_24const_host_device_scalarIT1_EES4_PKS4_PKT2_SD_SA_PKT4_PKT5_S8_PT6_21rocsparse_index_base_b.uses_flat_scratch, 0
	.set _ZN9rocsparseL18bsrxmvn_4x4_kernelILj128ELj4E21rocsparse_complex_numIdEiiS1_IfES2_S2_EEvT3_20rocsparse_direction_NS_24const_host_device_scalarIT1_EES4_PKS4_PKT2_SD_SA_PKT4_PKT5_S8_PT6_21rocsparse_index_base_b.has_dyn_sized_stack, 0
	.set _ZN9rocsparseL18bsrxmvn_4x4_kernelILj128ELj4E21rocsparse_complex_numIdEiiS1_IfES2_S2_EEvT3_20rocsparse_direction_NS_24const_host_device_scalarIT1_EES4_PKS4_PKT2_SD_SA_PKT4_PKT5_S8_PT6_21rocsparse_index_base_b.has_recursion, 0
	.set _ZN9rocsparseL18bsrxmvn_4x4_kernelILj128ELj4E21rocsparse_complex_numIdEiiS1_IfES2_S2_EEvT3_20rocsparse_direction_NS_24const_host_device_scalarIT1_EES4_PKS4_PKT2_SD_SA_PKT4_PKT5_S8_PT6_21rocsparse_index_base_b.has_indirect_call, 0
	.section	.AMDGPU.csdata,"",@progbits
; Kernel info:
; codeLenInByte = 11668
; TotalNumSgprs: 16
; NumVgprs: 129
; ScratchSize: 0
; MemoryBound: 0
; FloatMode: 240
; IeeeMode: 1
; LDSByteSize: 0 bytes/workgroup (compile time only)
; SGPRBlocks: 0
; VGPRBlocks: 16
; NumSGPRsForWavesPerEU: 16
; NumVGPRsForWavesPerEU: 129
; Occupancy: 10
; WaveLimiterHint : 1
; COMPUTE_PGM_RSRC2:SCRATCH_EN: 0
; COMPUTE_PGM_RSRC2:USER_SGPR: 2
; COMPUTE_PGM_RSRC2:TRAP_HANDLER: 0
; COMPUTE_PGM_RSRC2:TGID_X_EN: 1
; COMPUTE_PGM_RSRC2:TGID_Y_EN: 0
; COMPUTE_PGM_RSRC2:TGID_Z_EN: 0
; COMPUTE_PGM_RSRC2:TIDIG_COMP_CNT: 0
	.section	.text._ZN9rocsparseL18bsrxmvn_4x4_kernelILj128ELj8E21rocsparse_complex_numIdEiiS1_IfES2_S2_EEvT3_20rocsparse_direction_NS_24const_host_device_scalarIT1_EES4_PKS4_PKT2_SD_SA_PKT4_PKT5_S8_PT6_21rocsparse_index_base_b,"axG",@progbits,_ZN9rocsparseL18bsrxmvn_4x4_kernelILj128ELj8E21rocsparse_complex_numIdEiiS1_IfES2_S2_EEvT3_20rocsparse_direction_NS_24const_host_device_scalarIT1_EES4_PKS4_PKT2_SD_SA_PKT4_PKT5_S8_PT6_21rocsparse_index_base_b,comdat
	.globl	_ZN9rocsparseL18bsrxmvn_4x4_kernelILj128ELj8E21rocsparse_complex_numIdEiiS1_IfES2_S2_EEvT3_20rocsparse_direction_NS_24const_host_device_scalarIT1_EES4_PKS4_PKT2_SD_SA_PKT4_PKT5_S8_PT6_21rocsparse_index_base_b ; -- Begin function _ZN9rocsparseL18bsrxmvn_4x4_kernelILj128ELj8E21rocsparse_complex_numIdEiiS1_IfES2_S2_EEvT3_20rocsparse_direction_NS_24const_host_device_scalarIT1_EES4_PKS4_PKT2_SD_SA_PKT4_PKT5_S8_PT6_21rocsparse_index_base_b
	.p2align	8
	.type	_ZN9rocsparseL18bsrxmvn_4x4_kernelILj128ELj8E21rocsparse_complex_numIdEiiS1_IfES2_S2_EEvT3_20rocsparse_direction_NS_24const_host_device_scalarIT1_EES4_PKS4_PKT2_SD_SA_PKT4_PKT5_S8_PT6_21rocsparse_index_base_b,@function
_ZN9rocsparseL18bsrxmvn_4x4_kernelILj128ELj8E21rocsparse_complex_numIdEiiS1_IfES2_S2_EEvT3_20rocsparse_direction_NS_24const_host_device_scalarIT1_EES4_PKS4_PKT2_SD_SA_PKT4_PKT5_S8_PT6_21rocsparse_index_base_b: ; @_ZN9rocsparseL18bsrxmvn_4x4_kernelILj128ELj8E21rocsparse_complex_numIdEiiS1_IfES2_S2_EEvT3_20rocsparse_direction_NS_24const_host_device_scalarIT1_EES4_PKS4_PKT2_SD_SA_PKT4_PKT5_S8_PT6_21rocsparse_index_base_b
; %bb.0:
	s_clause 0x1
	s_load_b64 s[12:13], s[0:1], 0x68
	s_load_b64 s[2:3], s[0:1], 0x8
	s_add_nc_u64 s[4:5], s[0:1], 8
	s_load_b64 s[6:7], s[0:1], 0x50
	s_wait_kmcnt 0x0
	s_bitcmp1_b32 s13, 0
	s_cselect_b32 s2, s4, s2
	s_cselect_b32 s3, s5, s3
	s_delay_alu instid0(SALU_CYCLE_1)
	v_dual_mov_b32 v1, s2 :: v_dual_mov_b32 v2, s3
	s_add_nc_u64 s[2:3], s[0:1], 0x50
	s_wait_alu 0xfffe
	s_cselect_b32 s2, s2, s6
	s_cselect_b32 s3, s3, s7
	flat_load_b128 v[5:8], v[1:2]
	s_wait_alu 0xfffe
	v_dual_mov_b32 v1, s2 :: v_dual_mov_b32 v2, s3
	flat_load_b128 v[1:4], v[1:2]
	s_wait_loadcnt_dscnt 0x101
	v_cmp_eq_f64_e32 vcc_lo, 0, v[5:6]
	v_cmp_eq_f64_e64 s2, 0, v[7:8]
	s_and_b32 s4, vcc_lo, s2
	s_mov_b32 s2, -1
	s_and_saveexec_b32 s3, s4
	s_cbranch_execz .LBB166_2
; %bb.1:
	s_wait_loadcnt_dscnt 0x0
	v_cmp_neq_f64_e32 vcc_lo, 1.0, v[1:2]
	v_cmp_neq_f64_e64 s2, 0, v[3:4]
	s_wait_alu 0xfffe
	s_or_b32 s2, vcc_lo, s2
	s_wait_alu 0xfffe
	s_or_not1_b32 s2, s2, exec_lo
.LBB166_2:
	s_wait_alu 0xfffe
	s_or_b32 exec_lo, exec_lo, s3
	s_and_saveexec_b32 s3, s2
	s_cbranch_execz .LBB166_8
; %bb.3:
	s_clause 0x1
	s_load_b64 s[4:5], s[0:1], 0x20
	s_load_b64 s[2:3], s[0:1], 0x0
	v_lshrrev_b32_e32 v9, 3, v0
	s_delay_alu instid0(VALU_DEP_1)
	v_lshl_or_b32 v21, ttmp9, 4, v9
	s_wait_kmcnt 0x0
	s_cmp_lg_u64 s[4:5], 0
	s_cbranch_scc0 .LBB166_9
; %bb.4:
	s_load_b32 s6, s[0:1], 0x18
	s_mov_b32 s7, 0
                                        ; implicit-def: $vgpr9
	s_wait_kmcnt 0x0
	v_cmp_gt_i32_e32 vcc_lo, s6, v21
	s_mov_b32 s6, 0
	s_and_saveexec_b32 s8, vcc_lo
	s_delay_alu instid0(SALU_CYCLE_1)
	s_xor_b32 s8, exec_lo, s8
	s_cbranch_execz .LBB166_6
; %bb.5:
	v_ashrrev_i32_e32 v22, 31, v21
	s_mov_b32 s6, exec_lo
	s_delay_alu instid0(VALU_DEP_1) | instskip(NEXT) | instid1(VALU_DEP_1)
	v_lshlrev_b64_e32 v[9:10], 2, v[21:22]
	v_add_co_u32 v9, vcc_lo, s4, v9
	s_delay_alu instid0(VALU_DEP_1)
	v_add_co_ci_u32_e64 v10, null, s5, v10, vcc_lo
	global_load_b32 v9, v[9:10], off
	s_wait_loadcnt 0x0
	v_subrev_nc_u32_e32 v9, s12, v9
.LBB166_6:
	s_or_b32 exec_lo, exec_lo, s8
	s_delay_alu instid0(SALU_CYCLE_1)
	s_and_b32 vcc_lo, exec_lo, s7
	s_wait_alu 0xfffe
	s_cbranch_vccz .LBB166_10
.LBB166_7:
	v_cmp_gt_i32_e32 vcc_lo, s2, v21
	s_and_not1_b32 s2, s6, exec_lo
	s_and_b32 s4, vcc_lo, exec_lo
	s_wait_alu 0xfffe
	s_or_b32 s6, s2, s4
	s_wait_alu 0xfffe
	s_and_b32 exec_lo, exec_lo, s6
	s_cbranch_execnz .LBB166_11
.LBB166_8:
	s_nop 0
	s_sendmsg sendmsg(MSG_DEALLOC_VGPRS)
	s_endpgm
.LBB166_9:
	s_mov_b32 s6, 0
                                        ; implicit-def: $vgpr9
	s_cbranch_execnz .LBB166_7
.LBB166_10:
	v_mov_b32_e32 v21, v9
	s_and_b32 exec_lo, exec_lo, s6
	s_cbranch_execz .LBB166_8
.LBB166_11:
	s_load_b256 s[4:11], s[0:1], 0x28
	s_delay_alu instid0(VALU_DEP_1) | instskip(SKIP_1) | instid1(VALU_DEP_2)
	v_ashrrev_i32_e32 v22, 31, v21
	v_and_b32_e32 v0, 7, v0
	v_lshlrev_b64_e32 v[9:10], 2, v[21:22]
	s_wait_kmcnt 0x0
	s_delay_alu instid0(VALU_DEP_1) | instskip(SKIP_1) | instid1(VALU_DEP_2)
	v_add_co_u32 v11, vcc_lo, s4, v9
	s_wait_alu 0xfffd
	v_add_co_ci_u32_e64 v12, null, s5, v10, vcc_lo
	v_add_co_u32 v9, vcc_lo, s6, v9
	s_wait_alu 0xfffd
	v_add_co_ci_u32_e64 v10, null, s7, v10, vcc_lo
	global_load_b32 v35, v[11:12], off
	v_add_co_u32 v11, vcc_lo, v11, 4
	s_wait_alu 0xfffd
	v_add_co_ci_u32_e64 v12, null, 0, v12, vcc_lo
	s_cmp_eq_u64 s[6:7], 0
	s_load_b64 s[4:5], s[0:1], 0x48
	s_cselect_b32 vcc_lo, -1, 0
	s_cmp_eq_u32 s3, 1
	s_wait_alu 0xfffe
	v_dual_cndmask_b32 v10, v10, v12 :: v_dual_cndmask_b32 v9, v9, v11
	global_load_b32 v13, v[9:10], off
	s_wait_loadcnt 0x1
	v_subrev_nc_u32_e32 v9, s12, v35
	s_delay_alu instid0(VALU_DEP_1) | instskip(NEXT) | instid1(VALU_DEP_1)
	v_add_nc_u32_e32 v9, v9, v0
	v_ashrrev_i32_e32 v10, 31, v9
	s_wait_loadcnt 0x0
	v_subrev_nc_u32_e32 v34, s12, v13
	s_delay_alu instid0(VALU_DEP_2) | instskip(NEXT) | instid1(VALU_DEP_2)
	v_lshlrev_b64_e32 v[11:12], 7, v[9:10]
	v_cmp_lt_i32_e64 s2, v9, v34
	s_delay_alu instid0(VALU_DEP_2) | instskip(SKIP_1) | instid1(VALU_DEP_3)
	v_add_co_u32 v11, vcc_lo, s10, v11
	s_wait_alu 0xfffd
	v_add_co_ci_u32_e64 v12, null, s11, v12, vcc_lo
	s_cbranch_scc1 .LBB166_23
; %bb.12:
	v_dual_mov_b32 v13, 0 :: v_dual_mov_b32 v26, 0
	v_dual_mov_b32 v14, 0 :: v_dual_mov_b32 v19, 0
	;; [unrolled: 1-line block ×5, first 2 shown]
	v_mov_b32_e32 v20, 0
	v_dual_mov_b32 v18, 0 :: v_dual_mov_b32 v25, 0
	v_mov_b32_e32 v29, 0
	v_dual_mov_b32 v23, 0 :: v_dual_mov_b32 v16, 0
	s_and_saveexec_b32 s6, s2
	s_cbranch_execz .LBB166_22
; %bb.13:
	v_dual_mov_b32 v15, 0 :: v_dual_add_nc_u32 v10, v35, v0
	v_mov_b32_e32 v22, 0
	v_not_b32_e32 v13, v35
	v_dual_mov_b32 v26, 0 :: v_dual_mov_b32 v17, 0
	s_delay_alu instid0(VALU_DEP_4) | instskip(SKIP_2) | instid1(VALU_DEP_3)
	v_subrev_nc_u32_e32 v10, s12, v10
	v_mov_b32_e32 v28, 0
	v_dual_mov_b32 v24, 0 :: v_dual_mov_b32 v19, 0
	v_dual_mov_b32 v23, 0 :: v_dual_add_nc_u32 v10, 8, v10
	v_dual_mov_b32 v18, 0 :: v_dual_mov_b32 v33, v12
	v_dual_mov_b32 v16, 0 :: v_dual_mov_b32 v29, 0
	s_delay_alu instid0(VALU_DEP_3) | instskip(SKIP_3) | instid1(VALU_DEP_4)
	v_max_i32_e32 v10, v10, v34
	v_mov_b32_e32 v27, 0
	v_dual_mov_b32 v25, 0 :: v_dual_mov_b32 v20, 0
	v_mov_b32_e32 v32, v11
	v_add3_u32 v10, s12, v10, v13
	v_mov_b32_e32 v13, 0
	v_mov_b32_e32 v14, 0
	s_delay_alu instid0(VALU_DEP_3) | instskip(NEXT) | instid1(VALU_DEP_1)
	v_sub_nc_u32_e32 v10, v10, v0
	v_and_b32_e32 v30, 24, v10
	s_delay_alu instid0(VALU_DEP_1)
	v_cmp_ne_u32_e32 vcc_lo, 24, v30
	v_mov_b32_e32 v30, v9
	s_and_saveexec_b32 s3, vcc_lo
	s_cbranch_execz .LBB166_17
; %bb.14:
	v_lshrrev_b32_e32 v15, 3, v10
	v_dual_mov_b32 v13, 0 :: v_dual_mov_b32 v30, v9
	v_dual_mov_b32 v14, 0 :: v_dual_mov_b32 v19, 0
	s_delay_alu instid0(VALU_DEP_3) | instskip(SKIP_2) | instid1(VALU_DEP_3)
	v_dual_mov_b32 v24, 0 :: v_dual_add_nc_u32 v15, 1, v15
	v_dual_mov_b32 v25, 0 :: v_dual_mov_b32 v26, 0
	v_dual_mov_b32 v27, 0 :: v_dual_mov_b32 v28, 0
	v_dual_mov_b32 v20, 0 :: v_dual_and_b32 v31, 3, v15
	v_mov_b32_e32 v17, 0
	v_dual_mov_b32 v29, 0 :: v_dual_mov_b32 v22, 0
	v_mov_b32_e32 v15, 0
	v_dual_mov_b32 v33, v12 :: v_dual_mov_b32 v18, 0
	v_dual_mov_b32 v23, 0 :: v_dual_mov_b32 v16, 0
	v_sub_nc_u32_e32 v36, 0, v31
	v_mov_b32_e32 v32, v11
	s_mov_b32 s7, 0
.LBB166_15:                             ; =>This Inner Loop Header: Depth=1
	v_ashrrev_i32_e32 v31, 31, v30
	s_delay_alu instid0(VALU_DEP_3) | instskip(SKIP_2) | instid1(VALU_DEP_2)
	v_add_co_u32 v36, s10, v36, 1
	s_wait_alu 0xfffe
	s_or_b32 s7, s10, s7
	v_lshlrev_b64_e32 v[37:38], 2, v[30:31]
	v_add_nc_u32_e32 v30, 8, v30
	s_delay_alu instid0(VALU_DEP_2) | instskip(SKIP_1) | instid1(VALU_DEP_3)
	v_add_co_u32 v37, vcc_lo, s8, v37
	s_wait_alu 0xfffd
	v_add_co_ci_u32_e64 v38, null, s9, v38, vcc_lo
	global_load_b32 v31, v[37:38], off
	s_clause 0x7
	global_load_b128 v[37:40], v[32:33], off
	global_load_b128 v[41:44], v[32:33], off offset:32
	global_load_b128 v[45:48], v[32:33], off offset:64
	;; [unrolled: 1-line block ×7, first 2 shown]
	s_wait_loadcnt 0x8
	v_subrev_nc_u32_e32 v31, s12, v31
	s_wait_loadcnt 0x7
	v_cvt_f64_f32_e32 v[85:86], v37
	v_cvt_f64_f32_e32 v[37:38], v38
	s_wait_loadcnt 0x6
	v_cvt_f64_f32_e32 v[87:88], v41
	v_cvt_f64_f32_e32 v[41:42], v42
	v_lshlrev_b32_e32 v69, 2, v31
	s_wait_loadcnt 0x5
	v_cvt_f64_f32_e32 v[89:90], v45
	v_cvt_f64_f32_e32 v[45:46], v46
	s_wait_loadcnt 0x3
	v_cvt_f64_f32_e32 v[91:92], v53
	v_cvt_f64_f32_e32 v[53:54], v54
	v_ashrrev_i32_e32 v70, 31, v69
	v_cvt_f64_f32_e32 v[93:94], v43
	v_cvt_f64_f32_e32 v[43:44], v44
	;; [unrolled: 1-line block ×4, first 2 shown]
	v_lshlrev_b64_e32 v[69:70], 4, v[69:70]
	v_cvt_f64_f32_e32 v[97:98], v55
	v_cvt_f64_f32_e32 v[55:56], v56
	s_wait_kmcnt 0x0
	s_delay_alu instid0(VALU_DEP_3)
	v_add_co_u32 v81, vcc_lo, s4, v69
	s_wait_alu 0xfffd
	v_add_co_ci_u32_e64 v82, null, s5, v70, vcc_lo
	v_add_co_u32 v32, vcc_lo, 0x400, v32
	s_wait_alu 0xfffd
	v_add_co_ci_u32_e64 v33, null, 0, v33, vcc_lo
	s_clause 0x3
	global_load_b128 v[69:72], v[81:82], off
	global_load_b128 v[73:76], v[81:82], off offset:16
	global_load_b128 v[77:80], v[81:82], off offset:32
	;; [unrolled: 1-line block ×3, first 2 shown]
	s_wait_loadcnt 0x3
	v_fma_f64 v[19:20], v[85:86], v[69:70], v[19:20]
	v_fma_f64 v[13:14], v[37:38], v[69:70], v[13:14]
	;; [unrolled: 1-line block ×8, first 2 shown]
	v_cvt_f64_f32_e32 v[69:70], v39
	v_cvt_f64_f32_e32 v[39:40], v40
	v_fma_f64 v[19:20], -v[37:38], v[71:72], v[19:20]
	v_fma_f64 v[13:14], v[85:86], v[71:72], v[13:14]
	v_fma_f64 v[24:25], -v[41:42], v[71:72], v[24:25]
	v_fma_f64 v[17:18], v[87:88], v[71:72], v[17:18]
	;; [unrolled: 2-line block ×4, first 2 shown]
	v_cvt_f64_f32_e32 v[37:38], v57
	v_cvt_f64_f32_e32 v[41:42], v58
	v_cvt_f64_f32_e32 v[45:46], v49
	v_cvt_f64_f32_e32 v[49:50], v50
	v_cvt_f64_f32_e32 v[53:54], v65
	v_cvt_f64_f32_e32 v[57:58], v66
	v_cvt_f64_f32_e32 v[65:66], v61
	v_cvt_f64_f32_e32 v[61:62], v62
	s_wait_loadcnt 0x2
	v_fma_f64 v[19:20], v[69:70], v[73:74], v[19:20]
	v_fma_f64 v[13:14], v[39:40], v[73:74], v[13:14]
	;; [unrolled: 1-line block ×8, first 2 shown]
	v_fma_f64 v[19:20], -v[39:40], v[75:76], v[19:20]
	v_fma_f64 v[13:14], v[69:70], v[75:76], v[13:14]
	v_fma_f64 v[24:25], -v[43:44], v[75:76], v[24:25]
	v_fma_f64 v[17:18], v[93:94], v[75:76], v[17:18]
	;; [unrolled: 2-line block ×4, first 2 shown]
	v_cvt_f64_f32_e32 v[39:40], v59
	v_cvt_f64_f32_e32 v[43:44], v60
	;; [unrolled: 1-line block ×8, first 2 shown]
	s_wait_loadcnt 0x1
	v_fma_f64 v[19:20], v[37:38], v[77:78], v[19:20]
	v_fma_f64 v[13:14], v[41:42], v[77:78], v[13:14]
	;; [unrolled: 1-line block ×8, first 2 shown]
	v_fma_f64 v[19:20], -v[41:42], v[79:80], v[19:20]
	v_fma_f64 v[13:14], v[37:38], v[79:80], v[13:14]
	v_fma_f64 v[24:25], -v[49:50], v[79:80], v[24:25]
	v_fma_f64 v[17:18], v[45:46], v[79:80], v[17:18]
	;; [unrolled: 2-line block ×4, first 2 shown]
	s_wait_loadcnt 0x0
	v_fma_f64 v[19:20], v[39:40], v[81:82], v[19:20]
	v_fma_f64 v[13:14], v[43:44], v[81:82], v[13:14]
	;; [unrolled: 1-line block ×8, first 2 shown]
	v_fma_f64 v[19:20], -v[43:44], v[83:84], v[19:20]
	v_fma_f64 v[13:14], v[39:40], v[83:84], v[13:14]
	v_fma_f64 v[24:25], -v[51:52], v[83:84], v[24:25]
	v_fma_f64 v[17:18], v[47:48], v[83:84], v[17:18]
	;; [unrolled: 2-line block ×4, first 2 shown]
	s_wait_alu 0xfffe
	s_and_not1_b32 exec_lo, exec_lo, s7
	s_cbranch_execnz .LBB166_15
; %bb.16:
	s_or_b32 exec_lo, exec_lo, s7
.LBB166_17:
	s_wait_alu 0xfffe
	s_or_b32 exec_lo, exec_lo, s3
	s_delay_alu instid0(SALU_CYCLE_1)
	s_mov_b32 s7, exec_lo
	v_cmpx_lt_u32_e32 23, v10
	s_cbranch_execz .LBB166_21
; %bb.18:
	s_mov_b32 s10, 0
.LBB166_19:                             ; =>This Inner Loop Header: Depth=1
	v_ashrrev_i32_e32 v31, 31, v30
	s_delay_alu instid0(VALU_DEP_1) | instskip(SKIP_1) | instid1(VALU_DEP_2)
	v_lshlrev_b64_e32 v[36:37], 2, v[30:31]
	v_add_nc_u32_e32 v30, 32, v30
	v_add_co_u32 v52, vcc_lo, s8, v36
	s_wait_alu 0xfffd
	s_delay_alu instid0(VALU_DEP_3)
	v_add_co_ci_u32_e64 v53, null, s9, v37, vcc_lo
	global_load_b32 v31, v[52:53], off
	s_clause 0x3
	global_load_b128 v[36:39], v[32:33], off
	global_load_b128 v[40:43], v[32:33], off offset:32
	global_load_b128 v[44:47], v[32:33], off offset:64
	;; [unrolled: 1-line block ×3, first 2 shown]
	s_clause 0x2
	global_load_b32 v100, v[52:53], off offset:32
	global_load_b32 v128, v[52:53], off offset:64
	;; [unrolled: 1-line block ×3, first 2 shown]
	s_wait_loadcnt 0x7
	v_subrev_nc_u32_e32 v31, s12, v31
	s_wait_loadcnt 0x6
	v_cvt_f64_f32_e32 v[104:105], v36
	v_cvt_f64_f32_e32 v[36:37], v37
	s_wait_loadcnt 0x5
	v_cvt_f64_f32_e32 v[106:107], v40
	v_cvt_f64_f32_e32 v[40:41], v41
	v_lshlrev_b32_e32 v52, 2, v31
	s_wait_loadcnt 0x2
	v_subrev_nc_u32_e32 v31, s12, v100
	v_cvt_f64_f32_e32 v[108:109], v44
	v_cvt_f64_f32_e32 v[44:45], v45
	;; [unrolled: 1-line block ×3, first 2 shown]
	v_ashrrev_i32_e32 v53, 31, v52
	v_lshlrev_b32_e32 v100, 2, v31
	v_cvt_f64_f32_e32 v[48:49], v49
	v_cvt_f64_f32_e32 v[114:115], v39
	;; [unrolled: 1-line block ×3, first 2 shown]
	v_lshlrev_b64_e32 v[52:53], 4, v[52:53]
	v_ashrrev_i32_e32 v101, 31, v100
	v_cvt_f64_f32_e32 v[42:43], v43
	v_cvt_f64_f32_e32 v[118:119], v46
	;; [unrolled: 1-line block ×4, first 2 shown]
	s_wait_kmcnt 0x0
	v_add_co_u32 v80, vcc_lo, s4, v52
	s_wait_alu 0xfffd
	v_add_co_ci_u32_e64 v81, null, s5, v53, vcc_lo
	v_lshlrev_b64_e32 v[100:101], 4, v[100:101]
	v_cvt_f64_f32_e32 v[50:51], v51
	s_wait_loadcnt 0x1
	v_subrev_nc_u32_e32 v31, s12, v128
	s_clause 0x1
	global_load_b128 v[52:55], v[80:81], off
	global_load_b128 v[56:59], v[80:81], off offset:16
	s_clause 0x3
	global_load_b128 v[60:63], v[32:33], off offset:16
	global_load_b128 v[64:67], v[32:33], off offset:48
	;; [unrolled: 1-line block ×4, first 2 shown]
	s_clause 0x1
	global_load_b128 v[76:79], v[80:81], off offset:32
	global_load_b128 v[80:83], v[80:81], off offset:48
	s_clause 0x3
	global_load_b128 v[84:87], v[32:33], off offset:1024
	global_load_b128 v[88:91], v[32:33], off offset:1056
	;; [unrolled: 1-line block ×4, first 2 shown]
	s_wait_loadcnt 0xc
	v_subrev_nc_u32_e32 v10, s12, v10
	v_add_co_u32 v112, vcc_lo, s4, v100
	s_wait_alu 0xfffd
	v_add_co_ci_u32_e64 v113, null, s5, v101, vcc_lo
	global_load_b128 v[100:103], v[112:113], off
	s_wait_loadcnt 0xc
	v_fma_f64 v[19:20], v[104:105], v[52:53], v[19:20]
	v_fma_f64 v[13:14], v[36:37], v[52:53], v[13:14]
	;; [unrolled: 1-line block ×8, first 2 shown]
	v_cvt_f64_f32_e32 v[52:53], v38
	s_wait_loadcnt 0x9
	v_cvt_f64_f32_e32 v[122:123], v64
	v_cvt_f64_f32_e32 v[64:65], v65
	s_wait_loadcnt 0x8
	v_cvt_f64_f32_e32 v[124:125], v68
	;; [unrolled: 3-line block ×3, first 2 shown]
	v_cvt_f64_f32_e32 v[72:73], v73
	v_fma_f64 v[19:20], -v[36:37], v[54:55], v[19:20]
	v_fma_f64 v[36:37], v[104:105], v[54:55], v[13:14]
	v_fma_f64 v[24:25], -v[40:41], v[54:55], v[24:25]
	v_fma_f64 v[17:18], v[106:107], v[54:55], v[17:18]
	;; [unrolled: 2-line block ×4, first 2 shown]
	global_load_b128 v[13:16], v[112:113], off offset:16
	v_cvt_f64_f32_e32 v[110:111], v60
	v_cvt_f64_f32_e32 v[60:61], v61
	v_fma_f64 v[40:41], v[52:53], v[56:57], v[19:20]
	v_fma_f64 v[44:45], v[114:115], v[56:57], v[36:37]
	;; [unrolled: 1-line block ×8, first 2 shown]
	s_clause 0x3
	global_load_b128 v[17:20], v[32:33], off offset:1040
	global_load_b128 v[22:25], v[32:33], off offset:1072
	;; [unrolled: 1-line block ×4, first 2 shown]
	v_fma_f64 v[114:115], -v[114:115], v[58:59], v[40:41]
	v_fma_f64 v[44:45], v[52:53], v[58:59], v[44:45]
	v_fma_f64 v[48:49], -v[42:43], v[58:59], v[48:49]
	v_fma_f64 v[52:53], v[116:117], v[58:59], v[54:55]
	;; [unrolled: 2-line block ×4, first 2 shown]
	global_load_b128 v[40:43], v[112:113], off offset:32
	v_cvt_f64_f32_e32 v[104:105], v63
	v_cvt_f64_f32_e32 v[106:107], v66
	;; [unrolled: 1-line block ×5, first 2 shown]
	s_wait_loadcnt 0xa
	v_cvt_f64_f32_e32 v[118:119], v84
	v_cvt_f64_f32_e32 v[84:85], v85
	s_wait_loadcnt 0x9
	v_cvt_f64_f32_e32 v[120:121], v88
	v_cvt_f64_f32_e32 v[88:89], v89
	v_fma_f64 v[58:59], v[110:111], v[76:77], v[114:115]
	v_fma_f64 v[44:45], v[60:61], v[76:77], v[44:45]
	;; [unrolled: 1-line block ×8, first 2 shown]
	v_cvt_f64_f32_e32 v[76:77], v62
	v_cvt_f64_f32_e32 v[114:115], v74
	;; [unrolled: 1-line block ×3, first 2 shown]
	v_fma_f64 v[58:59], -v[60:61], v[78:79], v[58:59]
	v_fma_f64 v[60:61], v[110:111], v[78:79], v[44:45]
	v_fma_f64 v[62:63], -v[64:65], v[78:79], v[48:49]
	v_fma_f64 v[64:65], v[122:123], v[78:79], v[52:53]
	;; [unrolled: 2-line block ×4, first 2 shown]
	global_load_b128 v[44:47], v[112:113], off offset:48
	s_clause 0x1
	global_load_b128 v[48:51], v[32:33], off offset:2080
	global_load_b128 v[52:55], v[32:33], off offset:2048
	v_lshlrev_b32_e32 v126, 2, v31
	s_wait_loadcnt 0xb
	v_cvt_f64_f32_e32 v[122:123], v92
	v_cvt_f64_f32_e32 v[92:93], v93
	s_wait_loadcnt 0xa
	v_cvt_f64_f32_e32 v[124:125], v96
	v_cvt_f64_f32_e32 v[96:97], v97
	v_ashrrev_i32_e32 v127, 31, v126
	v_fma_f64 v[78:79], v[76:77], v[80:81], v[58:59]
	v_fma_f64 v[112:113], v[104:105], v[80:81], v[60:61]
	;; [unrolled: 1-line block ×8, first 2 shown]
	s_clause 0x1
	global_load_b128 v[56:59], v[32:33], off offset:2112
	global_load_b128 v[60:63], v[32:33], off offset:2144
	v_fma_f64 v[78:79], -v[104:105], v[82:83], v[78:79]
	v_fma_f64 v[76:77], v[76:77], v[82:83], v[112:113]
	v_fma_f64 v[104:105], -v[66:67], v[82:83], v[116:117]
	v_fma_f64 v[106:107], v[106:107], v[82:83], v[64:65]
	;; [unrolled: 2-line block ×4, first 2 shown]
	v_lshlrev_b64_e32 v[64:65], 4, v[126:127]
	v_cvt_f64_f32_e32 v[110:111], v94
	v_cvt_f64_f32_e32 v[94:95], v95
	;; [unrolled: 1-line block ×4, first 2 shown]
	v_add_co_u32 v108, vcc_lo, s4, v64
	s_wait_alu 0xfffd
	v_add_co_ci_u32_e64 v109, null, s5, v65, vcc_lo
	global_load_b128 v[64:67], v[108:109], off
	s_wait_loadcnt 0xc
	v_fma_f64 v[78:79], v[118:119], v[100:101], v[78:79]
	v_fma_f64 v[76:77], v[84:85], v[100:101], v[76:77]
	;; [unrolled: 1-line block ×8, first 2 shown]
	v_cvt_f64_f32_e32 v[100:101], v86
	v_cvt_f64_f32_e32 v[104:105], v87
	;; [unrolled: 1-line block ×4, first 2 shown]
	v_fma_f64 v[78:79], -v[84:85], v[102:103], v[78:79]
	v_fma_f64 v[76:77], v[118:119], v[102:103], v[76:77]
	v_fma_f64 v[80:81], -v[88:89], v[102:103], v[80:81]
	v_fma_f64 v[82:83], v[120:121], v[102:103], v[82:83]
	;; [unrolled: 2-line block ×4, first 2 shown]
	global_load_b128 v[68:71], v[108:109], off offset:16
	s_wait_loadcnt 0xc
	v_fma_f64 v[88:89], v[100:101], v[13:14], v[78:79]
	v_fma_f64 v[92:93], v[104:105], v[13:14], v[76:77]
	v_fma_f64 v[96:97], v[106:107], v[13:14], v[80:81]
	v_fma_f64 v[102:103], v[90:91], v[13:14], v[82:83]
	v_fma_f64 v[114:115], v[110:111], v[13:14], v[84:85]
	v_fma_f64 v[116:117], v[94:95], v[13:14], v[86:87]
	v_fma_f64 v[118:119], v[112:113], v[13:14], v[72:73]
	v_fma_f64 v[13:14], v[98:99], v[13:14], v[74:75]
	s_clause 0x3
	global_load_b128 v[72:75], v[32:33], off offset:2064
	global_load_b128 v[76:79], v[32:33], off offset:2096
	;; [unrolled: 1-line block ×4, first 2 shown]
	s_wait_loadcnt 0xf
	v_cvt_f64_f32_e32 v[120:121], v17
	v_cvt_f64_f32_e32 v[17:18], v18
	s_wait_loadcnt 0xe
	v_cvt_f64_f32_e32 v[122:123], v22
	v_cvt_f64_f32_e32 v[22:23], v23
	s_wait_loadcnt 0xd
	v_cvt_f64_f32_e32 v[124:125], v26
	v_cvt_f64_f32_e32 v[26:27], v27
	s_wait_loadcnt 0xc
	v_cvt_f64_f32_e32 v[126:127], v36
	v_cvt_f64_f32_e32 v[36:37], v37
	v_fma_f64 v[88:89], -v[104:105], v[15:16], v[88:89]
	v_fma_f64 v[92:93], v[100:101], v[15:16], v[92:93]
	v_fma_f64 v[90:91], -v[90:91], v[15:16], v[96:97]
	v_fma_f64 v[96:97], v[106:107], v[15:16], v[102:103]
	;; [unrolled: 2-line block ×4, first 2 shown]
	global_load_b128 v[13:16], v[108:109], off offset:32
	v_cvt_f64_f32_e32 v[104:105], v20
	v_cvt_f64_f32_e32 v[106:107], v24
	;; [unrolled: 1-line block ×7, first 2 shown]
	s_wait_loadcnt 0xc
	v_fma_f64 v[88:89], v[120:121], v[40:41], v[88:89]
	v_fma_f64 v[92:93], v[17:18], v[40:41], v[92:93]
	;; [unrolled: 1-line block ×8, first 2 shown]
	v_cvt_f64_f32_e32 v[102:103], v19
	v_fma_f64 v[24:25], -v[17:18], v[42:43], v[88:89]
	v_fma_f64 v[28:29], v[120:121], v[42:43], v[92:93]
	v_fma_f64 v[22:23], -v[22:23], v[42:43], v[90:91]
	v_fma_f64 v[38:39], v[122:123], v[42:43], v[96:97]
	;; [unrolled: 2-line block ×4, first 2 shown]
	global_load_b128 v[17:20], v[108:109], off offset:48
	v_lshlrev_b32_e32 v126, 2, v10
	s_delay_alu instid0(VALU_DEP_1)
	v_ashrrev_i32_e32 v127, 31, v126
	s_wait_loadcnt 0xb
	v_cvt_f64_f32_e32 v[120:121], v48
	s_wait_loadcnt 0xa
	v_cvt_f64_f32_e32 v[108:109], v52
	v_cvt_f64_f32_e32 v[52:53], v53
	;; [unrolled: 1-line block ×3, first 2 shown]
	v_fma_f64 v[90:91], v[102:103], v[44:45], v[24:25]
	v_fma_f64 v[92:93], v[104:105], v[44:45], v[28:29]
	;; [unrolled: 1-line block ×8, first 2 shown]
	s_clause 0x3
	global_load_b128 v[22:25], v[32:33], off offset:3072
	global_load_b128 v[26:29], v[32:33], off offset:3104
	;; [unrolled: 1-line block ×4, first 2 shown]
	s_wait_loadcnt 0xd
	v_cvt_f64_f32_e32 v[122:123], v56
	v_cvt_f64_f32_e32 v[56:57], v57
	s_wait_loadcnt 0xc
	v_cvt_f64_f32_e32 v[124:125], v60
	v_cvt_f64_f32_e32 v[60:61], v61
	v_fma_f64 v[90:91], -v[104:105], v[46:47], v[90:91]
	v_fma_f64 v[92:93], v[102:103], v[46:47], v[92:93]
	v_fma_f64 v[94:95], -v[110:111], v[46:47], v[94:95]
	v_fma_f64 v[96:97], v[106:107], v[46:47], v[96:97]
	;; [unrolled: 2-line block ×4, first 2 shown]
	v_lshlrev_b64_e32 v[44:45], 4, v[126:127]
	v_cvt_f64_f32_e32 v[106:107], v55
	v_cvt_f64_f32_e32 v[110:111], v50
	v_cvt_f64_f32_e32 v[112:113], v51
	v_cvt_f64_f32_e32 v[114:115], v58
	v_cvt_f64_f32_e32 v[116:117], v59
	v_add_co_u32 v104, vcc_lo, s4, v44
	s_wait_alu 0xfffd
	v_add_co_ci_u32_e64 v105, null, s5, v45, vcc_lo
	v_cvt_f64_f32_e32 v[118:119], v62
	v_cvt_f64_f32_e32 v[126:127], v63
	v_cmp_ge_i32_e32 vcc_lo, v30, v34
	global_load_b128 v[44:47], v[104:105], off
	s_wait_alu 0xfffe
	s_or_b32 s10, vcc_lo, s10
	s_wait_loadcnt 0xc
	v_fma_f64 v[90:91], v[108:109], v[64:65], v[90:91]
	v_fma_f64 v[92:93], v[52:53], v[64:65], v[92:93]
	;; [unrolled: 1-line block ×8, first 2 shown]
	v_cvt_f64_f32_e32 v[102:103], v54
	v_fma_f64 v[52:53], -v[52:53], v[66:67], v[90:91]
	v_fma_f64 v[54:55], v[108:109], v[66:67], v[92:93]
	v_fma_f64 v[58:59], -v[48:49], v[66:67], v[94:95]
	v_fma_f64 v[62:63], v[120:121], v[66:67], v[96:97]
	;; [unrolled: 2-line block ×4, first 2 shown]
	global_load_b128 v[48:51], v[104:105], off offset:16
	s_wait_loadcnt 0xc
	v_fma_f64 v[90:91], v[102:103], v[68:69], v[52:53]
	v_fma_f64 v[92:93], v[106:107], v[68:69], v[54:55]
	v_fma_f64 v[94:95], v[110:111], v[68:69], v[58:59]
	v_fma_f64 v[96:97], v[112:113], v[68:69], v[62:63]
	v_fma_f64 v[98:99], v[114:115], v[68:69], v[56:57]
	v_fma_f64 v[88:89], v[116:117], v[68:69], v[88:89]
	v_fma_f64 v[100:101], v[118:119], v[68:69], v[60:61]
	v_fma_f64 v[68:69], v[126:127], v[68:69], v[64:65]
	s_clause 0x3
	global_load_b128 v[52:55], v[32:33], off offset:3088
	global_load_b128 v[56:59], v[32:33], off offset:3120
	;; [unrolled: 1-line block ×4, first 2 shown]
	v_add_co_u32 v32, s3, 0x1000, v32
	s_wait_alu 0xf1ff
	v_add_co_ci_u32_e64 v33, null, 0, v33, s3
	s_wait_loadcnt 0xf
	v_cvt_f64_f32_e32 v[108:109], v72
	v_cvt_f64_f32_e32 v[72:73], v73
	s_wait_loadcnt 0xe
	v_cvt_f64_f32_e32 v[120:121], v76
	v_cvt_f64_f32_e32 v[76:77], v77
	;; [unrolled: 3-line block ×4, first 2 shown]
	v_fma_f64 v[90:91], -v[106:107], v[70:71], v[90:91]
	v_fma_f64 v[92:93], v[102:103], v[70:71], v[92:93]
	v_fma_f64 v[94:95], -v[112:113], v[70:71], v[94:95]
	v_fma_f64 v[96:97], v[110:111], v[70:71], v[96:97]
	;; [unrolled: 2-line block ×4, first 2 shown]
	global_load_b128 v[68:71], v[104:105], off offset:32
	v_cvt_f64_f32_e32 v[106:107], v75
	v_cvt_f64_f32_e32 v[110:111], v78
	;; [unrolled: 1-line block ×7, first 2 shown]
	s_wait_loadcnt 0xc
	v_fma_f64 v[90:91], v[108:109], v[13:14], v[90:91]
	v_fma_f64 v[92:93], v[72:73], v[13:14], v[92:93]
	;; [unrolled: 1-line block ×8, first 2 shown]
	v_cvt_f64_f32_e32 v[102:103], v74
	v_fma_f64 v[90:91], -v[72:73], v[15:16], v[90:91]
	v_fma_f64 v[92:93], v[108:109], v[15:16], v[92:93]
	v_fma_f64 v[76:77], -v[76:77], v[15:16], v[94:95]
	v_fma_f64 v[94:95], v[120:121], v[15:16], v[96:97]
	;; [unrolled: 2-line block ×4, first 2 shown]
	global_load_b128 v[72:75], v[104:105], off offset:48
	s_wait_loadcnt 0xc
	v_fma_f64 v[15:16], v[102:103], v[17:18], v[90:91]
	v_fma_f64 v[90:91], v[106:107], v[17:18], v[92:93]
	;; [unrolled: 1-line block ×8, first 2 shown]
	s_wait_loadcnt 0xb
	v_cvt_f64_f32_e32 v[17:18], v22
	v_cvt_f64_f32_e32 v[22:23], v23
	s_wait_loadcnt 0xa
	v_cvt_f64_f32_e32 v[94:95], v26
	v_cvt_f64_f32_e32 v[26:27], v27
	s_wait_loadcnt 0x9
	v_cvt_f64_f32_e32 v[96:97], v36
	v_cvt_f64_f32_e32 v[36:37], v37
	s_wait_loadcnt 0x8
	v_cvt_f64_f32_e32 v[98:99], v40
	v_cvt_f64_f32_e32 v[40:41], v41
	v_fma_f64 v[15:16], -v[106:107], v[19:20], v[15:16]
	v_fma_f64 v[90:91], v[102:103], v[19:20], v[90:91]
	v_fma_f64 v[76:77], -v[78:79], v[19:20], v[76:77]
	v_fma_f64 v[78:79], v[110:111], v[19:20], v[92:93]
	;; [unrolled: 2-line block ×4, first 2 shown]
	v_cvt_f64_f32_e32 v[86:87], v28
	v_cvt_f64_f32_e32 v[28:29], v29
	;; [unrolled: 1-line block ×4, first 2 shown]
	s_wait_loadcnt 0x7
	v_fma_f64 v[15:16], v[17:18], v[44:45], v[15:16]
	v_fma_f64 v[19:20], v[22:23], v[44:45], v[90:91]
	;; [unrolled: 1-line block ×8, first 2 shown]
	v_cvt_f64_f32_e32 v[44:45], v24
	v_cvt_f64_f32_e32 v[24:25], v25
	;; [unrolled: 1-line block ×4, first 2 shown]
	v_fma_f64 v[15:16], -v[22:23], v[46:47], v[15:16]
	v_fma_f64 v[17:18], v[17:18], v[46:47], v[19:20]
	v_fma_f64 v[19:20], -v[26:27], v[46:47], v[76:77]
	v_fma_f64 v[22:23], v[94:95], v[46:47], v[78:79]
	;; [unrolled: 2-line block ×4, first 2 shown]
	s_wait_loadcnt 0x6
	v_fma_f64 v[15:16], v[44:45], v[48:49], v[15:16]
	v_fma_f64 v[17:18], v[24:25], v[48:49], v[17:18]
	;; [unrolled: 1-line block ×8, first 2 shown]
	s_wait_loadcnt 0x5
	v_cvt_f64_f32_e32 v[46:47], v52
	v_cvt_f64_f32_e32 v[48:49], v53
	s_wait_loadcnt 0x4
	v_cvt_f64_f32_e32 v[52:53], v56
	v_cvt_f64_f32_e32 v[56:57], v57
	s_wait_loadcnt 0x3
	v_cvt_f64_f32_e32 v[76:77], v60
	v_cvt_f64_f32_e32 v[60:61], v61
	s_wait_loadcnt 0x2
	v_cvt_f64_f32_e32 v[78:79], v64
	v_cvt_f64_f32_e32 v[64:65], v65
	v_fma_f64 v[15:16], -v[24:25], v[50:51], v[15:16]
	v_fma_f64 v[17:18], v[44:45], v[50:51], v[17:18]
	v_fma_f64 v[19:20], -v[28:29], v[50:51], v[19:20]
	v_fma_f64 v[22:23], v[86:87], v[50:51], v[22:23]
	;; [unrolled: 2-line block ×4, first 2 shown]
	v_cvt_f64_f32_e32 v[36:37], v54
	v_cvt_f64_f32_e32 v[38:39], v55
	;; [unrolled: 1-line block ×8, first 2 shown]
	s_wait_loadcnt 0x1
	v_fma_f64 v[15:16], v[46:47], v[68:69], v[15:16]
	v_fma_f64 v[17:18], v[48:49], v[68:69], v[17:18]
	;; [unrolled: 1-line block ×8, first 2 shown]
	v_fma_f64 v[15:16], -v[48:49], v[70:71], v[15:16]
	v_fma_f64 v[17:18], v[46:47], v[70:71], v[17:18]
	v_fma_f64 v[19:20], -v[56:57], v[70:71], v[19:20]
	v_fma_f64 v[22:23], v[52:53], v[70:71], v[22:23]
	v_fma_f64 v[24:25], -v[60:61], v[70:71], v[24:25]
	v_fma_f64 v[26:27], v[76:77], v[70:71], v[26:27]
	v_fma_f64 v[28:29], -v[64:65], v[70:71], v[28:29]
	v_fma_f64 v[13:14], v[78:79], v[70:71], v[13:14]
	s_wait_loadcnt 0x0
	v_fma_f64 v[15:16], v[36:37], v[72:73], v[15:16]
	v_fma_f64 v[17:18], v[38:39], v[72:73], v[17:18]
	;; [unrolled: 1-line block ×8, first 2 shown]
	v_fma_f64 v[19:20], -v[38:39], v[74:75], v[15:16]
	v_fma_f64 v[13:14], v[36:37], v[74:75], v[17:18]
	v_fma_f64 v[24:25], -v[42:43], v[74:75], v[46:47]
	v_fma_f64 v[17:18], v[40:41], v[74:75], v[22:23]
	;; [unrolled: 2-line block ×4, first 2 shown]
	s_wait_alu 0xfffe
	s_and_not1_b32 exec_lo, exec_lo, s10
	s_cbranch_execnz .LBB166_19
; %bb.20:
	s_or_b32 exec_lo, exec_lo, s10
.LBB166_21:
	s_wait_alu 0xfffe
	s_or_b32 exec_lo, exec_lo, s7
.LBB166_22:
	s_wait_alu 0xfffe
	s_or_b32 exec_lo, exec_lo, s6
	s_cbranch_execz .LBB166_24
	s_branch .LBB166_35
.LBB166_23:
                                        ; implicit-def: $vgpr13_vgpr14
                                        ; implicit-def: $vgpr19_vgpr20
                                        ; implicit-def: $vgpr17_vgpr18
                                        ; implicit-def: $vgpr24_vgpr25
                                        ; implicit-def: $vgpr26_vgpr27
                                        ; implicit-def: $vgpr28_vgpr29
                                        ; implicit-def: $vgpr22_vgpr23
                                        ; implicit-def: $vgpr15_vgpr16
.LBB166_24:
	v_dual_mov_b32 v13, 0 :: v_dual_mov_b32 v26, 0
	v_dual_mov_b32 v14, 0 :: v_dual_mov_b32 v19, 0
	v_dual_mov_b32 v17, 0 :: v_dual_mov_b32 v24, 0
	v_dual_mov_b32 v27, 0 :: v_dual_mov_b32 v28, 0
	v_dual_mov_b32 v22, 0 :: v_dual_mov_b32 v15, 0
	v_mov_b32_e32 v20, 0
	v_dual_mov_b32 v18, 0 :: v_dual_mov_b32 v25, 0
	v_mov_b32_e32 v29, 0
	v_dual_mov_b32 v23, 0 :: v_dual_mov_b32 v16, 0
	s_and_saveexec_b32 s3, s2
	s_cbranch_execz .LBB166_34
; %bb.25:
	v_dual_mov_b32 v15, 0 :: v_dual_add_nc_u32 v10, v35, v0
	v_mov_b32_e32 v22, 0
	v_not_b32_e32 v13, v35
	v_mov_b32_e32 v28, 0
	s_delay_alu instid0(VALU_DEP_4) | instskip(SKIP_3) | instid1(VALU_DEP_4)
	v_subrev_nc_u32_e32 v10, s12, v10
	v_dual_mov_b32 v26, 0 :: v_dual_mov_b32 v19, 0
	v_mov_b32_e32 v24, 0
	v_dual_mov_b32 v16, 0 :: v_dual_mov_b32 v29, 0
	v_dual_mov_b32 v23, 0 :: v_dual_add_nc_u32 v10, 8, v10
	v_mov_b32_e32 v27, 0
	v_dual_mov_b32 v25, 0 :: v_dual_mov_b32 v20, 0
	s_delay_alu instid0(VALU_DEP_3) | instskip(SKIP_3) | instid1(VALU_DEP_3)
	v_max_i32_e32 v10, v10, v34
	s_mov_b32 s2, exec_lo
	v_mov_b32_e32 v17, 0
	v_mov_b32_e32 v18, 0
	v_add3_u32 v10, s12, v10, v13
	v_mov_b32_e32 v13, 0
	v_mov_b32_e32 v14, 0
	s_delay_alu instid0(VALU_DEP_3) | instskip(NEXT) | instid1(VALU_DEP_1)
	v_sub_nc_u32_e32 v30, v10, v0
	v_and_b32_e32 v10, 24, v30
	s_delay_alu instid0(VALU_DEP_1)
	v_cmpx_ne_u32_e32 24, v10
	s_cbranch_execz .LBB166_29
; %bb.26:
	v_lshrrev_b32_e32 v10, 3, v30
	v_mov_b32_e32 v24, 0
	v_mov_b32_e32 v26, 0
	v_dual_mov_b32 v28, 0 :: v_dual_mov_b32 v15, 0
	s_delay_alu instid0(VALU_DEP_4) | instskip(SKIP_2) | instid1(VALU_DEP_3)
	v_dual_mov_b32 v13, 0 :: v_dual_add_nc_u32 v10, 1, v10
	v_dual_mov_b32 v14, 0 :: v_dual_mov_b32 v19, 0
	v_dual_mov_b32 v20, 0 :: v_dual_mov_b32 v17, 0
	v_dual_mov_b32 v27, 0 :: v_dual_and_b32 v10, 3, v10
	v_mov_b32_e32 v22, 0
	v_dual_mov_b32 v18, 0 :: v_dual_mov_b32 v25, 0
	v_mov_b32_e32 v29, 0
	v_dual_mov_b32 v23, 0 :: v_dual_mov_b32 v16, 0
	v_sub_nc_u32_e32 v31, 0, v10
	s_mov_b32 s6, 0
.LBB166_27:                             ; =>This Inner Loop Header: Depth=1
	v_ashrrev_i32_e32 v10, 31, v9
	s_delay_alu instid0(VALU_DEP_2) | instskip(SKIP_2) | instid1(VALU_DEP_2)
	v_add_co_u32 v31, s7, v31, 1
	s_wait_alu 0xfffe
	s_or_b32 s6, s7, s6
	v_lshlrev_b64_e32 v[32:33], 2, v[9:10]
	v_add_nc_u32_e32 v9, 8, v9
	s_delay_alu instid0(VALU_DEP_2) | instskip(SKIP_1) | instid1(VALU_DEP_3)
	v_add_co_u32 v32, vcc_lo, s8, v32
	s_wait_alu 0xfffd
	v_add_co_ci_u32_e64 v33, null, s9, v33, vcc_lo
	global_load_b32 v10, v[32:33], off
	s_clause 0x1
	global_load_b128 v[35:38], v[11:12], off
	global_load_b128 v[39:42], v[11:12], off offset:16
	s_wait_loadcnt 0x2
	v_subrev_nc_u32_e32 v10, s12, v10
	s_wait_loadcnt 0x1
	v_cvt_f64_f32_e32 v[83:84], v37
	v_cvt_f64_f32_e32 v[37:38], v38
	s_wait_loadcnt 0x0
	v_cvt_f64_f32_e32 v[85:86], v39
	v_cvt_f64_f32_e32 v[39:40], v40
	v_lshlrev_b32_e32 v32, 2, v10
	v_cvt_f64_f32_e32 v[87:88], v41
	v_cvt_f64_f32_e32 v[41:42], v42
	s_delay_alu instid0(VALU_DEP_3) | instskip(NEXT) | instid1(VALU_DEP_1)
	v_ashrrev_i32_e32 v33, 31, v32
	v_lshlrev_b64_e32 v[32:33], 4, v[32:33]
	s_wait_kmcnt 0x0
	s_delay_alu instid0(VALU_DEP_1) | instskip(SKIP_1) | instid1(VALU_DEP_2)
	v_add_co_u32 v32, vcc_lo, s4, v32
	s_wait_alu 0xfffd
	v_add_co_ci_u32_e64 v33, null, s5, v33, vcc_lo
	s_clause 0x1
	global_load_b128 v[43:46], v[32:33], off
	global_load_b128 v[47:50], v[32:33], off offset:16
	s_clause 0x3
	global_load_b128 v[51:54], v[11:12], off offset:32
	global_load_b128 v[55:58], v[11:12], off offset:48
	global_load_b128 v[59:62], v[11:12], off offset:64
	global_load_b128 v[63:66], v[11:12], off offset:80
	s_clause 0x1
	global_load_b128 v[67:70], v[32:33], off offset:32
	global_load_b128 v[71:74], v[32:33], off offset:48
	s_clause 0x1
	global_load_b128 v[75:78], v[11:12], off offset:96
	global_load_b128 v[79:82], v[11:12], off offset:112
	v_cvt_f64_f32_e32 v[32:33], v35
	v_cvt_f64_f32_e32 v[35:36], v36
	v_add_co_u32 v11, vcc_lo, 0x400, v11
	s_wait_alu 0xfffd
	v_add_co_ci_u32_e64 v12, null, 0, v12, vcc_lo
	s_wait_loadcnt 0x9
	s_delay_alu instid0(VALU_DEP_4) | instskip(NEXT) | instid1(VALU_DEP_4)
	v_fma_f64 v[19:20], v[32:33], v[43:44], v[19:20]
	v_fma_f64 v[13:14], v[35:36], v[43:44], v[13:14]
	;; [unrolled: 1-line block ×8, first 2 shown]
	s_wait_loadcnt 0x7
	v_cvt_f64_f32_e32 v[43:44], v51
	v_cvt_f64_f32_e32 v[51:52], v52
	;; [unrolled: 1-line block ×4, first 2 shown]
	s_wait_loadcnt 0x6
	v_cvt_f64_f32_e32 v[91:92], v55
	v_cvt_f64_f32_e32 v[55:56], v56
	;; [unrolled: 1-line block ×4, first 2 shown]
	v_fma_f64 v[19:20], -v[35:36], v[45:46], v[19:20]
	v_fma_f64 v[13:14], v[32:33], v[45:46], v[13:14]
	v_fma_f64 v[24:25], -v[37:38], v[45:46], v[24:25]
	v_fma_f64 v[17:18], v[83:84], v[45:46], v[17:18]
	;; [unrolled: 2-line block ×4, first 2 shown]
	s_wait_loadcnt 0x5
	v_cvt_f64_f32_e32 v[32:33], v59
	v_cvt_f64_f32_e32 v[35:36], v60
	;; [unrolled: 1-line block ×4, first 2 shown]
	s_wait_loadcnt 0x4
	v_cvt_f64_f32_e32 v[41:42], v63
	v_cvt_f64_f32_e32 v[45:46], v64
	;; [unrolled: 1-line block ×3, first 2 shown]
	s_wait_loadcnt 0x0
	v_cvt_f64_f32_e32 v[61:62], v81
	v_cvt_f64_f32_e32 v[63:64], v82
	v_fma_f64 v[19:20], v[43:44], v[47:48], v[19:20]
	v_fma_f64 v[13:14], v[51:52], v[47:48], v[13:14]
	v_fma_f64 v[24:25], v[89:90], v[47:48], v[24:25]
	v_fma_f64 v[17:18], v[53:54], v[47:48], v[17:18]
	v_fma_f64 v[28:29], v[91:92], v[47:48], v[28:29]
	v_fma_f64 v[26:27], v[55:56], v[47:48], v[26:27]
	v_fma_f64 v[15:16], v[93:94], v[47:48], v[15:16]
	v_fma_f64 v[22:23], v[57:58], v[47:48], v[22:23]
	v_cvt_f64_f32_e32 v[47:48], v65
	v_fma_f64 v[19:20], -v[51:52], v[49:50], v[19:20]
	v_fma_f64 v[13:14], v[43:44], v[49:50], v[13:14]
	v_fma_f64 v[24:25], -v[53:54], v[49:50], v[24:25]
	v_fma_f64 v[17:18], v[89:90], v[49:50], v[17:18]
	;; [unrolled: 2-line block ×4, first 2 shown]
	v_cvt_f64_f32_e32 v[43:44], v75
	v_cvt_f64_f32_e32 v[49:50], v76
	;; [unrolled: 1-line block ×6, first 2 shown]
	v_fma_f64 v[19:20], v[32:33], v[67:68], v[19:20]
	v_fma_f64 v[13:14], v[35:36], v[67:68], v[13:14]
	;; [unrolled: 1-line block ×8, first 2 shown]
	v_fma_f64 v[19:20], -v[35:36], v[69:70], v[19:20]
	v_fma_f64 v[13:14], v[32:33], v[69:70], v[13:14]
	v_fma_f64 v[24:25], -v[39:40], v[69:70], v[24:25]
	v_fma_f64 v[17:18], v[37:38], v[69:70], v[17:18]
	;; [unrolled: 2-line block ×4, first 2 shown]
	v_fma_f64 v[19:20], v[43:44], v[71:72], v[19:20]
	v_fma_f64 v[13:14], v[49:50], v[71:72], v[13:14]
	v_fma_f64 v[24:25], v[51:52], v[71:72], v[24:25]
	v_fma_f64 v[17:18], v[53:54], v[71:72], v[17:18]
	v_fma_f64 v[28:29], v[55:56], v[71:72], v[28:29]
	v_fma_f64 v[26:27], v[57:58], v[71:72], v[26:27]
	v_fma_f64 v[15:16], v[61:62], v[71:72], v[15:16]
	v_fma_f64 v[22:23], v[63:64], v[71:72], v[22:23]
	v_fma_f64 v[19:20], -v[49:50], v[73:74], v[19:20]
	v_fma_f64 v[13:14], v[43:44], v[73:74], v[13:14]
	v_fma_f64 v[24:25], -v[53:54], v[73:74], v[24:25]
	v_fma_f64 v[17:18], v[51:52], v[73:74], v[17:18]
	;; [unrolled: 2-line block ×4, first 2 shown]
	s_wait_alu 0xfffe
	s_and_not1_b32 exec_lo, exec_lo, s6
	s_cbranch_execnz .LBB166_27
; %bb.28:
	s_or_b32 exec_lo, exec_lo, s6
.LBB166_29:
	s_wait_alu 0xfffe
	s_or_b32 exec_lo, exec_lo, s2
	s_delay_alu instid0(SALU_CYCLE_1)
	s_mov_b32 s6, exec_lo
	v_cmpx_lt_u32_e32 23, v30
	s_cbranch_execz .LBB166_33
; %bb.30:
	s_mov_b32 s7, 0
.LBB166_31:                             ; =>This Inner Loop Header: Depth=1
	v_ashrrev_i32_e32 v10, 31, v9
	s_delay_alu instid0(VALU_DEP_1) | instskip(SKIP_1) | instid1(VALU_DEP_2)
	v_lshlrev_b64_e32 v[30:31], 2, v[9:10]
	v_add_nc_u32_e32 v9, 32, v9
	v_add_co_u32 v39, vcc_lo, s8, v30
	s_wait_alu 0xfffd
	s_delay_alu instid0(VALU_DEP_3)
	v_add_co_ci_u32_e64 v40, null, s9, v31, vcc_lo
	global_load_b32 v10, v[39:40], off
	s_clause 0x1
	global_load_b128 v[30:33], v[11:12], off
	global_load_b128 v[35:38], v[11:12], off offset:16
	s_clause 0x2
	global_load_b32 v99, v[39:40], off offset:32
	global_load_b32 v117, v[39:40], off offset:64
	;; [unrolled: 1-line block ×3, first 2 shown]
	s_wait_loadcnt 0x5
	v_subrev_nc_u32_e32 v10, s12, v10
	s_wait_loadcnt 0x4
	v_cvt_f64_f32_e32 v[87:88], v30
	v_cvt_f64_f32_e32 v[89:90], v31
	;; [unrolled: 1-line block ×4, first 2 shown]
	v_lshlrev_b32_e32 v39, 2, v10
	s_wait_loadcnt 0x2
	v_subrev_nc_u32_e32 v10, s12, v99
	v_cvt_f64_f32_e32 v[95:96], v35
	v_cvt_f64_f32_e32 v[35:36], v36
	;; [unrolled: 1-line block ×3, first 2 shown]
	v_ashrrev_i32_e32 v40, 31, v39
	v_lshlrev_b32_e32 v30, 2, v10
	v_cvt_f64_f32_e32 v[37:38], v38
	s_wait_loadcnt 0x1
	v_subrev_nc_u32_e32 v10, s12, v117
	v_lshlrev_b64_e32 v[39:40], 4, v[39:40]
	v_ashrrev_i32_e32 v31, 31, v30
	s_delay_alu instid0(VALU_DEP_1) | instskip(SKIP_1) | instid1(VALU_DEP_3)
	v_lshlrev_b64_e32 v[30:31], 4, v[30:31]
	s_wait_kmcnt 0x0
	v_add_co_u32 v75, vcc_lo, s4, v39
	s_wait_alu 0xfffd
	v_add_co_ci_u32_e64 v76, null, s5, v40, vcc_lo
	global_load_b128 v[39:42], v[75:76], off
	s_clause 0x1
	global_load_b128 v[43:46], v[11:12], off offset:32
	global_load_b128 v[47:50], v[11:12], off offset:48
	global_load_b128 v[51:54], v[75:76], off offset:16
	s_clause 0x1
	global_load_b128 v[55:58], v[11:12], off offset:64
	global_load_b128 v[59:62], v[11:12], off offset:80
	global_load_b128 v[63:66], v[75:76], off offset:32
	;; [unrolled: 4-line block ×3, first 2 shown]
	s_clause 0x1
	global_load_b128 v[79:82], v[11:12], off offset:1024
	global_load_b128 v[83:86], v[11:12], off offset:1040
	v_add_co_u32 v99, vcc_lo, s4, v30
	s_wait_alu 0xfffd
	v_add_co_ci_u32_e64 v100, null, s5, v31, vcc_lo
	global_load_b128 v[30:33], v[99:100], off
	s_wait_loadcnt 0xc
	v_fma_f64 v[101:102], v[87:88], v[39:40], v[19:20]
	v_fma_f64 v[103:104], v[89:90], v[39:40], v[13:14]
	;; [unrolled: 1-line block ×8, first 2 shown]
	s_clause 0x1
	global_load_b128 v[13:16], v[11:12], off offset:1056
	global_load_b128 v[17:20], v[11:12], off offset:1072
	s_wait_loadcnt 0xd
	v_cvt_f64_f32_e32 v[39:40], v43
	v_cvt_f64_f32_e32 v[43:44], v44
	;; [unrolled: 1-line block ×4, first 2 shown]
	s_wait_loadcnt 0xc
	v_cvt_f64_f32_e32 v[111:112], v47
	v_cvt_f64_f32_e32 v[47:48], v48
	v_cvt_f64_f32_e32 v[113:114], v49
	v_cvt_f64_f32_e32 v[49:50], v50
	v_fma_f64 v[89:90], -v[89:90], v[41:42], v[101:102]
	v_fma_f64 v[87:88], v[87:88], v[41:42], v[103:104]
	v_fma_f64 v[93:94], -v[93:94], v[41:42], v[24:25]
	v_fma_f64 v[91:92], v[91:92], v[41:42], v[105:106]
	;; [unrolled: 2-line block ×4, first 2 shown]
	global_load_b128 v[22:25], v[99:100], off offset:16
	s_wait_loadcnt 0xb
	v_cvt_f64_f32_e32 v[101:102], v55
	v_cvt_f64_f32_e32 v[55:56], v56
	;; [unrolled: 1-line block ×4, first 2 shown]
	s_wait_loadcnt 0xa
	v_cvt_f64_f32_e32 v[105:106], v59
	v_cvt_f64_f32_e32 v[59:60], v60
	;; [unrolled: 1-line block ×4, first 2 shown]
	v_fma_f64 v[41:42], v[39:40], v[51:52], v[89:90]
	v_fma_f64 v[87:88], v[43:44], v[51:52], v[87:88]
	;; [unrolled: 1-line block ×8, first 2 shown]
	s_clause 0x1
	global_load_b128 v[26:29], v[11:12], off offset:1088
	global_load_b128 v[35:38], v[11:12], off offset:1104
	v_fma_f64 v[43:44], -v[43:44], v[53:54], v[41:42]
	v_fma_f64 v[87:88], v[39:40], v[53:54], v[87:88]
	v_fma_f64 v[45:46], -v[45:46], v[53:54], v[89:90]
	v_fma_f64 v[89:90], v[109:110], v[53:54], v[91:92]
	v_fma_f64 v[47:48], -v[47:48], v[53:54], v[93:94]
	v_fma_f64 v[91:92], v[111:112], v[53:54], v[95:96]
	v_fma_f64 v[49:50], -v[49:50], v[53:54], v[97:98]
	v_fma_f64 v[51:52], v[113:114], v[53:54], v[51:52]
	global_load_b128 v[39:42], v[99:100], off offset:32
	s_wait_loadcnt 0xb
	v_cvt_f64_f32_e32 v[109:110], v69
	v_cvt_f64_f32_e32 v[69:70], v70
	s_wait_loadcnt 0xa
	v_cvt_f64_f32_e32 v[111:112], v71
	v_cvt_f64_f32_e32 v[71:72], v72
	;; [unrolled: 1-line block ×4, first 2 shown]
	v_fma_f64 v[53:54], v[101:102], v[63:64], v[43:44]
	v_fma_f64 v[87:88], v[55:56], v[63:64], v[87:88]
	v_fma_f64 v[93:94], v[103:104], v[63:64], v[45:46]
	v_fma_f64 v[89:90], v[57:58], v[63:64], v[89:90]
	v_fma_f64 v[95:96], v[105:106], v[63:64], v[47:48]
	v_fma_f64 v[91:92], v[59:60], v[63:64], v[91:92]
	v_fma_f64 v[97:98], v[107:108], v[63:64], v[49:50]
	v_fma_f64 v[51:52], v[61:62], v[63:64], v[51:52]
	s_clause 0x1
	global_load_b128 v[43:46], v[11:12], off offset:1120
	global_load_b128 v[47:50], v[11:12], off offset:1136
	v_cvt_f64_f32_e32 v[63:64], v67
	v_cvt_f64_f32_e32 v[67:68], v68
	v_fma_f64 v[115:116], -v[55:56], v[65:66], v[53:54]
	v_fma_f64 v[87:88], v[101:102], v[65:66], v[87:88]
	v_fma_f64 v[93:94], -v[57:58], v[65:66], v[93:94]
	v_fma_f64 v[89:90], v[103:104], v[65:66], v[89:90]
	;; [unrolled: 2-line block ×4, first 2 shown]
	global_load_b128 v[51:54], v[99:100], off offset:48
	global_load_b128 v[55:58], v[11:12], off offset:2048
	v_lshlrev_b32_e32 v107, 2, v10
	s_wait_loadcnt 0xc
	v_cvt_f64_f32_e32 v[101:102], v81
	v_cvt_f64_f32_e32 v[81:82], v82
	s_wait_loadcnt 0xb
	v_cvt_f64_f32_e32 v[103:104], v83
	v_cvt_f64_f32_e32 v[83:84], v84
	;; [unrolled: 1-line block ×4, first 2 shown]
	v_ashrrev_i32_e32 v108, 31, v107
	v_subrev_nc_u32_e32 v10, s12, v123
	v_fma_f64 v[95:96], v[63:64], v[75:76], v[115:116]
	v_fma_f64 v[87:88], v[67:68], v[75:76], v[87:88]
	;; [unrolled: 1-line block ×8, first 2 shown]
	global_load_b128 v[59:62], v[11:12], off offset:2064
	v_cvt_f64_f32_e32 v[75:76], v79
	v_cvt_f64_f32_e32 v[79:80], v80
	v_fma_f64 v[67:68], -v[67:68], v[77:78], v[95:96]
	v_fma_f64 v[87:88], v[63:64], v[77:78], v[87:88]
	v_fma_f64 v[69:70], -v[69:70], v[77:78], v[93:94]
	v_fma_f64 v[89:90], v[109:110], v[77:78], v[89:90]
	;; [unrolled: 2-line block ×4, first 2 shown]
	v_lshlrev_b64_e32 v[63:64], 4, v[107:108]
	s_delay_alu instid0(VALU_DEP_1) | instskip(SKIP_1) | instid1(VALU_DEP_2)
	v_add_co_u32 v93, vcc_lo, s4, v63
	s_wait_alu 0xfffd
	v_add_co_ci_u32_e64 v94, null, s5, v64, vcc_lo
	global_load_b128 v[63:66], v[93:94], off
	s_wait_loadcnt 0xc
	v_fma_f64 v[95:96], v[75:76], v[30:31], v[67:68]
	v_fma_f64 v[87:88], v[79:80], v[30:31], v[87:88]
	;; [unrolled: 1-line block ×8, first 2 shown]
	s_clause 0x1
	global_load_b128 v[67:70], v[11:12], off offset:2080
	global_load_b128 v[71:74], v[11:12], off offset:2096
	s_wait_loadcnt 0xd
	v_cvt_f64_f32_e32 v[77:78], v13
	v_cvt_f64_f32_e32 v[109:110], v14
	;; [unrolled: 1-line block ×4, first 2 shown]
	s_wait_loadcnt 0xc
	v_cvt_f64_f32_e32 v[115:116], v17
	v_cvt_f64_f32_e32 v[117:118], v18
	;; [unrolled: 1-line block ×4, first 2 shown]
	global_load_b128 v[13:16], v[93:94], off offset:16
	v_fma_f64 v[17:18], -v[79:80], v[32:33], v[95:96]
	v_fma_f64 v[19:20], v[75:76], v[32:33], v[87:88]
	v_fma_f64 v[75:76], -v[81:82], v[32:33], v[97:98]
	v_fma_f64 v[79:80], v[101:102], v[32:33], v[89:90]
	;; [unrolled: 2-line block ×4, first 2 shown]
	s_wait_loadcnt 0xc
	v_fma_f64 v[87:88], v[77:78], v[22:23], v[17:18]
	v_fma_f64 v[89:90], v[109:110], v[22:23], v[19:20]
	;; [unrolled: 1-line block ×8, first 2 shown]
	s_clause 0x1
	global_load_b128 v[17:20], v[11:12], off offset:2112
	global_load_b128 v[30:33], v[11:12], off offset:2128
	s_wait_loadcnt 0xd
	v_cvt_f64_f32_e32 v[91:92], v26
	v_cvt_f64_f32_e32 v[95:96], v27
	;; [unrolled: 1-line block ×4, first 2 shown]
	s_wait_loadcnt 0xc
	v_cvt_f64_f32_e32 v[101:102], v35
	v_cvt_f64_f32_e32 v[103:104], v36
	;; [unrolled: 1-line block ×4, first 2 shown]
	v_fma_f64 v[26:27], -v[109:110], v[24:25], v[87:88]
	v_fma_f64 v[28:29], v[77:78], v[24:25], v[89:90]
	v_fma_f64 v[35:36], -v[113:114], v[24:25], v[75:76]
	v_fma_f64 v[37:38], v[111:112], v[24:25], v[79:80]
	;; [unrolled: 2-line block ×4, first 2 shown]
	global_load_b128 v[22:25], v[93:94], off offset:32
	s_wait_loadcnt 0xc
	v_fma_f64 v[83:84], v[91:92], v[39:40], v[26:27]
	v_fma_f64 v[85:86], v[95:96], v[39:40], v[28:29]
	v_fma_f64 v[87:88], v[97:98], v[39:40], v[35:36]
	v_fma_f64 v[89:90], v[99:100], v[39:40], v[37:38]
	v_fma_f64 v[75:76], v[101:102], v[39:40], v[75:76]
	v_fma_f64 v[77:78], v[103:104], v[39:40], v[77:78]
	v_fma_f64 v[79:80], v[105:106], v[39:40], v[79:80]
	v_fma_f64 v[39:40], v[107:108], v[39:40], v[81:82]
	s_clause 0x1
	global_load_b128 v[26:29], v[11:12], off offset:2144
	global_load_b128 v[35:38], v[11:12], off offset:2160
	s_wait_loadcnt 0xd
	v_cvt_f64_f32_e32 v[81:82], v43
	v_cvt_f64_f32_e32 v[109:110], v44
	;; [unrolled: 1-line block ×4, first 2 shown]
	s_wait_loadcnt 0xc
	v_cvt_f64_f32_e32 v[115:116], v47
	v_cvt_f64_f32_e32 v[117:118], v48
	;; [unrolled: 1-line block ×4, first 2 shown]
	v_fma_f64 v[43:44], -v[95:96], v[41:42], v[83:84]
	v_fma_f64 v[45:46], v[91:92], v[41:42], v[85:86]
	v_fma_f64 v[47:48], -v[99:100], v[41:42], v[87:88]
	v_fma_f64 v[49:50], v[97:98], v[41:42], v[89:90]
	;; [unrolled: 2-line block ×4, first 2 shown]
	global_load_b128 v[39:42], v[93:94], off offset:48
	s_wait_loadcnt 0xb
	v_cvt_f64_f32_e32 v[93:94], v56
	v_cvt_f64_f32_e32 v[95:96], v57
	;; [unrolled: 1-line block ×3, first 2 shown]
	v_fma_f64 v[85:86], v[81:82], v[51:52], v[43:44]
	v_fma_f64 v[87:88], v[109:110], v[51:52], v[45:46]
	;; [unrolled: 1-line block ×8, first 2 shown]
	s_clause 0x1
	global_load_b128 v[43:46], v[11:12], off offset:3072
	global_load_b128 v[47:50], v[11:12], off offset:3088
	v_cvt_f64_f32_e32 v[83:84], v55
	v_lshlrev_b32_e32 v55, 2, v10
	s_delay_alu instid0(VALU_DEP_1)
	v_ashrrev_i32_e32 v56, 31, v55
	s_wait_loadcnt 0xc
	v_cvt_f64_f32_e32 v[99:100], v59
	v_cvt_f64_f32_e32 v[101:102], v60
	;; [unrolled: 1-line block ×4, first 2 shown]
	v_fma_f64 v[57:58], -v[109:110], v[53:54], v[85:86]
	v_fma_f64 v[59:60], v[81:82], v[53:54], v[87:88]
	v_fma_f64 v[61:62], -v[113:114], v[53:54], v[89:90]
	v_fma_f64 v[81:82], v[111:112], v[53:54], v[91:92]
	;; [unrolled: 2-line block ×4, first 2 shown]
	v_lshlrev_b64_e32 v[51:52], 4, v[55:56]
	s_delay_alu instid0(VALU_DEP_1) | instskip(SKIP_1) | instid1(VALU_DEP_2)
	v_add_co_u32 v87, vcc_lo, s4, v51
	s_wait_alu 0xfffd
	v_add_co_ci_u32_e64 v88, null, s5, v52, vcc_lo
	v_cmp_ge_i32_e32 vcc_lo, v9, v34
	global_load_b128 v[51:54], v[87:88], off
	s_wait_alu 0xfffe
	s_or_b32 s7, vcc_lo, s7
	s_wait_loadcnt 0xc
	v_fma_f64 v[89:90], v[83:84], v[63:64], v[57:58]
	v_fma_f64 v[91:92], v[93:94], v[63:64], v[59:60]
	;; [unrolled: 1-line block ×8, first 2 shown]
	s_clause 0x1
	global_load_b128 v[55:58], v[11:12], off offset:3104
	global_load_b128 v[59:62], v[11:12], off offset:3120
	s_wait_loadcnt 0xd
	v_cvt_f64_f32_e32 v[85:86], v67
	v_cvt_f64_f32_e32 v[109:110], v68
	;; [unrolled: 1-line block ×4, first 2 shown]
	s_wait_loadcnt 0xc
	v_cvt_f64_f32_e32 v[115:116], v71
	v_cvt_f64_f32_e32 v[117:118], v72
	;; [unrolled: 1-line block ×4, first 2 shown]
	v_fma_f64 v[67:68], -v[93:94], v[65:66], v[89:90]
	v_fma_f64 v[69:70], v[83:84], v[65:66], v[91:92]
	v_fma_f64 v[71:72], -v[97:98], v[65:66], v[107:108]
	v_fma_f64 v[73:74], v[95:96], v[65:66], v[81:82]
	;; [unrolled: 2-line block ×4, first 2 shown]
	global_load_b128 v[63:66], v[87:88], off offset:16
	s_wait_loadcnt 0xc
	v_fma_f64 v[83:84], v[85:86], v[13:14], v[67:68]
	v_fma_f64 v[89:90], v[109:110], v[13:14], v[69:70]
	;; [unrolled: 1-line block ×8, first 2 shown]
	s_clause 0x1
	global_load_b128 v[67:70], v[11:12], off offset:3136
	global_load_b128 v[71:74], v[11:12], off offset:3152
	s_wait_loadcnt 0xd
	v_cvt_f64_f32_e32 v[81:82], v17
	v_cvt_f64_f32_e32 v[95:96], v18
	;; [unrolled: 1-line block ×4, first 2 shown]
	s_wait_loadcnt 0xc
	v_cvt_f64_f32_e32 v[101:102], v30
	v_cvt_f64_f32_e32 v[103:104], v31
	;; [unrolled: 1-line block ×4, first 2 shown]
	v_fma_f64 v[17:18], -v[109:110], v[15:16], v[83:84]
	v_fma_f64 v[19:20], v[85:86], v[15:16], v[89:90]
	v_fma_f64 v[30:31], -v[113:114], v[15:16], v[91:92]
	v_fma_f64 v[32:33], v[111:112], v[15:16], v[93:94]
	v_fma_f64 v[75:76], -v[117:118], v[15:16], v[75:76]
	v_fma_f64 v[77:78], v[115:116], v[15:16], v[77:78]
	v_fma_f64 v[79:80], -v[121:122], v[15:16], v[79:80]
	v_fma_f64 v[83:84], v[119:120], v[15:16], v[13:14]
	global_load_b128 v[13:16], v[87:88], off offset:32
	s_wait_loadcnt 0xc
	v_fma_f64 v[85:86], v[81:82], v[22:23], v[17:18]
	v_fma_f64 v[89:90], v[95:96], v[22:23], v[19:20]
	;; [unrolled: 1-line block ×8, first 2 shown]
	s_clause 0x1
	global_load_b128 v[17:20], v[11:12], off offset:3168
	global_load_b128 v[30:33], v[11:12], off offset:3184
	v_add_co_u32 v11, s2, 0x1000, v11
	s_wait_alu 0xf1ff
	v_add_co_ci_u32_e64 v12, null, 0, v12, s2
	s_wait_loadcnt 0xd
	v_cvt_f64_f32_e32 v[83:84], v26
	v_cvt_f64_f32_e32 v[26:27], v27
	;; [unrolled: 1-line block ×4, first 2 shown]
	s_wait_loadcnt 0xc
	v_cvt_f64_f32_e32 v[111:112], v35
	v_cvt_f64_f32_e32 v[113:114], v36
	;; [unrolled: 1-line block ×4, first 2 shown]
	global_load_b128 v[35:38], v[87:88], off offset:48
	v_fma_f64 v[85:86], -v[95:96], v[24:25], v[85:86]
	v_fma_f64 v[81:82], v[81:82], v[24:25], v[89:90]
	v_fma_f64 v[89:90], -v[99:100], v[24:25], v[91:92]
	v_fma_f64 v[91:92], v[97:98], v[24:25], v[93:94]
	v_fma_f64 v[75:76], -v[103:104], v[24:25], v[75:76]
	v_fma_f64 v[77:78], v[101:102], v[24:25], v[77:78]
	v_fma_f64 v[79:80], -v[107:108], v[24:25], v[79:80]
	v_fma_f64 v[22:23], v[105:106], v[24:25], v[22:23]
	s_wait_loadcnt 0xc
	v_fma_f64 v[24:25], v[83:84], v[39:40], v[85:86]
	v_fma_f64 v[81:82], v[26:27], v[39:40], v[81:82]
	v_fma_f64 v[85:86], v[109:110], v[39:40], v[89:90]
	v_fma_f64 v[87:88], v[28:29], v[39:40], v[91:92]
	v_fma_f64 v[75:76], v[111:112], v[39:40], v[75:76]
	v_fma_f64 v[77:78], v[113:114], v[39:40], v[77:78]
	v_fma_f64 v[79:80], v[115:116], v[39:40], v[79:80]
	v_fma_f64 v[22:23], v[117:118], v[39:40], v[22:23]
	s_wait_loadcnt 0xb
	v_cvt_f64_f32_e32 v[39:40], v43
	v_cvt_f64_f32_e32 v[43:44], v44
	v_cvt_f64_f32_e32 v[89:90], v45
	v_cvt_f64_f32_e32 v[45:46], v46
	s_wait_loadcnt 0xa
	v_cvt_f64_f32_e32 v[91:92], v47
	v_cvt_f64_f32_e32 v[47:48], v48
	v_cvt_f64_f32_e32 v[93:94], v49
	v_cvt_f64_f32_e32 v[49:50], v50
	v_fma_f64 v[24:25], -v[26:27], v[41:42], v[24:25]
	v_fma_f64 v[26:27], v[83:84], v[41:42], v[81:82]
	v_fma_f64 v[28:29], -v[28:29], v[41:42], v[85:86]
	v_fma_f64 v[81:82], v[109:110], v[41:42], v[87:88]
	v_fma_f64 v[75:76], -v[113:114], v[41:42], v[75:76]
	v_fma_f64 v[77:78], v[111:112], v[41:42], v[77:78]
	v_fma_f64 v[79:80], -v[117:118], v[41:42], v[79:80]
	v_fma_f64 v[22:23], v[115:116], v[41:42], v[22:23]
	s_wait_loadcnt 0x9
	v_fma_f64 v[24:25], v[39:40], v[51:52], v[24:25]
	v_fma_f64 v[26:27], v[43:44], v[51:52], v[26:27]
	v_fma_f64 v[28:29], v[89:90], v[51:52], v[28:29]
	v_fma_f64 v[41:42], v[45:46], v[51:52], v[81:82]
	v_fma_f64 v[75:76], v[91:92], v[51:52], v[75:76]
	v_fma_f64 v[77:78], v[47:48], v[51:52], v[77:78]
	v_fma_f64 v[79:80], v[93:94], v[51:52], v[79:80]
	v_fma_f64 v[22:23], v[49:50], v[51:52], v[22:23]
	s_wait_loadcnt 0x8
	v_cvt_f64_f32_e32 v[51:52], v55
	v_cvt_f64_f32_e32 v[55:56], v56
	v_cvt_f64_f32_e32 v[81:82], v57
	v_cvt_f64_f32_e32 v[57:58], v58
	s_wait_loadcnt 0x7
	v_cvt_f64_f32_e32 v[83:84], v59
	v_cvt_f64_f32_e32 v[59:60], v60
	v_cvt_f64_f32_e32 v[85:86], v61
	v_cvt_f64_f32_e32 v[61:62], v62
	;; [unrolled: 27-line block ×4, first 2 shown]
	v_fma_f64 v[19:20], -v[49:50], v[15:16], v[24:25]
	v_fma_f64 v[24:25], v[47:48], v[15:16], v[26:27]
	v_fma_f64 v[26:27], -v[63:64], v[15:16], v[28:29]
	v_fma_f64 v[28:29], v[53:54], v[15:16], v[39:40]
	;; [unrolled: 2-line block ×4, first 2 shown]
	s_wait_loadcnt 0x0
	v_fma_f64 v[15:16], v[22:23], v[35:36], v[19:20]
	v_fma_f64 v[24:25], v[17:18], v[35:36], v[24:25]
	;; [unrolled: 1-line block ×8, first 2 shown]
	v_fma_f64 v[19:20], -v[17:18], v[37:38], v[15:16]
	v_fma_f64 v[13:14], v[22:23], v[37:38], v[24:25]
	v_fma_f64 v[24:25], -v[55:56], v[37:38], v[26:27]
	v_fma_f64 v[17:18], v[51:52], v[37:38], v[28:29]
	;; [unrolled: 2-line block ×4, first 2 shown]
	s_wait_alu 0xfffe
	s_and_not1_b32 exec_lo, exec_lo, s7
	s_cbranch_execnz .LBB166_31
; %bb.32:
	s_or_b32 exec_lo, exec_lo, s7
.LBB166_33:
	s_wait_alu 0xfffe
	s_or_b32 exec_lo, exec_lo, s6
.LBB166_34:
	s_wait_alu 0xfffe
	s_or_b32 exec_lo, exec_lo, s3
.LBB166_35:
	v_mbcnt_lo_u32_b32 v42, -1, 0
	s_delay_alu instid0(VALU_DEP_1) | instskip(NEXT) | instid1(VALU_DEP_1)
	v_xor_b32_e32 v9, 4, v42
	v_cmp_gt_i32_e32 vcc_lo, 32, v9
	s_wait_alu 0xfffd
	v_cndmask_b32_e32 v9, v42, v9, vcc_lo
	s_delay_alu instid0(VALU_DEP_1)
	v_lshlrev_b32_e32 v41, 2, v9
	ds_bpermute_b32 v11, v41, v13
	ds_bpermute_b32 v12, v41, v14
	;; [unrolled: 1-line block ×4, first 2 shown]
	s_wait_dscnt 0x2
	v_add_f64_e32 v[11:12], v[13:14], v[11:12]
	s_wait_dscnt 0x0
	v_add_f64_e32 v[13:14], v[24:25], v[30:31]
	v_xor_b32_e32 v24, 2, v42
	s_delay_alu instid0(VALU_DEP_1)
	v_cmp_gt_i32_e32 vcc_lo, 32, v24
	s_wait_alu 0xfffd
	v_cndmask_b32_e32 v24, v42, v24, vcc_lo
	ds_bpermute_b32 v9, v41, v19
	ds_bpermute_b32 v10, v41, v20
	;; [unrolled: 1-line block ×12, first 2 shown]
	s_wait_dscnt 0xa
	v_add_f64_e32 v[9:10], v[19:20], v[9:10]
	s_wait_dscnt 0x8
	v_add_f64_e32 v[17:18], v[17:18], v[32:33]
	;; [unrolled: 2-line block ×6, first 2 shown]
	v_lshlrev_b32_e32 v41, 2, v24
	ds_bpermute_b32 v28, v41, v11
	ds_bpermute_b32 v29, v41, v12
	;; [unrolled: 1-line block ×4, first 2 shown]
	s_wait_dscnt 0x2
	v_add_f64_e32 v[28:29], v[11:12], v[28:29]
	ds_bpermute_b32 v24, v41, v9
	ds_bpermute_b32 v25, v41, v10
	;; [unrolled: 1-line block ×12, first 2 shown]
	s_wait_dscnt 0xc
	v_add_f64_e32 v[11:12], v[13:14], v[30:31]
	s_wait_dscnt 0xa
	v_add_f64_e32 v[9:10], v[9:10], v[24:25]
	;; [unrolled: 2-line block ×7, first 2 shown]
	v_xor_b32_e32 v22, 1, v42
	s_delay_alu instid0(VALU_DEP_1) | instskip(SKIP_3) | instid1(VALU_DEP_2)
	v_cmp_gt_i32_e32 vcc_lo, 32, v22
	s_wait_alu 0xfffd
	v_cndmask_b32_e32 v22, v42, v22, vcc_lo
	v_cmp_eq_u32_e32 vcc_lo, 7, v0
	v_lshlrev_b32_e32 v35, 2, v22
	ds_bpermute_b32 v40, v35, v28
	ds_bpermute_b32 v41, v35, v29
	;; [unrolled: 1-line block ×16, first 2 shown]
	s_and_b32 exec_lo, exec_lo, vcc_lo
	s_cbranch_execz .LBB166_8
; %bb.36:
	s_wait_dscnt 0xe
	v_add_f64_e32 v[28:29], v[28:29], v[40:41]
	s_wait_dscnt 0x8
	v_add_f64_e32 v[24:25], v[24:25], v[38:39]
	;; [unrolled: 2-line block ×4, first 2 shown]
	v_add_f64_e32 v[9:10], v[9:10], v[22:23]
	v_add_f64_e32 v[11:12], v[11:12], v[26:27]
	v_add_f64_e32 v[22:23], v[13:14], v[30:31]
	v_add_f64_e32 v[26:27], v[15:16], v[32:33]
	v_cmp_eq_f64_e32 vcc_lo, 0, v[1:2]
	v_cmp_eq_f64_e64 s2, 0, v[3:4]
	s_load_b64 s[0:1], s[0:1], 0x60
	v_lshlrev_b32_e32 v21, 2, v21
	v_mul_f64_e64 v[13:14], v[28:29], -v[7:8]
	v_mul_f64_e32 v[15:16], v[5:6], v[28:29]
	v_mul_f64_e64 v[28:29], v[24:25], -v[7:8]
	v_mul_f64_e32 v[24:25], v[5:6], v[24:25]
	;; [unrolled: 2-line block ×4, first 2 shown]
	s_and_b32 s2, vcc_lo, s2
	v_fma_f64 v[17:18], v[5:6], v[9:10], v[13:14]
	v_fma_f64 v[19:20], v[7:8], v[9:10], v[15:16]
	v_fma_f64 v[13:14], v[5:6], v[11:12], v[28:29]
	v_fma_f64 v[15:16], v[7:8], v[11:12], v[24:25]
	v_fma_f64 v[9:10], v[5:6], v[22:23], v[30:31]
	v_fma_f64 v[11:12], v[7:8], v[22:23], v[32:33]
	v_fma_f64 v[5:6], v[5:6], v[26:27], v[34:35]
	v_fma_f64 v[7:8], v[7:8], v[26:27], v[36:37]
	s_wait_alu 0xfffe
	s_and_saveexec_b32 s3, s2
	s_wait_alu 0xfffe
	s_xor_b32 s2, exec_lo, s3
	s_cbranch_execz .LBB166_38
; %bb.37:
	v_ashrrev_i32_e32 v22, 31, v21
	s_delay_alu instid0(VALU_DEP_1) | instskip(SKIP_1) | instid1(VALU_DEP_1)
	v_lshlrev_b64_e32 v[0:1], 4, v[21:22]
                                        ; implicit-def: $vgpr21
	s_wait_kmcnt 0x0
	v_add_co_u32 v0, vcc_lo, s0, v0
	s_wait_alu 0xfffd
	s_delay_alu instid0(VALU_DEP_2)
	v_add_co_ci_u32_e64 v1, null, s1, v1, vcc_lo
	s_clause 0x3
	global_store_b128 v[0:1], v[17:20], off
	global_store_b128 v[0:1], v[13:16], off offset:16
	global_store_b128 v[0:1], v[9:12], off offset:32
	;; [unrolled: 1-line block ×3, first 2 shown]
                                        ; implicit-def: $vgpr3_vgpr4
                                        ; implicit-def: $vgpr17_vgpr18
                                        ; implicit-def: $vgpr13_vgpr14
                                        ; implicit-def: $vgpr9_vgpr10
                                        ; implicit-def: $vgpr5_vgpr6
.LBB166_38:
	s_wait_alu 0xfffe
	s_and_not1_saveexec_b32 s2, s2
	s_cbranch_execz .LBB166_8
; %bb.39:
	v_ashrrev_i32_e32 v22, 31, v21
	s_delay_alu instid0(VALU_DEP_1) | instskip(SKIP_1) | instid1(VALU_DEP_1)
	v_lshlrev_b64_e32 v[21:22], 4, v[21:22]
	s_wait_kmcnt 0x0
	v_add_co_u32 v37, vcc_lo, s0, v21
	s_wait_alu 0xfffd
	s_delay_alu instid0(VALU_DEP_2)
	v_add_co_ci_u32_e64 v38, null, s1, v22, vcc_lo
	s_clause 0x3
	global_load_b128 v[21:24], v[37:38], off
	global_load_b128 v[25:28], v[37:38], off offset:16
	global_load_b128 v[29:32], v[37:38], off offset:32
	;; [unrolled: 1-line block ×3, first 2 shown]
	s_wait_loadcnt 0x3
	v_fma_f64 v[17:18], v[1:2], v[21:22], v[17:18]
	v_fma_f64 v[19:20], v[3:4], v[21:22], v[19:20]
	s_wait_loadcnt 0x2
	v_fma_f64 v[13:14], v[1:2], v[25:26], v[13:14]
	v_fma_f64 v[15:16], v[3:4], v[25:26], v[15:16]
	;; [unrolled: 3-line block ×4, first 2 shown]
	v_fma_f64 v[5:6], -v[3:4], v[23:24], v[17:18]
	v_fma_f64 v[7:8], v[1:2], v[23:24], v[19:20]
	v_fma_f64 v[9:10], -v[3:4], v[27:28], v[13:14]
	v_fma_f64 v[11:12], v[1:2], v[27:28], v[15:16]
	;; [unrolled: 2-line block ×4, first 2 shown]
	s_clause 0x3
	global_store_b128 v[37:38], v[5:8], off
	global_store_b128 v[37:38], v[9:12], off offset:16
	global_store_b128 v[37:38], v[13:16], off offset:32
	;; [unrolled: 1-line block ×3, first 2 shown]
	s_nop 0
	s_sendmsg sendmsg(MSG_DEALLOC_VGPRS)
	s_endpgm
	.section	.rodata,"a",@progbits
	.p2align	6, 0x0
	.amdhsa_kernel _ZN9rocsparseL18bsrxmvn_4x4_kernelILj128ELj8E21rocsparse_complex_numIdEiiS1_IfES2_S2_EEvT3_20rocsparse_direction_NS_24const_host_device_scalarIT1_EES4_PKS4_PKT2_SD_SA_PKT4_PKT5_S8_PT6_21rocsparse_index_base_b
		.amdhsa_group_segment_fixed_size 0
		.amdhsa_private_segment_fixed_size 0
		.amdhsa_kernarg_size 112
		.amdhsa_user_sgpr_count 2
		.amdhsa_user_sgpr_dispatch_ptr 0
		.amdhsa_user_sgpr_queue_ptr 0
		.amdhsa_user_sgpr_kernarg_segment_ptr 1
		.amdhsa_user_sgpr_dispatch_id 0
		.amdhsa_user_sgpr_private_segment_size 0
		.amdhsa_wavefront_size32 1
		.amdhsa_uses_dynamic_stack 0
		.amdhsa_enable_private_segment 0
		.amdhsa_system_sgpr_workgroup_id_x 1
		.amdhsa_system_sgpr_workgroup_id_y 0
		.amdhsa_system_sgpr_workgroup_id_z 0
		.amdhsa_system_sgpr_workgroup_info 0
		.amdhsa_system_vgpr_workitem_id 0
		.amdhsa_next_free_vgpr 129
		.amdhsa_next_free_sgpr 14
		.amdhsa_reserve_vcc 1
		.amdhsa_float_round_mode_32 0
		.amdhsa_float_round_mode_16_64 0
		.amdhsa_float_denorm_mode_32 3
		.amdhsa_float_denorm_mode_16_64 3
		.amdhsa_fp16_overflow 0
		.amdhsa_workgroup_processor_mode 1
		.amdhsa_memory_ordered 1
		.amdhsa_forward_progress 1
		.amdhsa_inst_pref_size 93
		.amdhsa_round_robin_scheduling 0
		.amdhsa_exception_fp_ieee_invalid_op 0
		.amdhsa_exception_fp_denorm_src 0
		.amdhsa_exception_fp_ieee_div_zero 0
		.amdhsa_exception_fp_ieee_overflow 0
		.amdhsa_exception_fp_ieee_underflow 0
		.amdhsa_exception_fp_ieee_inexact 0
		.amdhsa_exception_int_div_zero 0
	.end_amdhsa_kernel
	.section	.text._ZN9rocsparseL18bsrxmvn_4x4_kernelILj128ELj8E21rocsparse_complex_numIdEiiS1_IfES2_S2_EEvT3_20rocsparse_direction_NS_24const_host_device_scalarIT1_EES4_PKS4_PKT2_SD_SA_PKT4_PKT5_S8_PT6_21rocsparse_index_base_b,"axG",@progbits,_ZN9rocsparseL18bsrxmvn_4x4_kernelILj128ELj8E21rocsparse_complex_numIdEiiS1_IfES2_S2_EEvT3_20rocsparse_direction_NS_24const_host_device_scalarIT1_EES4_PKS4_PKT2_SD_SA_PKT4_PKT5_S8_PT6_21rocsparse_index_base_b,comdat
.Lfunc_end166:
	.size	_ZN9rocsparseL18bsrxmvn_4x4_kernelILj128ELj8E21rocsparse_complex_numIdEiiS1_IfES2_S2_EEvT3_20rocsparse_direction_NS_24const_host_device_scalarIT1_EES4_PKS4_PKT2_SD_SA_PKT4_PKT5_S8_PT6_21rocsparse_index_base_b, .Lfunc_end166-_ZN9rocsparseL18bsrxmvn_4x4_kernelILj128ELj8E21rocsparse_complex_numIdEiiS1_IfES2_S2_EEvT3_20rocsparse_direction_NS_24const_host_device_scalarIT1_EES4_PKS4_PKT2_SD_SA_PKT4_PKT5_S8_PT6_21rocsparse_index_base_b
                                        ; -- End function
	.set _ZN9rocsparseL18bsrxmvn_4x4_kernelILj128ELj8E21rocsparse_complex_numIdEiiS1_IfES2_S2_EEvT3_20rocsparse_direction_NS_24const_host_device_scalarIT1_EES4_PKS4_PKT2_SD_SA_PKT4_PKT5_S8_PT6_21rocsparse_index_base_b.num_vgpr, 129
	.set _ZN9rocsparseL18bsrxmvn_4x4_kernelILj128ELj8E21rocsparse_complex_numIdEiiS1_IfES2_S2_EEvT3_20rocsparse_direction_NS_24const_host_device_scalarIT1_EES4_PKS4_PKT2_SD_SA_PKT4_PKT5_S8_PT6_21rocsparse_index_base_b.num_agpr, 0
	.set _ZN9rocsparseL18bsrxmvn_4x4_kernelILj128ELj8E21rocsparse_complex_numIdEiiS1_IfES2_S2_EEvT3_20rocsparse_direction_NS_24const_host_device_scalarIT1_EES4_PKS4_PKT2_SD_SA_PKT4_PKT5_S8_PT6_21rocsparse_index_base_b.numbered_sgpr, 14
	.set _ZN9rocsparseL18bsrxmvn_4x4_kernelILj128ELj8E21rocsparse_complex_numIdEiiS1_IfES2_S2_EEvT3_20rocsparse_direction_NS_24const_host_device_scalarIT1_EES4_PKS4_PKT2_SD_SA_PKT4_PKT5_S8_PT6_21rocsparse_index_base_b.num_named_barrier, 0
	.set _ZN9rocsparseL18bsrxmvn_4x4_kernelILj128ELj8E21rocsparse_complex_numIdEiiS1_IfES2_S2_EEvT3_20rocsparse_direction_NS_24const_host_device_scalarIT1_EES4_PKS4_PKT2_SD_SA_PKT4_PKT5_S8_PT6_21rocsparse_index_base_b.private_seg_size, 0
	.set _ZN9rocsparseL18bsrxmvn_4x4_kernelILj128ELj8E21rocsparse_complex_numIdEiiS1_IfES2_S2_EEvT3_20rocsparse_direction_NS_24const_host_device_scalarIT1_EES4_PKS4_PKT2_SD_SA_PKT4_PKT5_S8_PT6_21rocsparse_index_base_b.uses_vcc, 1
	.set _ZN9rocsparseL18bsrxmvn_4x4_kernelILj128ELj8E21rocsparse_complex_numIdEiiS1_IfES2_S2_EEvT3_20rocsparse_direction_NS_24const_host_device_scalarIT1_EES4_PKS4_PKT2_SD_SA_PKT4_PKT5_S8_PT6_21rocsparse_index_base_b.uses_flat_scratch, 0
	.set _ZN9rocsparseL18bsrxmvn_4x4_kernelILj128ELj8E21rocsparse_complex_numIdEiiS1_IfES2_S2_EEvT3_20rocsparse_direction_NS_24const_host_device_scalarIT1_EES4_PKS4_PKT2_SD_SA_PKT4_PKT5_S8_PT6_21rocsparse_index_base_b.has_dyn_sized_stack, 0
	.set _ZN9rocsparseL18bsrxmvn_4x4_kernelILj128ELj8E21rocsparse_complex_numIdEiiS1_IfES2_S2_EEvT3_20rocsparse_direction_NS_24const_host_device_scalarIT1_EES4_PKS4_PKT2_SD_SA_PKT4_PKT5_S8_PT6_21rocsparse_index_base_b.has_recursion, 0
	.set _ZN9rocsparseL18bsrxmvn_4x4_kernelILj128ELj8E21rocsparse_complex_numIdEiiS1_IfES2_S2_EEvT3_20rocsparse_direction_NS_24const_host_device_scalarIT1_EES4_PKS4_PKT2_SD_SA_PKT4_PKT5_S8_PT6_21rocsparse_index_base_b.has_indirect_call, 0
	.section	.AMDGPU.csdata,"",@progbits
; Kernel info:
; codeLenInByte = 11884
; TotalNumSgprs: 16
; NumVgprs: 129
; ScratchSize: 0
; MemoryBound: 0
; FloatMode: 240
; IeeeMode: 1
; LDSByteSize: 0 bytes/workgroup (compile time only)
; SGPRBlocks: 0
; VGPRBlocks: 16
; NumSGPRsForWavesPerEU: 16
; NumVGPRsForWavesPerEU: 129
; Occupancy: 10
; WaveLimiterHint : 1
; COMPUTE_PGM_RSRC2:SCRATCH_EN: 0
; COMPUTE_PGM_RSRC2:USER_SGPR: 2
; COMPUTE_PGM_RSRC2:TRAP_HANDLER: 0
; COMPUTE_PGM_RSRC2:TGID_X_EN: 1
; COMPUTE_PGM_RSRC2:TGID_Y_EN: 0
; COMPUTE_PGM_RSRC2:TGID_Z_EN: 0
; COMPUTE_PGM_RSRC2:TIDIG_COMP_CNT: 0
	.section	.text._ZN9rocsparseL18bsrxmvn_4x4_kernelILj128ELj16E21rocsparse_complex_numIdEiiS1_IfES2_S2_EEvT3_20rocsparse_direction_NS_24const_host_device_scalarIT1_EES4_PKS4_PKT2_SD_SA_PKT4_PKT5_S8_PT6_21rocsparse_index_base_b,"axG",@progbits,_ZN9rocsparseL18bsrxmvn_4x4_kernelILj128ELj16E21rocsparse_complex_numIdEiiS1_IfES2_S2_EEvT3_20rocsparse_direction_NS_24const_host_device_scalarIT1_EES4_PKS4_PKT2_SD_SA_PKT4_PKT5_S8_PT6_21rocsparse_index_base_b,comdat
	.globl	_ZN9rocsparseL18bsrxmvn_4x4_kernelILj128ELj16E21rocsparse_complex_numIdEiiS1_IfES2_S2_EEvT3_20rocsparse_direction_NS_24const_host_device_scalarIT1_EES4_PKS4_PKT2_SD_SA_PKT4_PKT5_S8_PT6_21rocsparse_index_base_b ; -- Begin function _ZN9rocsparseL18bsrxmvn_4x4_kernelILj128ELj16E21rocsparse_complex_numIdEiiS1_IfES2_S2_EEvT3_20rocsparse_direction_NS_24const_host_device_scalarIT1_EES4_PKS4_PKT2_SD_SA_PKT4_PKT5_S8_PT6_21rocsparse_index_base_b
	.p2align	8
	.type	_ZN9rocsparseL18bsrxmvn_4x4_kernelILj128ELj16E21rocsparse_complex_numIdEiiS1_IfES2_S2_EEvT3_20rocsparse_direction_NS_24const_host_device_scalarIT1_EES4_PKS4_PKT2_SD_SA_PKT4_PKT5_S8_PT6_21rocsparse_index_base_b,@function
_ZN9rocsparseL18bsrxmvn_4x4_kernelILj128ELj16E21rocsparse_complex_numIdEiiS1_IfES2_S2_EEvT3_20rocsparse_direction_NS_24const_host_device_scalarIT1_EES4_PKS4_PKT2_SD_SA_PKT4_PKT5_S8_PT6_21rocsparse_index_base_b: ; @_ZN9rocsparseL18bsrxmvn_4x4_kernelILj128ELj16E21rocsparse_complex_numIdEiiS1_IfES2_S2_EEvT3_20rocsparse_direction_NS_24const_host_device_scalarIT1_EES4_PKS4_PKT2_SD_SA_PKT4_PKT5_S8_PT6_21rocsparse_index_base_b
; %bb.0:
	s_clause 0x1
	s_load_b64 s[12:13], s[0:1], 0x68
	s_load_b64 s[2:3], s[0:1], 0x8
	s_add_nc_u64 s[4:5], s[0:1], 8
	s_load_b64 s[6:7], s[0:1], 0x50
	s_wait_kmcnt 0x0
	s_bitcmp1_b32 s13, 0
	s_cselect_b32 s2, s4, s2
	s_cselect_b32 s3, s5, s3
	s_delay_alu instid0(SALU_CYCLE_1)
	v_dual_mov_b32 v1, s2 :: v_dual_mov_b32 v2, s3
	s_add_nc_u64 s[2:3], s[0:1], 0x50
	s_wait_alu 0xfffe
	s_cselect_b32 s2, s2, s6
	s_cselect_b32 s3, s3, s7
	flat_load_b128 v[5:8], v[1:2]
	s_wait_alu 0xfffe
	v_dual_mov_b32 v1, s2 :: v_dual_mov_b32 v2, s3
	flat_load_b128 v[1:4], v[1:2]
	s_wait_loadcnt_dscnt 0x101
	v_cmp_eq_f64_e32 vcc_lo, 0, v[5:6]
	v_cmp_eq_f64_e64 s2, 0, v[7:8]
	s_and_b32 s4, vcc_lo, s2
	s_mov_b32 s2, -1
	s_and_saveexec_b32 s3, s4
	s_cbranch_execz .LBB167_2
; %bb.1:
	s_wait_loadcnt_dscnt 0x0
	v_cmp_neq_f64_e32 vcc_lo, 1.0, v[1:2]
	v_cmp_neq_f64_e64 s2, 0, v[3:4]
	s_wait_alu 0xfffe
	s_or_b32 s2, vcc_lo, s2
	s_wait_alu 0xfffe
	s_or_not1_b32 s2, s2, exec_lo
.LBB167_2:
	s_wait_alu 0xfffe
	s_or_b32 exec_lo, exec_lo, s3
	s_and_saveexec_b32 s3, s2
	s_cbranch_execz .LBB167_8
; %bb.3:
	s_clause 0x1
	s_load_b64 s[4:5], s[0:1], 0x20
	s_load_b64 s[2:3], s[0:1], 0x0
	v_lshrrev_b32_e32 v9, 4, v0
	s_delay_alu instid0(VALU_DEP_1)
	v_lshl_or_b32 v21, ttmp9, 3, v9
	s_wait_kmcnt 0x0
	s_cmp_lg_u64 s[4:5], 0
	s_cbranch_scc0 .LBB167_9
; %bb.4:
	s_load_b32 s6, s[0:1], 0x18
	s_mov_b32 s7, 0
                                        ; implicit-def: $vgpr9
	s_wait_kmcnt 0x0
	v_cmp_gt_i32_e32 vcc_lo, s6, v21
	s_mov_b32 s6, 0
	s_and_saveexec_b32 s8, vcc_lo
	s_delay_alu instid0(SALU_CYCLE_1)
	s_xor_b32 s8, exec_lo, s8
	s_cbranch_execz .LBB167_6
; %bb.5:
	v_ashrrev_i32_e32 v22, 31, v21
	s_mov_b32 s6, exec_lo
	s_delay_alu instid0(VALU_DEP_1) | instskip(NEXT) | instid1(VALU_DEP_1)
	v_lshlrev_b64_e32 v[9:10], 2, v[21:22]
	v_add_co_u32 v9, vcc_lo, s4, v9
	s_delay_alu instid0(VALU_DEP_1)
	v_add_co_ci_u32_e64 v10, null, s5, v10, vcc_lo
	global_load_b32 v9, v[9:10], off
	s_wait_loadcnt 0x0
	v_subrev_nc_u32_e32 v9, s12, v9
.LBB167_6:
	s_or_b32 exec_lo, exec_lo, s8
	s_delay_alu instid0(SALU_CYCLE_1)
	s_and_b32 vcc_lo, exec_lo, s7
	s_wait_alu 0xfffe
	s_cbranch_vccz .LBB167_10
.LBB167_7:
	v_cmp_gt_i32_e32 vcc_lo, s2, v21
	s_and_not1_b32 s2, s6, exec_lo
	s_and_b32 s4, vcc_lo, exec_lo
	s_wait_alu 0xfffe
	s_or_b32 s6, s2, s4
	s_wait_alu 0xfffe
	s_and_b32 exec_lo, exec_lo, s6
	s_cbranch_execnz .LBB167_11
.LBB167_8:
	s_nop 0
	s_sendmsg sendmsg(MSG_DEALLOC_VGPRS)
	s_endpgm
.LBB167_9:
	s_mov_b32 s6, 0
                                        ; implicit-def: $vgpr9
	s_cbranch_execnz .LBB167_7
.LBB167_10:
	v_mov_b32_e32 v21, v9
	s_and_b32 exec_lo, exec_lo, s6
	s_cbranch_execz .LBB167_8
.LBB167_11:
	s_load_b256 s[4:11], s[0:1], 0x28
	s_delay_alu instid0(VALU_DEP_1) | instskip(SKIP_1) | instid1(VALU_DEP_2)
	v_ashrrev_i32_e32 v22, 31, v21
	v_and_b32_e32 v0, 15, v0
	v_lshlrev_b64_e32 v[9:10], 2, v[21:22]
	s_wait_kmcnt 0x0
	s_delay_alu instid0(VALU_DEP_1) | instskip(SKIP_1) | instid1(VALU_DEP_2)
	v_add_co_u32 v11, vcc_lo, s4, v9
	s_wait_alu 0xfffd
	v_add_co_ci_u32_e64 v12, null, s5, v10, vcc_lo
	v_add_co_u32 v9, vcc_lo, s6, v9
	s_wait_alu 0xfffd
	v_add_co_ci_u32_e64 v10, null, s7, v10, vcc_lo
	global_load_b32 v35, v[11:12], off
	v_add_co_u32 v11, vcc_lo, v11, 4
	s_wait_alu 0xfffd
	v_add_co_ci_u32_e64 v12, null, 0, v12, vcc_lo
	s_cmp_eq_u64 s[6:7], 0
	s_load_b64 s[4:5], s[0:1], 0x48
	s_cselect_b32 vcc_lo, -1, 0
	s_cmp_eq_u32 s3, 1
	s_wait_alu 0xfffe
	v_dual_cndmask_b32 v10, v10, v12 :: v_dual_cndmask_b32 v9, v9, v11
	global_load_b32 v13, v[9:10], off
	s_wait_loadcnt 0x1
	v_subrev_nc_u32_e32 v9, s12, v35
	s_delay_alu instid0(VALU_DEP_1) | instskip(NEXT) | instid1(VALU_DEP_1)
	v_add_nc_u32_e32 v9, v9, v0
	v_ashrrev_i32_e32 v10, 31, v9
	s_wait_loadcnt 0x0
	v_subrev_nc_u32_e32 v34, s12, v13
	s_delay_alu instid0(VALU_DEP_2) | instskip(NEXT) | instid1(VALU_DEP_2)
	v_lshlrev_b64_e32 v[11:12], 7, v[9:10]
	v_cmp_lt_i32_e64 s2, v9, v34
	s_delay_alu instid0(VALU_DEP_2) | instskip(SKIP_1) | instid1(VALU_DEP_3)
	v_add_co_u32 v11, vcc_lo, s10, v11
	s_wait_alu 0xfffd
	v_add_co_ci_u32_e64 v12, null, s11, v12, vcc_lo
	s_cbranch_scc1 .LBB167_23
; %bb.12:
	v_dual_mov_b32 v13, 0 :: v_dual_mov_b32 v26, 0
	v_dual_mov_b32 v14, 0 :: v_dual_mov_b32 v19, 0
	;; [unrolled: 1-line block ×5, first 2 shown]
	v_mov_b32_e32 v20, 0
	v_dual_mov_b32 v18, 0 :: v_dual_mov_b32 v25, 0
	v_mov_b32_e32 v29, 0
	v_dual_mov_b32 v23, 0 :: v_dual_mov_b32 v16, 0
	s_and_saveexec_b32 s6, s2
	s_cbranch_execz .LBB167_22
; %bb.13:
	v_dual_mov_b32 v15, 0 :: v_dual_add_nc_u32 v10, v35, v0
	v_mov_b32_e32 v22, 0
	v_not_b32_e32 v13, v35
	v_dual_mov_b32 v26, 0 :: v_dual_mov_b32 v17, 0
	s_delay_alu instid0(VALU_DEP_4) | instskip(SKIP_2) | instid1(VALU_DEP_3)
	v_subrev_nc_u32_e32 v10, s12, v10
	v_mov_b32_e32 v28, 0
	v_dual_mov_b32 v24, 0 :: v_dual_mov_b32 v19, 0
	v_dual_mov_b32 v23, 0 :: v_dual_add_nc_u32 v10, 16, v10
	v_dual_mov_b32 v18, 0 :: v_dual_mov_b32 v33, v12
	v_dual_mov_b32 v16, 0 :: v_dual_mov_b32 v29, 0
	s_delay_alu instid0(VALU_DEP_3) | instskip(SKIP_3) | instid1(VALU_DEP_4)
	v_max_i32_e32 v10, v10, v34
	v_mov_b32_e32 v27, 0
	v_dual_mov_b32 v25, 0 :: v_dual_mov_b32 v20, 0
	v_mov_b32_e32 v32, v11
	v_add3_u32 v10, s12, v10, v13
	v_mov_b32_e32 v13, 0
	v_mov_b32_e32 v14, 0
	s_delay_alu instid0(VALU_DEP_3) | instskip(NEXT) | instid1(VALU_DEP_1)
	v_sub_nc_u32_e32 v10, v10, v0
	v_and_b32_e32 v30, 48, v10
	s_delay_alu instid0(VALU_DEP_1)
	v_cmp_ne_u32_e32 vcc_lo, 48, v30
	v_mov_b32_e32 v30, v9
	s_and_saveexec_b32 s3, vcc_lo
	s_cbranch_execz .LBB167_17
; %bb.14:
	v_lshrrev_b32_e32 v15, 4, v10
	v_dual_mov_b32 v13, 0 :: v_dual_mov_b32 v30, v9
	v_dual_mov_b32 v14, 0 :: v_dual_mov_b32 v19, 0
	s_delay_alu instid0(VALU_DEP_3) | instskip(SKIP_2) | instid1(VALU_DEP_3)
	v_dual_mov_b32 v24, 0 :: v_dual_add_nc_u32 v15, 1, v15
	v_dual_mov_b32 v25, 0 :: v_dual_mov_b32 v26, 0
	v_dual_mov_b32 v27, 0 :: v_dual_mov_b32 v28, 0
	v_dual_mov_b32 v20, 0 :: v_dual_and_b32 v31, 3, v15
	v_mov_b32_e32 v17, 0
	v_dual_mov_b32 v29, 0 :: v_dual_mov_b32 v22, 0
	v_mov_b32_e32 v15, 0
	v_dual_mov_b32 v33, v12 :: v_dual_mov_b32 v18, 0
	v_dual_mov_b32 v23, 0 :: v_dual_mov_b32 v16, 0
	v_sub_nc_u32_e32 v36, 0, v31
	v_mov_b32_e32 v32, v11
	s_mov_b32 s7, 0
.LBB167_15:                             ; =>This Inner Loop Header: Depth=1
	v_ashrrev_i32_e32 v31, 31, v30
	s_delay_alu instid0(VALU_DEP_3) | instskip(SKIP_2) | instid1(VALU_DEP_2)
	v_add_co_u32 v36, s10, v36, 1
	s_wait_alu 0xfffe
	s_or_b32 s7, s10, s7
	v_lshlrev_b64_e32 v[37:38], 2, v[30:31]
	v_add_nc_u32_e32 v30, 16, v30
	s_delay_alu instid0(VALU_DEP_2) | instskip(SKIP_1) | instid1(VALU_DEP_3)
	v_add_co_u32 v37, vcc_lo, s8, v37
	s_wait_alu 0xfffd
	v_add_co_ci_u32_e64 v38, null, s9, v38, vcc_lo
	global_load_b32 v31, v[37:38], off
	s_clause 0x7
	global_load_b128 v[37:40], v[32:33], off
	global_load_b128 v[41:44], v[32:33], off offset:32
	global_load_b128 v[45:48], v[32:33], off offset:64
	;; [unrolled: 1-line block ×7, first 2 shown]
	s_wait_loadcnt 0x8
	v_subrev_nc_u32_e32 v31, s12, v31
	s_wait_loadcnt 0x7
	v_cvt_f64_f32_e32 v[85:86], v37
	v_cvt_f64_f32_e32 v[37:38], v38
	s_wait_loadcnt 0x6
	v_cvt_f64_f32_e32 v[87:88], v41
	v_cvt_f64_f32_e32 v[41:42], v42
	v_lshlrev_b32_e32 v69, 2, v31
	s_wait_loadcnt 0x5
	v_cvt_f64_f32_e32 v[89:90], v45
	v_cvt_f64_f32_e32 v[45:46], v46
	s_wait_loadcnt 0x3
	v_cvt_f64_f32_e32 v[91:92], v53
	v_cvt_f64_f32_e32 v[53:54], v54
	v_ashrrev_i32_e32 v70, 31, v69
	v_cvt_f64_f32_e32 v[93:94], v43
	v_cvt_f64_f32_e32 v[43:44], v44
	;; [unrolled: 1-line block ×4, first 2 shown]
	v_lshlrev_b64_e32 v[69:70], 4, v[69:70]
	v_cvt_f64_f32_e32 v[97:98], v55
	v_cvt_f64_f32_e32 v[55:56], v56
	s_wait_kmcnt 0x0
	s_delay_alu instid0(VALU_DEP_3)
	v_add_co_u32 v81, vcc_lo, s4, v69
	s_wait_alu 0xfffd
	v_add_co_ci_u32_e64 v82, null, s5, v70, vcc_lo
	v_add_co_u32 v32, vcc_lo, 0x800, v32
	s_wait_alu 0xfffd
	v_add_co_ci_u32_e64 v33, null, 0, v33, vcc_lo
	s_clause 0x3
	global_load_b128 v[69:72], v[81:82], off
	global_load_b128 v[73:76], v[81:82], off offset:16
	global_load_b128 v[77:80], v[81:82], off offset:32
	;; [unrolled: 1-line block ×3, first 2 shown]
	s_wait_loadcnt 0x3
	v_fma_f64 v[19:20], v[85:86], v[69:70], v[19:20]
	v_fma_f64 v[13:14], v[37:38], v[69:70], v[13:14]
	;; [unrolled: 1-line block ×8, first 2 shown]
	v_cvt_f64_f32_e32 v[69:70], v39
	v_cvt_f64_f32_e32 v[39:40], v40
	v_fma_f64 v[19:20], -v[37:38], v[71:72], v[19:20]
	v_fma_f64 v[13:14], v[85:86], v[71:72], v[13:14]
	v_fma_f64 v[24:25], -v[41:42], v[71:72], v[24:25]
	v_fma_f64 v[17:18], v[87:88], v[71:72], v[17:18]
	;; [unrolled: 2-line block ×4, first 2 shown]
	v_cvt_f64_f32_e32 v[37:38], v57
	v_cvt_f64_f32_e32 v[41:42], v58
	;; [unrolled: 1-line block ×8, first 2 shown]
	s_wait_loadcnt 0x2
	v_fma_f64 v[19:20], v[69:70], v[73:74], v[19:20]
	v_fma_f64 v[13:14], v[39:40], v[73:74], v[13:14]
	v_fma_f64 v[24:25], v[93:94], v[73:74], v[24:25]
	v_fma_f64 v[17:18], v[43:44], v[73:74], v[17:18]
	v_fma_f64 v[28:29], v[95:96], v[73:74], v[28:29]
	v_fma_f64 v[26:27], v[47:48], v[73:74], v[26:27]
	v_fma_f64 v[15:16], v[97:98], v[73:74], v[15:16]
	v_fma_f64 v[22:23], v[55:56], v[73:74], v[22:23]
	v_fma_f64 v[19:20], -v[39:40], v[75:76], v[19:20]
	v_fma_f64 v[13:14], v[69:70], v[75:76], v[13:14]
	v_fma_f64 v[24:25], -v[43:44], v[75:76], v[24:25]
	v_fma_f64 v[17:18], v[93:94], v[75:76], v[17:18]
	;; [unrolled: 2-line block ×4, first 2 shown]
	v_cvt_f64_f32_e32 v[39:40], v59
	v_cvt_f64_f32_e32 v[43:44], v60
	;; [unrolled: 1-line block ×8, first 2 shown]
	s_wait_loadcnt 0x1
	v_fma_f64 v[19:20], v[37:38], v[77:78], v[19:20]
	v_fma_f64 v[13:14], v[41:42], v[77:78], v[13:14]
	;; [unrolled: 1-line block ×8, first 2 shown]
	v_fma_f64 v[19:20], -v[41:42], v[79:80], v[19:20]
	v_fma_f64 v[13:14], v[37:38], v[79:80], v[13:14]
	v_fma_f64 v[24:25], -v[49:50], v[79:80], v[24:25]
	v_fma_f64 v[17:18], v[45:46], v[79:80], v[17:18]
	;; [unrolled: 2-line block ×4, first 2 shown]
	s_wait_loadcnt 0x0
	v_fma_f64 v[19:20], v[39:40], v[81:82], v[19:20]
	v_fma_f64 v[13:14], v[43:44], v[81:82], v[13:14]
	;; [unrolled: 1-line block ×8, first 2 shown]
	v_fma_f64 v[19:20], -v[43:44], v[83:84], v[19:20]
	v_fma_f64 v[13:14], v[39:40], v[83:84], v[13:14]
	v_fma_f64 v[24:25], -v[51:52], v[83:84], v[24:25]
	v_fma_f64 v[17:18], v[47:48], v[83:84], v[17:18]
	;; [unrolled: 2-line block ×4, first 2 shown]
	s_wait_alu 0xfffe
	s_and_not1_b32 exec_lo, exec_lo, s7
	s_cbranch_execnz .LBB167_15
; %bb.16:
	s_or_b32 exec_lo, exec_lo, s7
.LBB167_17:
	s_wait_alu 0xfffe
	s_or_b32 exec_lo, exec_lo, s3
	s_delay_alu instid0(SALU_CYCLE_1)
	s_mov_b32 s7, exec_lo
	v_cmpx_lt_u32_e32 47, v10
	s_cbranch_execz .LBB167_21
; %bb.18:
	s_mov_b32 s10, 0
.LBB167_19:                             ; =>This Inner Loop Header: Depth=1
	v_ashrrev_i32_e32 v31, 31, v30
	s_delay_alu instid0(VALU_DEP_1) | instskip(SKIP_1) | instid1(VALU_DEP_2)
	v_lshlrev_b64_e32 v[36:37], 2, v[30:31]
	v_add_nc_u32_e32 v30, 64, v30
	v_add_co_u32 v52, vcc_lo, s8, v36
	s_wait_alu 0xfffd
	s_delay_alu instid0(VALU_DEP_3)
	v_add_co_ci_u32_e64 v53, null, s9, v37, vcc_lo
	global_load_b32 v31, v[52:53], off
	s_clause 0x3
	global_load_b128 v[36:39], v[32:33], off
	global_load_b128 v[40:43], v[32:33], off offset:32
	global_load_b128 v[44:47], v[32:33], off offset:64
	;; [unrolled: 1-line block ×3, first 2 shown]
	s_clause 0x2
	global_load_b32 v100, v[52:53], off offset:64
	global_load_b32 v128, v[52:53], off offset:128
	;; [unrolled: 1-line block ×3, first 2 shown]
	s_wait_loadcnt 0x7
	v_subrev_nc_u32_e32 v31, s12, v31
	s_wait_loadcnt 0x6
	v_cvt_f64_f32_e32 v[104:105], v36
	v_cvt_f64_f32_e32 v[36:37], v37
	s_wait_loadcnt 0x5
	v_cvt_f64_f32_e32 v[106:107], v40
	v_cvt_f64_f32_e32 v[40:41], v41
	v_lshlrev_b32_e32 v52, 2, v31
	s_wait_loadcnt 0x2
	v_subrev_nc_u32_e32 v31, s12, v100
	v_cvt_f64_f32_e32 v[108:109], v44
	v_cvt_f64_f32_e32 v[44:45], v45
	;; [unrolled: 1-line block ×3, first 2 shown]
	v_ashrrev_i32_e32 v53, 31, v52
	v_lshlrev_b32_e32 v100, 2, v31
	v_cvt_f64_f32_e32 v[48:49], v49
	v_cvt_f64_f32_e32 v[114:115], v39
	;; [unrolled: 1-line block ×3, first 2 shown]
	v_lshlrev_b64_e32 v[52:53], 4, v[52:53]
	v_ashrrev_i32_e32 v101, 31, v100
	v_cvt_f64_f32_e32 v[42:43], v43
	v_cvt_f64_f32_e32 v[118:119], v46
	;; [unrolled: 1-line block ×4, first 2 shown]
	s_wait_kmcnt 0x0
	v_add_co_u32 v80, vcc_lo, s4, v52
	s_wait_alu 0xfffd
	v_add_co_ci_u32_e64 v81, null, s5, v53, vcc_lo
	v_lshlrev_b64_e32 v[100:101], 4, v[100:101]
	v_cvt_f64_f32_e32 v[50:51], v51
	s_wait_loadcnt 0x1
	v_subrev_nc_u32_e32 v31, s12, v128
	s_clause 0x1
	global_load_b128 v[52:55], v[80:81], off
	global_load_b128 v[56:59], v[80:81], off offset:16
	s_clause 0x3
	global_load_b128 v[60:63], v[32:33], off offset:16
	global_load_b128 v[64:67], v[32:33], off offset:48
	;; [unrolled: 1-line block ×4, first 2 shown]
	s_clause 0x1
	global_load_b128 v[76:79], v[80:81], off offset:32
	global_load_b128 v[80:83], v[80:81], off offset:48
	s_clause 0x3
	global_load_b128 v[84:87], v[32:33], off offset:2048
	global_load_b128 v[88:91], v[32:33], off offset:2080
	;; [unrolled: 1-line block ×4, first 2 shown]
	s_wait_loadcnt 0xc
	v_subrev_nc_u32_e32 v10, s12, v10
	v_add_co_u32 v112, vcc_lo, s4, v100
	s_wait_alu 0xfffd
	v_add_co_ci_u32_e64 v113, null, s5, v101, vcc_lo
	global_load_b128 v[100:103], v[112:113], off
	s_wait_loadcnt 0xc
	v_fma_f64 v[19:20], v[104:105], v[52:53], v[19:20]
	v_fma_f64 v[13:14], v[36:37], v[52:53], v[13:14]
	;; [unrolled: 1-line block ×8, first 2 shown]
	v_cvt_f64_f32_e32 v[52:53], v38
	s_wait_loadcnt 0x9
	v_cvt_f64_f32_e32 v[122:123], v64
	v_cvt_f64_f32_e32 v[64:65], v65
	s_wait_loadcnt 0x8
	v_cvt_f64_f32_e32 v[124:125], v68
	;; [unrolled: 3-line block ×3, first 2 shown]
	v_cvt_f64_f32_e32 v[72:73], v73
	v_fma_f64 v[19:20], -v[36:37], v[54:55], v[19:20]
	v_fma_f64 v[36:37], v[104:105], v[54:55], v[13:14]
	v_fma_f64 v[24:25], -v[40:41], v[54:55], v[24:25]
	v_fma_f64 v[17:18], v[106:107], v[54:55], v[17:18]
	;; [unrolled: 2-line block ×4, first 2 shown]
	global_load_b128 v[13:16], v[112:113], off offset:16
	v_cvt_f64_f32_e32 v[110:111], v60
	v_cvt_f64_f32_e32 v[60:61], v61
	v_fma_f64 v[40:41], v[52:53], v[56:57], v[19:20]
	v_fma_f64 v[44:45], v[114:115], v[56:57], v[36:37]
	;; [unrolled: 1-line block ×8, first 2 shown]
	s_clause 0x3
	global_load_b128 v[17:20], v[32:33], off offset:2064
	global_load_b128 v[22:25], v[32:33], off offset:2096
	;; [unrolled: 1-line block ×4, first 2 shown]
	v_fma_f64 v[114:115], -v[114:115], v[58:59], v[40:41]
	v_fma_f64 v[44:45], v[52:53], v[58:59], v[44:45]
	v_fma_f64 v[48:49], -v[42:43], v[58:59], v[48:49]
	v_fma_f64 v[52:53], v[116:117], v[58:59], v[54:55]
	;; [unrolled: 2-line block ×4, first 2 shown]
	global_load_b128 v[40:43], v[112:113], off offset:32
	v_cvt_f64_f32_e32 v[104:105], v63
	v_cvt_f64_f32_e32 v[106:107], v66
	;; [unrolled: 1-line block ×5, first 2 shown]
	s_wait_loadcnt 0xa
	v_cvt_f64_f32_e32 v[118:119], v84
	v_cvt_f64_f32_e32 v[84:85], v85
	s_wait_loadcnt 0x9
	v_cvt_f64_f32_e32 v[120:121], v88
	v_cvt_f64_f32_e32 v[88:89], v89
	v_fma_f64 v[58:59], v[110:111], v[76:77], v[114:115]
	v_fma_f64 v[44:45], v[60:61], v[76:77], v[44:45]
	;; [unrolled: 1-line block ×8, first 2 shown]
	v_cvt_f64_f32_e32 v[76:77], v62
	v_cvt_f64_f32_e32 v[114:115], v74
	;; [unrolled: 1-line block ×3, first 2 shown]
	v_fma_f64 v[58:59], -v[60:61], v[78:79], v[58:59]
	v_fma_f64 v[60:61], v[110:111], v[78:79], v[44:45]
	v_fma_f64 v[62:63], -v[64:65], v[78:79], v[48:49]
	v_fma_f64 v[64:65], v[122:123], v[78:79], v[52:53]
	v_fma_f64 v[68:69], -v[68:69], v[78:79], v[46:47]
	v_fma_f64 v[110:111], v[124:125], v[78:79], v[54:55]
	v_fma_f64 v[72:73], -v[72:73], v[78:79], v[50:51]
	v_fma_f64 v[56:57], v[126:127], v[78:79], v[56:57]
	global_load_b128 v[44:47], v[112:113], off offset:48
	s_clause 0x1
	global_load_b128 v[48:51], v[32:33], off offset:4128
	global_load_b128 v[52:55], v[32:33], off offset:4096
	v_lshlrev_b32_e32 v126, 2, v31
	s_wait_loadcnt 0xb
	v_cvt_f64_f32_e32 v[122:123], v92
	v_cvt_f64_f32_e32 v[92:93], v93
	s_wait_loadcnt 0xa
	v_cvt_f64_f32_e32 v[124:125], v96
	v_cvt_f64_f32_e32 v[96:97], v97
	v_ashrrev_i32_e32 v127, 31, v126
	v_fma_f64 v[78:79], v[76:77], v[80:81], v[58:59]
	v_fma_f64 v[112:113], v[104:105], v[80:81], v[60:61]
	;; [unrolled: 1-line block ×8, first 2 shown]
	s_clause 0x1
	global_load_b128 v[56:59], v[32:33], off offset:4160
	global_load_b128 v[60:63], v[32:33], off offset:4192
	v_fma_f64 v[78:79], -v[104:105], v[82:83], v[78:79]
	v_fma_f64 v[76:77], v[76:77], v[82:83], v[112:113]
	v_fma_f64 v[104:105], -v[66:67], v[82:83], v[116:117]
	v_fma_f64 v[106:107], v[106:107], v[82:83], v[64:65]
	;; [unrolled: 2-line block ×4, first 2 shown]
	v_lshlrev_b64_e32 v[64:65], 4, v[126:127]
	v_cvt_f64_f32_e32 v[110:111], v94
	v_cvt_f64_f32_e32 v[94:95], v95
	;; [unrolled: 1-line block ×4, first 2 shown]
	v_add_co_u32 v108, vcc_lo, s4, v64
	s_wait_alu 0xfffd
	v_add_co_ci_u32_e64 v109, null, s5, v65, vcc_lo
	global_load_b128 v[64:67], v[108:109], off
	s_wait_loadcnt 0xc
	v_fma_f64 v[78:79], v[118:119], v[100:101], v[78:79]
	v_fma_f64 v[76:77], v[84:85], v[100:101], v[76:77]
	;; [unrolled: 1-line block ×8, first 2 shown]
	v_cvt_f64_f32_e32 v[100:101], v86
	v_cvt_f64_f32_e32 v[104:105], v87
	;; [unrolled: 1-line block ×4, first 2 shown]
	v_fma_f64 v[78:79], -v[84:85], v[102:103], v[78:79]
	v_fma_f64 v[76:77], v[118:119], v[102:103], v[76:77]
	v_fma_f64 v[80:81], -v[88:89], v[102:103], v[80:81]
	v_fma_f64 v[82:83], v[120:121], v[102:103], v[82:83]
	;; [unrolled: 2-line block ×4, first 2 shown]
	global_load_b128 v[68:71], v[108:109], off offset:16
	s_wait_loadcnt 0xc
	v_fma_f64 v[88:89], v[100:101], v[13:14], v[78:79]
	v_fma_f64 v[92:93], v[104:105], v[13:14], v[76:77]
	;; [unrolled: 1-line block ×8, first 2 shown]
	s_clause 0x3
	global_load_b128 v[72:75], v[32:33], off offset:4112
	global_load_b128 v[76:79], v[32:33], off offset:4144
	global_load_b128 v[80:83], v[32:33], off offset:4176
	global_load_b128 v[84:87], v[32:33], off offset:4208
	s_wait_loadcnt 0xf
	v_cvt_f64_f32_e32 v[120:121], v17
	v_cvt_f64_f32_e32 v[17:18], v18
	s_wait_loadcnt 0xe
	v_cvt_f64_f32_e32 v[122:123], v22
	v_cvt_f64_f32_e32 v[22:23], v23
	;; [unrolled: 3-line block ×4, first 2 shown]
	v_fma_f64 v[88:89], -v[104:105], v[15:16], v[88:89]
	v_fma_f64 v[92:93], v[100:101], v[15:16], v[92:93]
	v_fma_f64 v[90:91], -v[90:91], v[15:16], v[96:97]
	v_fma_f64 v[96:97], v[106:107], v[15:16], v[102:103]
	;; [unrolled: 2-line block ×4, first 2 shown]
	global_load_b128 v[13:16], v[108:109], off offset:32
	v_cvt_f64_f32_e32 v[104:105], v20
	v_cvt_f64_f32_e32 v[106:107], v24
	;; [unrolled: 1-line block ×7, first 2 shown]
	s_wait_loadcnt 0xc
	v_fma_f64 v[88:89], v[120:121], v[40:41], v[88:89]
	v_fma_f64 v[92:93], v[17:18], v[40:41], v[92:93]
	v_fma_f64 v[90:91], v[122:123], v[40:41], v[90:91]
	v_fma_f64 v[96:97], v[22:23], v[40:41], v[96:97]
	v_fma_f64 v[94:95], v[124:125], v[40:41], v[94:95]
	v_fma_f64 v[100:101], v[26:27], v[40:41], v[100:101]
	v_fma_f64 v[98:99], v[126:127], v[40:41], v[98:99]
	v_fma_f64 v[40:41], v[36:37], v[40:41], v[102:103]
	v_cvt_f64_f32_e32 v[102:103], v19
	v_fma_f64 v[24:25], -v[17:18], v[42:43], v[88:89]
	v_fma_f64 v[28:29], v[120:121], v[42:43], v[92:93]
	v_fma_f64 v[22:23], -v[22:23], v[42:43], v[90:91]
	v_fma_f64 v[38:39], v[122:123], v[42:43], v[96:97]
	;; [unrolled: 2-line block ×4, first 2 shown]
	global_load_b128 v[17:20], v[108:109], off offset:48
	v_lshlrev_b32_e32 v126, 2, v10
	s_delay_alu instid0(VALU_DEP_1)
	v_ashrrev_i32_e32 v127, 31, v126
	s_wait_loadcnt 0xb
	v_cvt_f64_f32_e32 v[120:121], v48
	s_wait_loadcnt 0xa
	v_cvt_f64_f32_e32 v[108:109], v52
	v_cvt_f64_f32_e32 v[52:53], v53
	;; [unrolled: 1-line block ×3, first 2 shown]
	v_fma_f64 v[90:91], v[102:103], v[44:45], v[24:25]
	v_fma_f64 v[92:93], v[104:105], v[44:45], v[28:29]
	;; [unrolled: 1-line block ×8, first 2 shown]
	s_clause 0x3
	global_load_b128 v[22:25], v[32:33], off offset:6144
	global_load_b128 v[26:29], v[32:33], off offset:6176
	;; [unrolled: 1-line block ×4, first 2 shown]
	s_wait_loadcnt 0xd
	v_cvt_f64_f32_e32 v[122:123], v56
	v_cvt_f64_f32_e32 v[56:57], v57
	s_wait_loadcnt 0xc
	v_cvt_f64_f32_e32 v[124:125], v60
	v_cvt_f64_f32_e32 v[60:61], v61
	v_fma_f64 v[90:91], -v[104:105], v[46:47], v[90:91]
	v_fma_f64 v[92:93], v[102:103], v[46:47], v[92:93]
	v_fma_f64 v[94:95], -v[110:111], v[46:47], v[94:95]
	v_fma_f64 v[96:97], v[106:107], v[46:47], v[96:97]
	;; [unrolled: 2-line block ×4, first 2 shown]
	v_lshlrev_b64_e32 v[44:45], 4, v[126:127]
	v_cvt_f64_f32_e32 v[106:107], v55
	v_cvt_f64_f32_e32 v[110:111], v50
	v_cvt_f64_f32_e32 v[112:113], v51
	v_cvt_f64_f32_e32 v[114:115], v58
	v_cvt_f64_f32_e32 v[116:117], v59
	v_add_co_u32 v104, vcc_lo, s4, v44
	s_wait_alu 0xfffd
	v_add_co_ci_u32_e64 v105, null, s5, v45, vcc_lo
	v_cvt_f64_f32_e32 v[118:119], v62
	v_cvt_f64_f32_e32 v[126:127], v63
	v_cmp_ge_i32_e32 vcc_lo, v30, v34
	global_load_b128 v[44:47], v[104:105], off
	s_wait_alu 0xfffe
	s_or_b32 s10, vcc_lo, s10
	s_wait_loadcnt 0xc
	v_fma_f64 v[90:91], v[108:109], v[64:65], v[90:91]
	v_fma_f64 v[92:93], v[52:53], v[64:65], v[92:93]
	;; [unrolled: 1-line block ×8, first 2 shown]
	v_cvt_f64_f32_e32 v[102:103], v54
	v_fma_f64 v[52:53], -v[52:53], v[66:67], v[90:91]
	v_fma_f64 v[54:55], v[108:109], v[66:67], v[92:93]
	v_fma_f64 v[58:59], -v[48:49], v[66:67], v[94:95]
	v_fma_f64 v[62:63], v[120:121], v[66:67], v[96:97]
	;; [unrolled: 2-line block ×4, first 2 shown]
	global_load_b128 v[48:51], v[104:105], off offset:16
	s_wait_loadcnt 0xc
	v_fma_f64 v[90:91], v[102:103], v[68:69], v[52:53]
	v_fma_f64 v[92:93], v[106:107], v[68:69], v[54:55]
	;; [unrolled: 1-line block ×8, first 2 shown]
	s_clause 0x3
	global_load_b128 v[52:55], v[32:33], off offset:6160
	global_load_b128 v[56:59], v[32:33], off offset:6192
	;; [unrolled: 1-line block ×4, first 2 shown]
	v_add_co_u32 v32, s3, 0x2000, v32
	s_wait_alu 0xf1ff
	v_add_co_ci_u32_e64 v33, null, 0, v33, s3
	s_wait_loadcnt 0xf
	v_cvt_f64_f32_e32 v[108:109], v72
	v_cvt_f64_f32_e32 v[72:73], v73
	s_wait_loadcnt 0xe
	v_cvt_f64_f32_e32 v[120:121], v76
	v_cvt_f64_f32_e32 v[76:77], v77
	s_wait_loadcnt 0xd
	v_cvt_f64_f32_e32 v[122:123], v80
	v_cvt_f64_f32_e32 v[80:81], v81
	s_wait_loadcnt 0xc
	v_cvt_f64_f32_e32 v[124:125], v84
	v_cvt_f64_f32_e32 v[84:85], v85
	v_fma_f64 v[90:91], -v[106:107], v[70:71], v[90:91]
	v_fma_f64 v[92:93], v[102:103], v[70:71], v[92:93]
	v_fma_f64 v[94:95], -v[112:113], v[70:71], v[94:95]
	v_fma_f64 v[96:97], v[110:111], v[70:71], v[96:97]
	;; [unrolled: 2-line block ×4, first 2 shown]
	global_load_b128 v[68:71], v[104:105], off offset:32
	v_cvt_f64_f32_e32 v[106:107], v75
	v_cvt_f64_f32_e32 v[110:111], v78
	;; [unrolled: 1-line block ×7, first 2 shown]
	s_wait_loadcnt 0xc
	v_fma_f64 v[90:91], v[108:109], v[13:14], v[90:91]
	v_fma_f64 v[92:93], v[72:73], v[13:14], v[92:93]
	;; [unrolled: 1-line block ×8, first 2 shown]
	v_cvt_f64_f32_e32 v[102:103], v74
	v_fma_f64 v[90:91], -v[72:73], v[15:16], v[90:91]
	v_fma_f64 v[92:93], v[108:109], v[15:16], v[92:93]
	v_fma_f64 v[76:77], -v[76:77], v[15:16], v[94:95]
	v_fma_f64 v[94:95], v[120:121], v[15:16], v[96:97]
	;; [unrolled: 2-line block ×4, first 2 shown]
	global_load_b128 v[72:75], v[104:105], off offset:48
	s_wait_loadcnt 0xc
	v_fma_f64 v[15:16], v[102:103], v[17:18], v[90:91]
	v_fma_f64 v[90:91], v[106:107], v[17:18], v[92:93]
	;; [unrolled: 1-line block ×8, first 2 shown]
	s_wait_loadcnt 0xb
	v_cvt_f64_f32_e32 v[17:18], v22
	v_cvt_f64_f32_e32 v[22:23], v23
	s_wait_loadcnt 0xa
	v_cvt_f64_f32_e32 v[94:95], v26
	v_cvt_f64_f32_e32 v[26:27], v27
	;; [unrolled: 3-line block ×4, first 2 shown]
	v_fma_f64 v[15:16], -v[106:107], v[19:20], v[15:16]
	v_fma_f64 v[90:91], v[102:103], v[19:20], v[90:91]
	v_fma_f64 v[76:77], -v[78:79], v[19:20], v[76:77]
	v_fma_f64 v[78:79], v[110:111], v[19:20], v[92:93]
	v_fma_f64 v[80:81], -v[82:83], v[19:20], v[80:81]
	v_fma_f64 v[82:83], v[112:113], v[19:20], v[88:89]
	v_fma_f64 v[84:85], -v[86:87], v[19:20], v[84:85]
	v_fma_f64 v[13:14], v[114:115], v[19:20], v[13:14]
	v_cvt_f64_f32_e32 v[86:87], v28
	v_cvt_f64_f32_e32 v[28:29], v29
	;; [unrolled: 1-line block ×4, first 2 shown]
	s_wait_loadcnt 0x7
	v_fma_f64 v[15:16], v[17:18], v[44:45], v[15:16]
	v_fma_f64 v[19:20], v[22:23], v[44:45], v[90:91]
	;; [unrolled: 1-line block ×8, first 2 shown]
	v_cvt_f64_f32_e32 v[44:45], v24
	v_cvt_f64_f32_e32 v[24:25], v25
	;; [unrolled: 1-line block ×4, first 2 shown]
	v_fma_f64 v[15:16], -v[22:23], v[46:47], v[15:16]
	v_fma_f64 v[17:18], v[17:18], v[46:47], v[19:20]
	v_fma_f64 v[19:20], -v[26:27], v[46:47], v[76:77]
	v_fma_f64 v[22:23], v[94:95], v[46:47], v[78:79]
	;; [unrolled: 2-line block ×4, first 2 shown]
	s_wait_loadcnt 0x6
	v_fma_f64 v[15:16], v[44:45], v[48:49], v[15:16]
	v_fma_f64 v[17:18], v[24:25], v[48:49], v[17:18]
	;; [unrolled: 1-line block ×8, first 2 shown]
	s_wait_loadcnt 0x5
	v_cvt_f64_f32_e32 v[46:47], v52
	v_cvt_f64_f32_e32 v[48:49], v53
	s_wait_loadcnt 0x4
	v_cvt_f64_f32_e32 v[52:53], v56
	v_cvt_f64_f32_e32 v[56:57], v57
	s_wait_loadcnt 0x3
	v_cvt_f64_f32_e32 v[76:77], v60
	v_cvt_f64_f32_e32 v[60:61], v61
	s_wait_loadcnt 0x2
	v_cvt_f64_f32_e32 v[78:79], v64
	v_cvt_f64_f32_e32 v[64:65], v65
	v_fma_f64 v[15:16], -v[24:25], v[50:51], v[15:16]
	v_fma_f64 v[17:18], v[44:45], v[50:51], v[17:18]
	v_fma_f64 v[19:20], -v[28:29], v[50:51], v[19:20]
	v_fma_f64 v[22:23], v[86:87], v[50:51], v[22:23]
	;; [unrolled: 2-line block ×4, first 2 shown]
	v_cvt_f64_f32_e32 v[36:37], v54
	v_cvt_f64_f32_e32 v[38:39], v55
	;; [unrolled: 1-line block ×8, first 2 shown]
	s_wait_loadcnt 0x1
	v_fma_f64 v[15:16], v[46:47], v[68:69], v[15:16]
	v_fma_f64 v[17:18], v[48:49], v[68:69], v[17:18]
	;; [unrolled: 1-line block ×8, first 2 shown]
	v_fma_f64 v[15:16], -v[48:49], v[70:71], v[15:16]
	v_fma_f64 v[17:18], v[46:47], v[70:71], v[17:18]
	v_fma_f64 v[19:20], -v[56:57], v[70:71], v[19:20]
	v_fma_f64 v[22:23], v[52:53], v[70:71], v[22:23]
	;; [unrolled: 2-line block ×4, first 2 shown]
	s_wait_loadcnt 0x0
	v_fma_f64 v[15:16], v[36:37], v[72:73], v[15:16]
	v_fma_f64 v[17:18], v[38:39], v[72:73], v[17:18]
	;; [unrolled: 1-line block ×8, first 2 shown]
	v_fma_f64 v[19:20], -v[38:39], v[74:75], v[15:16]
	v_fma_f64 v[13:14], v[36:37], v[74:75], v[17:18]
	v_fma_f64 v[24:25], -v[42:43], v[74:75], v[46:47]
	v_fma_f64 v[17:18], v[40:41], v[74:75], v[22:23]
	;; [unrolled: 2-line block ×4, first 2 shown]
	s_wait_alu 0xfffe
	s_and_not1_b32 exec_lo, exec_lo, s10
	s_cbranch_execnz .LBB167_19
; %bb.20:
	s_or_b32 exec_lo, exec_lo, s10
.LBB167_21:
	s_wait_alu 0xfffe
	s_or_b32 exec_lo, exec_lo, s7
.LBB167_22:
	s_wait_alu 0xfffe
	s_or_b32 exec_lo, exec_lo, s6
	s_cbranch_execz .LBB167_24
	s_branch .LBB167_35
.LBB167_23:
                                        ; implicit-def: $vgpr13_vgpr14
                                        ; implicit-def: $vgpr19_vgpr20
                                        ; implicit-def: $vgpr17_vgpr18
                                        ; implicit-def: $vgpr24_vgpr25
                                        ; implicit-def: $vgpr26_vgpr27
                                        ; implicit-def: $vgpr28_vgpr29
                                        ; implicit-def: $vgpr22_vgpr23
                                        ; implicit-def: $vgpr15_vgpr16
.LBB167_24:
	v_dual_mov_b32 v13, 0 :: v_dual_mov_b32 v26, 0
	v_dual_mov_b32 v14, 0 :: v_dual_mov_b32 v19, 0
	;; [unrolled: 1-line block ×5, first 2 shown]
	v_mov_b32_e32 v20, 0
	v_dual_mov_b32 v18, 0 :: v_dual_mov_b32 v25, 0
	v_mov_b32_e32 v29, 0
	v_dual_mov_b32 v23, 0 :: v_dual_mov_b32 v16, 0
	s_and_saveexec_b32 s3, s2
	s_cbranch_execz .LBB167_34
; %bb.25:
	v_dual_mov_b32 v15, 0 :: v_dual_add_nc_u32 v10, v35, v0
	v_mov_b32_e32 v22, 0
	v_not_b32_e32 v13, v35
	v_mov_b32_e32 v28, 0
	s_delay_alu instid0(VALU_DEP_4) | instskip(SKIP_3) | instid1(VALU_DEP_4)
	v_subrev_nc_u32_e32 v10, s12, v10
	v_dual_mov_b32 v26, 0 :: v_dual_mov_b32 v19, 0
	v_mov_b32_e32 v24, 0
	v_dual_mov_b32 v16, 0 :: v_dual_mov_b32 v29, 0
	v_dual_mov_b32 v23, 0 :: v_dual_add_nc_u32 v10, 16, v10
	v_mov_b32_e32 v27, 0
	v_dual_mov_b32 v25, 0 :: v_dual_mov_b32 v20, 0
	s_delay_alu instid0(VALU_DEP_3) | instskip(SKIP_3) | instid1(VALU_DEP_3)
	v_max_i32_e32 v10, v10, v34
	s_mov_b32 s2, exec_lo
	v_mov_b32_e32 v17, 0
	v_mov_b32_e32 v18, 0
	v_add3_u32 v10, s12, v10, v13
	v_mov_b32_e32 v13, 0
	v_mov_b32_e32 v14, 0
	s_delay_alu instid0(VALU_DEP_3) | instskip(NEXT) | instid1(VALU_DEP_1)
	v_sub_nc_u32_e32 v30, v10, v0
	v_and_b32_e32 v10, 48, v30
	s_delay_alu instid0(VALU_DEP_1)
	v_cmpx_ne_u32_e32 48, v10
	s_cbranch_execz .LBB167_29
; %bb.26:
	v_lshrrev_b32_e32 v10, 4, v30
	v_mov_b32_e32 v24, 0
	v_mov_b32_e32 v26, 0
	v_dual_mov_b32 v28, 0 :: v_dual_mov_b32 v15, 0
	s_delay_alu instid0(VALU_DEP_4) | instskip(SKIP_2) | instid1(VALU_DEP_3)
	v_dual_mov_b32 v13, 0 :: v_dual_add_nc_u32 v10, 1, v10
	v_dual_mov_b32 v14, 0 :: v_dual_mov_b32 v19, 0
	v_dual_mov_b32 v20, 0 :: v_dual_mov_b32 v17, 0
	v_dual_mov_b32 v27, 0 :: v_dual_and_b32 v10, 3, v10
	v_mov_b32_e32 v22, 0
	v_dual_mov_b32 v18, 0 :: v_dual_mov_b32 v25, 0
	v_mov_b32_e32 v29, 0
	v_dual_mov_b32 v23, 0 :: v_dual_mov_b32 v16, 0
	v_sub_nc_u32_e32 v31, 0, v10
	s_mov_b32 s6, 0
.LBB167_27:                             ; =>This Inner Loop Header: Depth=1
	v_ashrrev_i32_e32 v10, 31, v9
	s_delay_alu instid0(VALU_DEP_2) | instskip(SKIP_2) | instid1(VALU_DEP_2)
	v_add_co_u32 v31, s7, v31, 1
	s_wait_alu 0xfffe
	s_or_b32 s6, s7, s6
	v_lshlrev_b64_e32 v[32:33], 2, v[9:10]
	v_add_nc_u32_e32 v9, 16, v9
	s_delay_alu instid0(VALU_DEP_2) | instskip(SKIP_1) | instid1(VALU_DEP_3)
	v_add_co_u32 v32, vcc_lo, s8, v32
	s_wait_alu 0xfffd
	v_add_co_ci_u32_e64 v33, null, s9, v33, vcc_lo
	global_load_b32 v10, v[32:33], off
	s_clause 0x1
	global_load_b128 v[35:38], v[11:12], off
	global_load_b128 v[39:42], v[11:12], off offset:16
	s_wait_loadcnt 0x2
	v_subrev_nc_u32_e32 v10, s12, v10
	s_wait_loadcnt 0x1
	v_cvt_f64_f32_e32 v[83:84], v37
	v_cvt_f64_f32_e32 v[37:38], v38
	s_wait_loadcnt 0x0
	v_cvt_f64_f32_e32 v[85:86], v39
	v_cvt_f64_f32_e32 v[39:40], v40
	v_lshlrev_b32_e32 v32, 2, v10
	v_cvt_f64_f32_e32 v[87:88], v41
	v_cvt_f64_f32_e32 v[41:42], v42
	s_delay_alu instid0(VALU_DEP_3) | instskip(NEXT) | instid1(VALU_DEP_1)
	v_ashrrev_i32_e32 v33, 31, v32
	v_lshlrev_b64_e32 v[32:33], 4, v[32:33]
	s_wait_kmcnt 0x0
	s_delay_alu instid0(VALU_DEP_1) | instskip(SKIP_1) | instid1(VALU_DEP_2)
	v_add_co_u32 v32, vcc_lo, s4, v32
	s_wait_alu 0xfffd
	v_add_co_ci_u32_e64 v33, null, s5, v33, vcc_lo
	s_clause 0x1
	global_load_b128 v[43:46], v[32:33], off
	global_load_b128 v[47:50], v[32:33], off offset:16
	s_clause 0x3
	global_load_b128 v[51:54], v[11:12], off offset:32
	global_load_b128 v[55:58], v[11:12], off offset:48
	;; [unrolled: 1-line block ×4, first 2 shown]
	s_clause 0x1
	global_load_b128 v[67:70], v[32:33], off offset:32
	global_load_b128 v[71:74], v[32:33], off offset:48
	s_clause 0x1
	global_load_b128 v[75:78], v[11:12], off offset:96
	global_load_b128 v[79:82], v[11:12], off offset:112
	v_cvt_f64_f32_e32 v[32:33], v35
	v_cvt_f64_f32_e32 v[35:36], v36
	v_add_co_u32 v11, vcc_lo, 0x800, v11
	s_wait_alu 0xfffd
	v_add_co_ci_u32_e64 v12, null, 0, v12, vcc_lo
	s_wait_loadcnt 0x9
	s_delay_alu instid0(VALU_DEP_4) | instskip(NEXT) | instid1(VALU_DEP_4)
	v_fma_f64 v[19:20], v[32:33], v[43:44], v[19:20]
	v_fma_f64 v[13:14], v[35:36], v[43:44], v[13:14]
	;; [unrolled: 1-line block ×8, first 2 shown]
	s_wait_loadcnt 0x7
	v_cvt_f64_f32_e32 v[43:44], v51
	v_cvt_f64_f32_e32 v[51:52], v52
	;; [unrolled: 1-line block ×4, first 2 shown]
	s_wait_loadcnt 0x6
	v_cvt_f64_f32_e32 v[91:92], v55
	v_cvt_f64_f32_e32 v[55:56], v56
	;; [unrolled: 1-line block ×4, first 2 shown]
	v_fma_f64 v[19:20], -v[35:36], v[45:46], v[19:20]
	v_fma_f64 v[13:14], v[32:33], v[45:46], v[13:14]
	v_fma_f64 v[24:25], -v[37:38], v[45:46], v[24:25]
	v_fma_f64 v[17:18], v[83:84], v[45:46], v[17:18]
	;; [unrolled: 2-line block ×4, first 2 shown]
	s_wait_loadcnt 0x5
	v_cvt_f64_f32_e32 v[32:33], v59
	v_cvt_f64_f32_e32 v[35:36], v60
	;; [unrolled: 1-line block ×4, first 2 shown]
	s_wait_loadcnt 0x4
	v_cvt_f64_f32_e32 v[41:42], v63
	v_cvt_f64_f32_e32 v[45:46], v64
	;; [unrolled: 1-line block ×3, first 2 shown]
	s_wait_loadcnt 0x0
	v_cvt_f64_f32_e32 v[61:62], v81
	v_cvt_f64_f32_e32 v[63:64], v82
	v_fma_f64 v[19:20], v[43:44], v[47:48], v[19:20]
	v_fma_f64 v[13:14], v[51:52], v[47:48], v[13:14]
	;; [unrolled: 1-line block ×8, first 2 shown]
	v_cvt_f64_f32_e32 v[47:48], v65
	v_fma_f64 v[19:20], -v[51:52], v[49:50], v[19:20]
	v_fma_f64 v[13:14], v[43:44], v[49:50], v[13:14]
	v_fma_f64 v[24:25], -v[53:54], v[49:50], v[24:25]
	v_fma_f64 v[17:18], v[89:90], v[49:50], v[17:18]
	v_fma_f64 v[28:29], -v[55:56], v[49:50], v[28:29]
	v_fma_f64 v[26:27], v[91:92], v[49:50], v[26:27]
	v_fma_f64 v[15:16], -v[57:58], v[49:50], v[15:16]
	v_fma_f64 v[22:23], v[93:94], v[49:50], v[22:23]
	v_cvt_f64_f32_e32 v[43:44], v75
	v_cvt_f64_f32_e32 v[49:50], v76
	;; [unrolled: 1-line block ×6, first 2 shown]
	v_fma_f64 v[19:20], v[32:33], v[67:68], v[19:20]
	v_fma_f64 v[13:14], v[35:36], v[67:68], v[13:14]
	;; [unrolled: 1-line block ×8, first 2 shown]
	v_fma_f64 v[19:20], -v[35:36], v[69:70], v[19:20]
	v_fma_f64 v[13:14], v[32:33], v[69:70], v[13:14]
	v_fma_f64 v[24:25], -v[39:40], v[69:70], v[24:25]
	v_fma_f64 v[17:18], v[37:38], v[69:70], v[17:18]
	;; [unrolled: 2-line block ×4, first 2 shown]
	v_fma_f64 v[19:20], v[43:44], v[71:72], v[19:20]
	v_fma_f64 v[13:14], v[49:50], v[71:72], v[13:14]
	;; [unrolled: 1-line block ×8, first 2 shown]
	v_fma_f64 v[19:20], -v[49:50], v[73:74], v[19:20]
	v_fma_f64 v[13:14], v[43:44], v[73:74], v[13:14]
	v_fma_f64 v[24:25], -v[53:54], v[73:74], v[24:25]
	v_fma_f64 v[17:18], v[51:52], v[73:74], v[17:18]
	;; [unrolled: 2-line block ×4, first 2 shown]
	s_wait_alu 0xfffe
	s_and_not1_b32 exec_lo, exec_lo, s6
	s_cbranch_execnz .LBB167_27
; %bb.28:
	s_or_b32 exec_lo, exec_lo, s6
.LBB167_29:
	s_wait_alu 0xfffe
	s_or_b32 exec_lo, exec_lo, s2
	s_delay_alu instid0(SALU_CYCLE_1)
	s_mov_b32 s6, exec_lo
	v_cmpx_lt_u32_e32 47, v30
	s_cbranch_execz .LBB167_33
; %bb.30:
	s_mov_b32 s7, 0
.LBB167_31:                             ; =>This Inner Loop Header: Depth=1
	v_ashrrev_i32_e32 v10, 31, v9
	s_delay_alu instid0(VALU_DEP_1) | instskip(SKIP_1) | instid1(VALU_DEP_2)
	v_lshlrev_b64_e32 v[30:31], 2, v[9:10]
	v_add_nc_u32_e32 v9, 64, v9
	v_add_co_u32 v39, vcc_lo, s8, v30
	s_wait_alu 0xfffd
	s_delay_alu instid0(VALU_DEP_3)
	v_add_co_ci_u32_e64 v40, null, s9, v31, vcc_lo
	global_load_b32 v10, v[39:40], off
	s_clause 0x1
	global_load_b128 v[30:33], v[11:12], off
	global_load_b128 v[35:38], v[11:12], off offset:16
	s_clause 0x2
	global_load_b32 v99, v[39:40], off offset:64
	global_load_b32 v117, v[39:40], off offset:128
	;; [unrolled: 1-line block ×3, first 2 shown]
	s_wait_loadcnt 0x5
	v_subrev_nc_u32_e32 v10, s12, v10
	s_wait_loadcnt 0x4
	v_cvt_f64_f32_e32 v[87:88], v30
	v_cvt_f64_f32_e32 v[89:90], v31
	;; [unrolled: 1-line block ×4, first 2 shown]
	v_lshlrev_b32_e32 v39, 2, v10
	s_wait_loadcnt 0x2
	v_subrev_nc_u32_e32 v10, s12, v99
	v_cvt_f64_f32_e32 v[95:96], v35
	v_cvt_f64_f32_e32 v[35:36], v36
	v_cvt_f64_f32_e32 v[97:98], v37
	v_ashrrev_i32_e32 v40, 31, v39
	v_lshlrev_b32_e32 v30, 2, v10
	v_cvt_f64_f32_e32 v[37:38], v38
	s_wait_loadcnt 0x1
	v_subrev_nc_u32_e32 v10, s12, v117
	v_lshlrev_b64_e32 v[39:40], 4, v[39:40]
	v_ashrrev_i32_e32 v31, 31, v30
	s_delay_alu instid0(VALU_DEP_1) | instskip(SKIP_1) | instid1(VALU_DEP_3)
	v_lshlrev_b64_e32 v[30:31], 4, v[30:31]
	s_wait_kmcnt 0x0
	v_add_co_u32 v75, vcc_lo, s4, v39
	s_wait_alu 0xfffd
	v_add_co_ci_u32_e64 v76, null, s5, v40, vcc_lo
	global_load_b128 v[39:42], v[75:76], off
	s_clause 0x1
	global_load_b128 v[43:46], v[11:12], off offset:32
	global_load_b128 v[47:50], v[11:12], off offset:48
	global_load_b128 v[51:54], v[75:76], off offset:16
	s_clause 0x1
	global_load_b128 v[55:58], v[11:12], off offset:64
	global_load_b128 v[59:62], v[11:12], off offset:80
	global_load_b128 v[63:66], v[75:76], off offset:32
	;; [unrolled: 4-line block ×3, first 2 shown]
	s_clause 0x1
	global_load_b128 v[79:82], v[11:12], off offset:2048
	global_load_b128 v[83:86], v[11:12], off offset:2064
	v_add_co_u32 v99, vcc_lo, s4, v30
	s_wait_alu 0xfffd
	v_add_co_ci_u32_e64 v100, null, s5, v31, vcc_lo
	global_load_b128 v[30:33], v[99:100], off
	s_wait_loadcnt 0xc
	v_fma_f64 v[101:102], v[87:88], v[39:40], v[19:20]
	v_fma_f64 v[103:104], v[89:90], v[39:40], v[13:14]
	;; [unrolled: 1-line block ×8, first 2 shown]
	s_clause 0x1
	global_load_b128 v[13:16], v[11:12], off offset:2080
	global_load_b128 v[17:20], v[11:12], off offset:2096
	s_wait_loadcnt 0xd
	v_cvt_f64_f32_e32 v[39:40], v43
	v_cvt_f64_f32_e32 v[43:44], v44
	;; [unrolled: 1-line block ×4, first 2 shown]
	s_wait_loadcnt 0xc
	v_cvt_f64_f32_e32 v[111:112], v47
	v_cvt_f64_f32_e32 v[47:48], v48
	;; [unrolled: 1-line block ×4, first 2 shown]
	v_fma_f64 v[89:90], -v[89:90], v[41:42], v[101:102]
	v_fma_f64 v[87:88], v[87:88], v[41:42], v[103:104]
	v_fma_f64 v[93:94], -v[93:94], v[41:42], v[24:25]
	v_fma_f64 v[91:92], v[91:92], v[41:42], v[105:106]
	;; [unrolled: 2-line block ×4, first 2 shown]
	global_load_b128 v[22:25], v[99:100], off offset:16
	s_wait_loadcnt 0xb
	v_cvt_f64_f32_e32 v[101:102], v55
	v_cvt_f64_f32_e32 v[55:56], v56
	;; [unrolled: 1-line block ×4, first 2 shown]
	s_wait_loadcnt 0xa
	v_cvt_f64_f32_e32 v[105:106], v59
	v_cvt_f64_f32_e32 v[59:60], v60
	v_cvt_f64_f32_e32 v[107:108], v61
	v_cvt_f64_f32_e32 v[61:62], v62
	v_fma_f64 v[41:42], v[39:40], v[51:52], v[89:90]
	v_fma_f64 v[87:88], v[43:44], v[51:52], v[87:88]
	;; [unrolled: 1-line block ×8, first 2 shown]
	s_clause 0x1
	global_load_b128 v[26:29], v[11:12], off offset:2112
	global_load_b128 v[35:38], v[11:12], off offset:2128
	v_fma_f64 v[43:44], -v[43:44], v[53:54], v[41:42]
	v_fma_f64 v[87:88], v[39:40], v[53:54], v[87:88]
	v_fma_f64 v[45:46], -v[45:46], v[53:54], v[89:90]
	v_fma_f64 v[89:90], v[109:110], v[53:54], v[91:92]
	;; [unrolled: 2-line block ×4, first 2 shown]
	global_load_b128 v[39:42], v[99:100], off offset:32
	s_wait_loadcnt 0xb
	v_cvt_f64_f32_e32 v[109:110], v69
	v_cvt_f64_f32_e32 v[69:70], v70
	s_wait_loadcnt 0xa
	v_cvt_f64_f32_e32 v[111:112], v71
	v_cvt_f64_f32_e32 v[71:72], v72
	;; [unrolled: 1-line block ×4, first 2 shown]
	v_fma_f64 v[53:54], v[101:102], v[63:64], v[43:44]
	v_fma_f64 v[87:88], v[55:56], v[63:64], v[87:88]
	;; [unrolled: 1-line block ×8, first 2 shown]
	s_clause 0x1
	global_load_b128 v[43:46], v[11:12], off offset:2144
	global_load_b128 v[47:50], v[11:12], off offset:2160
	v_cvt_f64_f32_e32 v[63:64], v67
	v_cvt_f64_f32_e32 v[67:68], v68
	v_fma_f64 v[115:116], -v[55:56], v[65:66], v[53:54]
	v_fma_f64 v[87:88], v[101:102], v[65:66], v[87:88]
	v_fma_f64 v[93:94], -v[57:58], v[65:66], v[93:94]
	v_fma_f64 v[89:90], v[103:104], v[65:66], v[89:90]
	v_fma_f64 v[59:60], -v[59:60], v[65:66], v[95:96]
	v_fma_f64 v[91:92], v[105:106], v[65:66], v[91:92]
	v_fma_f64 v[61:62], -v[61:62], v[65:66], v[97:98]
	v_fma_f64 v[65:66], v[107:108], v[65:66], v[51:52]
	global_load_b128 v[51:54], v[99:100], off offset:48
	global_load_b128 v[55:58], v[11:12], off offset:4096
	v_lshlrev_b32_e32 v107, 2, v10
	s_wait_loadcnt 0xc
	v_cvt_f64_f32_e32 v[101:102], v81
	v_cvt_f64_f32_e32 v[81:82], v82
	s_wait_loadcnt 0xb
	v_cvt_f64_f32_e32 v[103:104], v83
	v_cvt_f64_f32_e32 v[83:84], v84
	v_cvt_f64_f32_e32 v[105:106], v85
	v_cvt_f64_f32_e32 v[85:86], v86
	v_ashrrev_i32_e32 v108, 31, v107
	v_subrev_nc_u32_e32 v10, s12, v123
	v_fma_f64 v[95:96], v[63:64], v[75:76], v[115:116]
	v_fma_f64 v[87:88], v[67:68], v[75:76], v[87:88]
	;; [unrolled: 1-line block ×8, first 2 shown]
	global_load_b128 v[59:62], v[11:12], off offset:4112
	v_cvt_f64_f32_e32 v[75:76], v79
	v_cvt_f64_f32_e32 v[79:80], v80
	v_fma_f64 v[67:68], -v[67:68], v[77:78], v[95:96]
	v_fma_f64 v[87:88], v[63:64], v[77:78], v[87:88]
	v_fma_f64 v[69:70], -v[69:70], v[77:78], v[93:94]
	v_fma_f64 v[89:90], v[109:110], v[77:78], v[89:90]
	;; [unrolled: 2-line block ×4, first 2 shown]
	v_lshlrev_b64_e32 v[63:64], 4, v[107:108]
	s_delay_alu instid0(VALU_DEP_1) | instskip(SKIP_1) | instid1(VALU_DEP_2)
	v_add_co_u32 v93, vcc_lo, s4, v63
	s_wait_alu 0xfffd
	v_add_co_ci_u32_e64 v94, null, s5, v64, vcc_lo
	global_load_b128 v[63:66], v[93:94], off
	s_wait_loadcnt 0xc
	v_fma_f64 v[95:96], v[75:76], v[30:31], v[67:68]
	v_fma_f64 v[87:88], v[79:80], v[30:31], v[87:88]
	;; [unrolled: 1-line block ×8, first 2 shown]
	s_clause 0x1
	global_load_b128 v[67:70], v[11:12], off offset:4128
	global_load_b128 v[71:74], v[11:12], off offset:4144
	s_wait_loadcnt 0xd
	v_cvt_f64_f32_e32 v[77:78], v13
	v_cvt_f64_f32_e32 v[109:110], v14
	v_cvt_f64_f32_e32 v[111:112], v15
	v_cvt_f64_f32_e32 v[113:114], v16
	s_wait_loadcnt 0xc
	v_cvt_f64_f32_e32 v[115:116], v17
	v_cvt_f64_f32_e32 v[117:118], v18
	;; [unrolled: 1-line block ×4, first 2 shown]
	global_load_b128 v[13:16], v[93:94], off offset:16
	v_fma_f64 v[17:18], -v[79:80], v[32:33], v[95:96]
	v_fma_f64 v[19:20], v[75:76], v[32:33], v[87:88]
	v_fma_f64 v[75:76], -v[81:82], v[32:33], v[97:98]
	v_fma_f64 v[79:80], v[101:102], v[32:33], v[89:90]
	v_fma_f64 v[81:82], -v[83:84], v[32:33], v[99:100]
	v_fma_f64 v[83:84], v[103:104], v[32:33], v[91:92]
	v_fma_f64 v[85:86], -v[85:86], v[32:33], v[107:108]
	v_fma_f64 v[30:31], v[105:106], v[32:33], v[30:31]
	s_wait_loadcnt 0xc
	v_fma_f64 v[87:88], v[77:78], v[22:23], v[17:18]
	v_fma_f64 v[89:90], v[109:110], v[22:23], v[19:20]
	v_fma_f64 v[75:76], v[111:112], v[22:23], v[75:76]
	v_fma_f64 v[79:80], v[113:114], v[22:23], v[79:80]
	v_fma_f64 v[81:82], v[115:116], v[22:23], v[81:82]
	v_fma_f64 v[83:84], v[117:118], v[22:23], v[83:84]
	v_fma_f64 v[85:86], v[119:120], v[22:23], v[85:86]
	v_fma_f64 v[22:23], v[121:122], v[22:23], v[30:31]
	s_clause 0x1
	global_load_b128 v[17:20], v[11:12], off offset:4160
	global_load_b128 v[30:33], v[11:12], off offset:4176
	s_wait_loadcnt 0xd
	v_cvt_f64_f32_e32 v[91:92], v26
	v_cvt_f64_f32_e32 v[95:96], v27
	;; [unrolled: 1-line block ×4, first 2 shown]
	s_wait_loadcnt 0xc
	v_cvt_f64_f32_e32 v[101:102], v35
	v_cvt_f64_f32_e32 v[103:104], v36
	;; [unrolled: 1-line block ×4, first 2 shown]
	v_fma_f64 v[26:27], -v[109:110], v[24:25], v[87:88]
	v_fma_f64 v[28:29], v[77:78], v[24:25], v[89:90]
	v_fma_f64 v[35:36], -v[113:114], v[24:25], v[75:76]
	v_fma_f64 v[37:38], v[111:112], v[24:25], v[79:80]
	;; [unrolled: 2-line block ×4, first 2 shown]
	global_load_b128 v[22:25], v[93:94], off offset:32
	s_wait_loadcnt 0xc
	v_fma_f64 v[83:84], v[91:92], v[39:40], v[26:27]
	v_fma_f64 v[85:86], v[95:96], v[39:40], v[28:29]
	;; [unrolled: 1-line block ×8, first 2 shown]
	s_clause 0x1
	global_load_b128 v[26:29], v[11:12], off offset:4192
	global_load_b128 v[35:38], v[11:12], off offset:4208
	s_wait_loadcnt 0xd
	v_cvt_f64_f32_e32 v[81:82], v43
	v_cvt_f64_f32_e32 v[109:110], v44
	;; [unrolled: 1-line block ×4, first 2 shown]
	s_wait_loadcnt 0xc
	v_cvt_f64_f32_e32 v[115:116], v47
	v_cvt_f64_f32_e32 v[117:118], v48
	;; [unrolled: 1-line block ×4, first 2 shown]
	v_fma_f64 v[43:44], -v[95:96], v[41:42], v[83:84]
	v_fma_f64 v[45:46], v[91:92], v[41:42], v[85:86]
	v_fma_f64 v[47:48], -v[99:100], v[41:42], v[87:88]
	v_fma_f64 v[49:50], v[97:98], v[41:42], v[89:90]
	;; [unrolled: 2-line block ×4, first 2 shown]
	global_load_b128 v[39:42], v[93:94], off offset:48
	s_wait_loadcnt 0xb
	v_cvt_f64_f32_e32 v[93:94], v56
	v_cvt_f64_f32_e32 v[95:96], v57
	;; [unrolled: 1-line block ×3, first 2 shown]
	v_fma_f64 v[85:86], v[81:82], v[51:52], v[43:44]
	v_fma_f64 v[87:88], v[109:110], v[51:52], v[45:46]
	;; [unrolled: 1-line block ×8, first 2 shown]
	s_clause 0x1
	global_load_b128 v[43:46], v[11:12], off offset:6144
	global_load_b128 v[47:50], v[11:12], off offset:6160
	v_cvt_f64_f32_e32 v[83:84], v55
	v_lshlrev_b32_e32 v55, 2, v10
	s_delay_alu instid0(VALU_DEP_1)
	v_ashrrev_i32_e32 v56, 31, v55
	s_wait_loadcnt 0xc
	v_cvt_f64_f32_e32 v[99:100], v59
	v_cvt_f64_f32_e32 v[101:102], v60
	;; [unrolled: 1-line block ×4, first 2 shown]
	v_fma_f64 v[57:58], -v[109:110], v[53:54], v[85:86]
	v_fma_f64 v[59:60], v[81:82], v[53:54], v[87:88]
	v_fma_f64 v[61:62], -v[113:114], v[53:54], v[89:90]
	v_fma_f64 v[81:82], v[111:112], v[53:54], v[91:92]
	;; [unrolled: 2-line block ×4, first 2 shown]
	v_lshlrev_b64_e32 v[51:52], 4, v[55:56]
	s_delay_alu instid0(VALU_DEP_1) | instskip(SKIP_1) | instid1(VALU_DEP_2)
	v_add_co_u32 v87, vcc_lo, s4, v51
	s_wait_alu 0xfffd
	v_add_co_ci_u32_e64 v88, null, s5, v52, vcc_lo
	v_cmp_ge_i32_e32 vcc_lo, v9, v34
	global_load_b128 v[51:54], v[87:88], off
	s_wait_alu 0xfffe
	s_or_b32 s7, vcc_lo, s7
	s_wait_loadcnt 0xc
	v_fma_f64 v[89:90], v[83:84], v[63:64], v[57:58]
	v_fma_f64 v[91:92], v[93:94], v[63:64], v[59:60]
	;; [unrolled: 1-line block ×8, first 2 shown]
	s_clause 0x1
	global_load_b128 v[55:58], v[11:12], off offset:6176
	global_load_b128 v[59:62], v[11:12], off offset:6192
	s_wait_loadcnt 0xd
	v_cvt_f64_f32_e32 v[85:86], v67
	v_cvt_f64_f32_e32 v[109:110], v68
	v_cvt_f64_f32_e32 v[111:112], v69
	v_cvt_f64_f32_e32 v[113:114], v70
	s_wait_loadcnt 0xc
	v_cvt_f64_f32_e32 v[115:116], v71
	v_cvt_f64_f32_e32 v[117:118], v72
	;; [unrolled: 1-line block ×4, first 2 shown]
	v_fma_f64 v[67:68], -v[93:94], v[65:66], v[89:90]
	v_fma_f64 v[69:70], v[83:84], v[65:66], v[91:92]
	v_fma_f64 v[71:72], -v[97:98], v[65:66], v[107:108]
	v_fma_f64 v[73:74], v[95:96], v[65:66], v[81:82]
	;; [unrolled: 2-line block ×4, first 2 shown]
	global_load_b128 v[63:66], v[87:88], off offset:16
	s_wait_loadcnt 0xc
	v_fma_f64 v[83:84], v[85:86], v[13:14], v[67:68]
	v_fma_f64 v[89:90], v[109:110], v[13:14], v[69:70]
	;; [unrolled: 1-line block ×8, first 2 shown]
	s_clause 0x1
	global_load_b128 v[67:70], v[11:12], off offset:6208
	global_load_b128 v[71:74], v[11:12], off offset:6224
	s_wait_loadcnt 0xd
	v_cvt_f64_f32_e32 v[81:82], v17
	v_cvt_f64_f32_e32 v[95:96], v18
	;; [unrolled: 1-line block ×4, first 2 shown]
	s_wait_loadcnt 0xc
	v_cvt_f64_f32_e32 v[101:102], v30
	v_cvt_f64_f32_e32 v[103:104], v31
	;; [unrolled: 1-line block ×4, first 2 shown]
	v_fma_f64 v[17:18], -v[109:110], v[15:16], v[83:84]
	v_fma_f64 v[19:20], v[85:86], v[15:16], v[89:90]
	v_fma_f64 v[30:31], -v[113:114], v[15:16], v[91:92]
	v_fma_f64 v[32:33], v[111:112], v[15:16], v[93:94]
	;; [unrolled: 2-line block ×4, first 2 shown]
	global_load_b128 v[13:16], v[87:88], off offset:32
	s_wait_loadcnt 0xc
	v_fma_f64 v[85:86], v[81:82], v[22:23], v[17:18]
	v_fma_f64 v[89:90], v[95:96], v[22:23], v[19:20]
	;; [unrolled: 1-line block ×8, first 2 shown]
	s_clause 0x1
	global_load_b128 v[17:20], v[11:12], off offset:6240
	global_load_b128 v[30:33], v[11:12], off offset:6256
	v_add_co_u32 v11, s2, 0x2000, v11
	s_wait_alu 0xf1ff
	v_add_co_ci_u32_e64 v12, null, 0, v12, s2
	s_wait_loadcnt 0xd
	v_cvt_f64_f32_e32 v[83:84], v26
	v_cvt_f64_f32_e32 v[26:27], v27
	;; [unrolled: 1-line block ×4, first 2 shown]
	s_wait_loadcnt 0xc
	v_cvt_f64_f32_e32 v[111:112], v35
	v_cvt_f64_f32_e32 v[113:114], v36
	;; [unrolled: 1-line block ×4, first 2 shown]
	global_load_b128 v[35:38], v[87:88], off offset:48
	v_fma_f64 v[85:86], -v[95:96], v[24:25], v[85:86]
	v_fma_f64 v[81:82], v[81:82], v[24:25], v[89:90]
	v_fma_f64 v[89:90], -v[99:100], v[24:25], v[91:92]
	v_fma_f64 v[91:92], v[97:98], v[24:25], v[93:94]
	v_fma_f64 v[75:76], -v[103:104], v[24:25], v[75:76]
	v_fma_f64 v[77:78], v[101:102], v[24:25], v[77:78]
	v_fma_f64 v[79:80], -v[107:108], v[24:25], v[79:80]
	v_fma_f64 v[22:23], v[105:106], v[24:25], v[22:23]
	s_wait_loadcnt 0xc
	v_fma_f64 v[24:25], v[83:84], v[39:40], v[85:86]
	v_fma_f64 v[81:82], v[26:27], v[39:40], v[81:82]
	v_fma_f64 v[85:86], v[109:110], v[39:40], v[89:90]
	v_fma_f64 v[87:88], v[28:29], v[39:40], v[91:92]
	v_fma_f64 v[75:76], v[111:112], v[39:40], v[75:76]
	v_fma_f64 v[77:78], v[113:114], v[39:40], v[77:78]
	v_fma_f64 v[79:80], v[115:116], v[39:40], v[79:80]
	v_fma_f64 v[22:23], v[117:118], v[39:40], v[22:23]
	s_wait_loadcnt 0xb
	v_cvt_f64_f32_e32 v[39:40], v43
	v_cvt_f64_f32_e32 v[43:44], v44
	v_cvt_f64_f32_e32 v[89:90], v45
	v_cvt_f64_f32_e32 v[45:46], v46
	s_wait_loadcnt 0xa
	v_cvt_f64_f32_e32 v[91:92], v47
	v_cvt_f64_f32_e32 v[47:48], v48
	v_cvt_f64_f32_e32 v[93:94], v49
	v_cvt_f64_f32_e32 v[49:50], v50
	v_fma_f64 v[24:25], -v[26:27], v[41:42], v[24:25]
	v_fma_f64 v[26:27], v[83:84], v[41:42], v[81:82]
	v_fma_f64 v[28:29], -v[28:29], v[41:42], v[85:86]
	v_fma_f64 v[81:82], v[109:110], v[41:42], v[87:88]
	v_fma_f64 v[75:76], -v[113:114], v[41:42], v[75:76]
	v_fma_f64 v[77:78], v[111:112], v[41:42], v[77:78]
	v_fma_f64 v[79:80], -v[117:118], v[41:42], v[79:80]
	v_fma_f64 v[22:23], v[115:116], v[41:42], v[22:23]
	s_wait_loadcnt 0x9
	v_fma_f64 v[24:25], v[39:40], v[51:52], v[24:25]
	v_fma_f64 v[26:27], v[43:44], v[51:52], v[26:27]
	v_fma_f64 v[28:29], v[89:90], v[51:52], v[28:29]
	v_fma_f64 v[41:42], v[45:46], v[51:52], v[81:82]
	v_fma_f64 v[75:76], v[91:92], v[51:52], v[75:76]
	v_fma_f64 v[77:78], v[47:48], v[51:52], v[77:78]
	v_fma_f64 v[79:80], v[93:94], v[51:52], v[79:80]
	v_fma_f64 v[22:23], v[49:50], v[51:52], v[22:23]
	s_wait_loadcnt 0x8
	v_cvt_f64_f32_e32 v[51:52], v55
	v_cvt_f64_f32_e32 v[55:56], v56
	v_cvt_f64_f32_e32 v[81:82], v57
	v_cvt_f64_f32_e32 v[57:58], v58
	s_wait_loadcnt 0x7
	v_cvt_f64_f32_e32 v[83:84], v59
	v_cvt_f64_f32_e32 v[59:60], v60
	v_cvt_f64_f32_e32 v[85:86], v61
	v_cvt_f64_f32_e32 v[61:62], v62
	;; [unrolled: 27-line block ×4, first 2 shown]
	v_fma_f64 v[19:20], -v[49:50], v[15:16], v[24:25]
	v_fma_f64 v[24:25], v[47:48], v[15:16], v[26:27]
	v_fma_f64 v[26:27], -v[63:64], v[15:16], v[28:29]
	v_fma_f64 v[28:29], v[53:54], v[15:16], v[39:40]
	;; [unrolled: 2-line block ×4, first 2 shown]
	s_wait_loadcnt 0x0
	v_fma_f64 v[15:16], v[22:23], v[35:36], v[19:20]
	v_fma_f64 v[24:25], v[17:18], v[35:36], v[24:25]
	;; [unrolled: 1-line block ×8, first 2 shown]
	v_fma_f64 v[19:20], -v[17:18], v[37:38], v[15:16]
	v_fma_f64 v[13:14], v[22:23], v[37:38], v[24:25]
	v_fma_f64 v[24:25], -v[55:56], v[37:38], v[26:27]
	v_fma_f64 v[17:18], v[51:52], v[37:38], v[28:29]
	;; [unrolled: 2-line block ×4, first 2 shown]
	s_wait_alu 0xfffe
	s_and_not1_b32 exec_lo, exec_lo, s7
	s_cbranch_execnz .LBB167_31
; %bb.32:
	s_or_b32 exec_lo, exec_lo, s7
.LBB167_33:
	s_wait_alu 0xfffe
	s_or_b32 exec_lo, exec_lo, s6
.LBB167_34:
	s_wait_alu 0xfffe
	s_or_b32 exec_lo, exec_lo, s3
.LBB167_35:
	v_mbcnt_lo_u32_b32 v42, -1, 0
	s_delay_alu instid0(VALU_DEP_1) | instskip(NEXT) | instid1(VALU_DEP_1)
	v_xor_b32_e32 v9, 8, v42
	v_cmp_gt_i32_e32 vcc_lo, 32, v9
	s_wait_alu 0xfffd
	v_cndmask_b32_e32 v9, v42, v9, vcc_lo
	s_delay_alu instid0(VALU_DEP_1)
	v_lshlrev_b32_e32 v41, 2, v9
	ds_bpermute_b32 v11, v41, v13
	ds_bpermute_b32 v12, v41, v14
	;; [unrolled: 1-line block ×6, first 2 shown]
	s_wait_dscnt 0x4
	v_add_f64_e32 v[11:12], v[13:14], v[11:12]
	s_wait_dscnt 0x2
	v_add_f64_e32 v[13:14], v[24:25], v[30:31]
	;; [unrolled: 2-line block ×3, first 2 shown]
	v_xor_b32_e32 v26, 4, v42
	s_delay_alu instid0(VALU_DEP_1)
	v_cmp_gt_i32_e32 vcc_lo, 32, v26
	s_wait_alu 0xfffd
	v_cndmask_b32_e32 v26, v42, v26, vcc_lo
	ds_bpermute_b32 v9, v41, v19
	ds_bpermute_b32 v10, v41, v20
	;; [unrolled: 1-line block ×10, first 2 shown]
	s_wait_dscnt 0x8
	v_add_f64_e32 v[9:10], v[19:20], v[9:10]
	s_wait_dscnt 0x6
	v_add_f64_e32 v[17:18], v[17:18], v[32:33]
	;; [unrolled: 2-line block ×5, first 2 shown]
	v_lshlrev_b32_e32 v41, 2, v26
	ds_bpermute_b32 v36, v41, v24
	ds_bpermute_b32 v37, v41, v25
	;; [unrolled: 1-line block ×4, first 2 shown]
	s_wait_dscnt 0x0
	v_add_f64_e32 v[9:10], v[9:10], v[26:27]
	v_add_f64_e32 v[26:27], v[24:25], v[36:37]
	v_xor_b32_e32 v24, 2, v42
	s_delay_alu instid0(VALU_DEP_1)
	v_cmp_gt_i32_e32 vcc_lo, 32, v24
	s_wait_alu 0xfffd
	v_cndmask_b32_e32 v24, v42, v24, vcc_lo
	ds_bpermute_b32 v28, v41, v11
	ds_bpermute_b32 v29, v41, v12
	ds_bpermute_b32 v30, v41, v13
	ds_bpermute_b32 v31, v41, v14
	ds_bpermute_b32 v32, v41, v17
	ds_bpermute_b32 v33, v41, v18
	ds_bpermute_b32 v34, v41, v19
	ds_bpermute_b32 v35, v41, v20
	ds_bpermute_b32 v38, v41, v15
	ds_bpermute_b32 v39, v41, v16
	ds_bpermute_b32 v40, v41, v22
	ds_bpermute_b32 v41, v41, v23
	s_wait_dscnt 0xa
	v_add_f64_e32 v[11:12], v[11:12], v[28:29]
	s_wait_dscnt 0x8
	v_add_f64_e32 v[13:14], v[13:14], v[30:31]
	;; [unrolled: 2-line block ×6, first 2 shown]
	v_lshlrev_b32_e32 v41, 2, v24
	ds_bpermute_b32 v24, v41, v9
	ds_bpermute_b32 v25, v41, v10
	;; [unrolled: 1-line block ×4, first 2 shown]
	s_wait_dscnt 0x2
	v_add_f64_e32 v[9:10], v[9:10], v[24:25]
	ds_bpermute_b32 v28, v41, v11
	ds_bpermute_b32 v29, v41, v12
	ds_bpermute_b32 v30, v41, v13
	ds_bpermute_b32 v31, v41, v14
	ds_bpermute_b32 v32, v41, v17
	ds_bpermute_b32 v33, v41, v18
	ds_bpermute_b32 v34, v41, v19
	ds_bpermute_b32 v35, v41, v20
	ds_bpermute_b32 v38, v41, v15
	ds_bpermute_b32 v39, v41, v16
	ds_bpermute_b32 v40, v41, v22
	ds_bpermute_b32 v41, v41, v23
	s_wait_dscnt 0xa
	v_add_f64_e32 v[28:29], v[11:12], v[28:29]
	s_wait_dscnt 0x8
	v_add_f64_e32 v[11:12], v[13:14], v[30:31]
	;; [unrolled: 2-line block ×4, first 2 shown]
	v_add_f64_e32 v[19:20], v[26:27], v[36:37]
	s_wait_dscnt 0x2
	v_add_f64_e32 v[15:16], v[15:16], v[38:39]
	s_wait_dscnt 0x0
	v_add_f64_e32 v[17:18], v[22:23], v[40:41]
	v_xor_b32_e32 v22, 1, v42
	s_delay_alu instid0(VALU_DEP_1) | instskip(SKIP_3) | instid1(VALU_DEP_2)
	v_cmp_gt_i32_e32 vcc_lo, 32, v22
	s_wait_alu 0xfffd
	v_cndmask_b32_e32 v22, v42, v22, vcc_lo
	v_cmp_eq_u32_e32 vcc_lo, 15, v0
	v_lshlrev_b32_e32 v35, 2, v22
	ds_bpermute_b32 v22, v35, v9
	ds_bpermute_b32 v23, v35, v10
	;; [unrolled: 1-line block ×16, first 2 shown]
	s_and_b32 exec_lo, exec_lo, vcc_lo
	s_cbranch_execz .LBB167_8
; %bb.36:
	s_wait_dscnt 0xc
	v_add_f64_e32 v[28:29], v[28:29], v[40:41]
	s_wait_dscnt 0x8
	v_add_f64_e32 v[24:25], v[24:25], v[38:39]
	;; [unrolled: 2-line block ×4, first 2 shown]
	v_add_f64_e32 v[9:10], v[9:10], v[22:23]
	v_add_f64_e32 v[11:12], v[11:12], v[26:27]
	;; [unrolled: 1-line block ×4, first 2 shown]
	v_cmp_eq_f64_e32 vcc_lo, 0, v[1:2]
	v_cmp_eq_f64_e64 s2, 0, v[3:4]
	s_load_b64 s[0:1], s[0:1], 0x60
	v_lshlrev_b32_e32 v21, 2, v21
	v_mul_f64_e64 v[13:14], v[28:29], -v[7:8]
	v_mul_f64_e32 v[15:16], v[5:6], v[28:29]
	v_mul_f64_e64 v[28:29], v[24:25], -v[7:8]
	v_mul_f64_e32 v[24:25], v[5:6], v[24:25]
	;; [unrolled: 2-line block ×4, first 2 shown]
	s_and_b32 s2, vcc_lo, s2
	v_fma_f64 v[17:18], v[5:6], v[9:10], v[13:14]
	v_fma_f64 v[19:20], v[7:8], v[9:10], v[15:16]
	;; [unrolled: 1-line block ×8, first 2 shown]
	s_wait_alu 0xfffe
	s_and_saveexec_b32 s3, s2
	s_wait_alu 0xfffe
	s_xor_b32 s2, exec_lo, s3
	s_cbranch_execz .LBB167_38
; %bb.37:
	v_ashrrev_i32_e32 v22, 31, v21
	s_delay_alu instid0(VALU_DEP_1) | instskip(SKIP_1) | instid1(VALU_DEP_1)
	v_lshlrev_b64_e32 v[0:1], 4, v[21:22]
                                        ; implicit-def: $vgpr21
	s_wait_kmcnt 0x0
	v_add_co_u32 v0, vcc_lo, s0, v0
	s_wait_alu 0xfffd
	s_delay_alu instid0(VALU_DEP_2)
	v_add_co_ci_u32_e64 v1, null, s1, v1, vcc_lo
	s_clause 0x3
	global_store_b128 v[0:1], v[17:20], off
	global_store_b128 v[0:1], v[13:16], off offset:16
	global_store_b128 v[0:1], v[9:12], off offset:32
	;; [unrolled: 1-line block ×3, first 2 shown]
                                        ; implicit-def: $vgpr3_vgpr4
                                        ; implicit-def: $vgpr17_vgpr18
                                        ; implicit-def: $vgpr13_vgpr14
                                        ; implicit-def: $vgpr9_vgpr10
                                        ; implicit-def: $vgpr5_vgpr6
.LBB167_38:
	s_wait_alu 0xfffe
	s_and_not1_saveexec_b32 s2, s2
	s_cbranch_execz .LBB167_8
; %bb.39:
	v_ashrrev_i32_e32 v22, 31, v21
	s_delay_alu instid0(VALU_DEP_1) | instskip(SKIP_1) | instid1(VALU_DEP_1)
	v_lshlrev_b64_e32 v[21:22], 4, v[21:22]
	s_wait_kmcnt 0x0
	v_add_co_u32 v37, vcc_lo, s0, v21
	s_wait_alu 0xfffd
	s_delay_alu instid0(VALU_DEP_2)
	v_add_co_ci_u32_e64 v38, null, s1, v22, vcc_lo
	s_clause 0x3
	global_load_b128 v[21:24], v[37:38], off
	global_load_b128 v[25:28], v[37:38], off offset:16
	global_load_b128 v[29:32], v[37:38], off offset:32
	;; [unrolled: 1-line block ×3, first 2 shown]
	s_wait_loadcnt 0x3
	v_fma_f64 v[17:18], v[1:2], v[21:22], v[17:18]
	v_fma_f64 v[19:20], v[3:4], v[21:22], v[19:20]
	s_wait_loadcnt 0x2
	v_fma_f64 v[13:14], v[1:2], v[25:26], v[13:14]
	v_fma_f64 v[15:16], v[3:4], v[25:26], v[15:16]
	;; [unrolled: 3-line block ×4, first 2 shown]
	v_fma_f64 v[5:6], -v[3:4], v[23:24], v[17:18]
	v_fma_f64 v[7:8], v[1:2], v[23:24], v[19:20]
	v_fma_f64 v[9:10], -v[3:4], v[27:28], v[13:14]
	v_fma_f64 v[11:12], v[1:2], v[27:28], v[15:16]
	;; [unrolled: 2-line block ×4, first 2 shown]
	s_clause 0x3
	global_store_b128 v[37:38], v[5:8], off
	global_store_b128 v[37:38], v[9:12], off offset:16
	global_store_b128 v[37:38], v[13:16], off offset:32
	global_store_b128 v[37:38], v[17:20], off offset:48
	s_nop 0
	s_sendmsg sendmsg(MSG_DEALLOC_VGPRS)
	s_endpgm
	.section	.rodata,"a",@progbits
	.p2align	6, 0x0
	.amdhsa_kernel _ZN9rocsparseL18bsrxmvn_4x4_kernelILj128ELj16E21rocsparse_complex_numIdEiiS1_IfES2_S2_EEvT3_20rocsparse_direction_NS_24const_host_device_scalarIT1_EES4_PKS4_PKT2_SD_SA_PKT4_PKT5_S8_PT6_21rocsparse_index_base_b
		.amdhsa_group_segment_fixed_size 0
		.amdhsa_private_segment_fixed_size 0
		.amdhsa_kernarg_size 112
		.amdhsa_user_sgpr_count 2
		.amdhsa_user_sgpr_dispatch_ptr 0
		.amdhsa_user_sgpr_queue_ptr 0
		.amdhsa_user_sgpr_kernarg_segment_ptr 1
		.amdhsa_user_sgpr_dispatch_id 0
		.amdhsa_user_sgpr_private_segment_size 0
		.amdhsa_wavefront_size32 1
		.amdhsa_uses_dynamic_stack 0
		.amdhsa_enable_private_segment 0
		.amdhsa_system_sgpr_workgroup_id_x 1
		.amdhsa_system_sgpr_workgroup_id_y 0
		.amdhsa_system_sgpr_workgroup_id_z 0
		.amdhsa_system_sgpr_workgroup_info 0
		.amdhsa_system_vgpr_workitem_id 0
		.amdhsa_next_free_vgpr 129
		.amdhsa_next_free_sgpr 14
		.amdhsa_reserve_vcc 1
		.amdhsa_float_round_mode_32 0
		.amdhsa_float_round_mode_16_64 0
		.amdhsa_float_denorm_mode_32 3
		.amdhsa_float_denorm_mode_16_64 3
		.amdhsa_fp16_overflow 0
		.amdhsa_workgroup_processor_mode 1
		.amdhsa_memory_ordered 1
		.amdhsa_forward_progress 1
		.amdhsa_inst_pref_size 95
		.amdhsa_round_robin_scheduling 0
		.amdhsa_exception_fp_ieee_invalid_op 0
		.amdhsa_exception_fp_denorm_src 0
		.amdhsa_exception_fp_ieee_div_zero 0
		.amdhsa_exception_fp_ieee_overflow 0
		.amdhsa_exception_fp_ieee_underflow 0
		.amdhsa_exception_fp_ieee_inexact 0
		.amdhsa_exception_int_div_zero 0
	.end_amdhsa_kernel
	.section	.text._ZN9rocsparseL18bsrxmvn_4x4_kernelILj128ELj16E21rocsparse_complex_numIdEiiS1_IfES2_S2_EEvT3_20rocsparse_direction_NS_24const_host_device_scalarIT1_EES4_PKS4_PKT2_SD_SA_PKT4_PKT5_S8_PT6_21rocsparse_index_base_b,"axG",@progbits,_ZN9rocsparseL18bsrxmvn_4x4_kernelILj128ELj16E21rocsparse_complex_numIdEiiS1_IfES2_S2_EEvT3_20rocsparse_direction_NS_24const_host_device_scalarIT1_EES4_PKS4_PKT2_SD_SA_PKT4_PKT5_S8_PT6_21rocsparse_index_base_b,comdat
.Lfunc_end167:
	.size	_ZN9rocsparseL18bsrxmvn_4x4_kernelILj128ELj16E21rocsparse_complex_numIdEiiS1_IfES2_S2_EEvT3_20rocsparse_direction_NS_24const_host_device_scalarIT1_EES4_PKS4_PKT2_SD_SA_PKT4_PKT5_S8_PT6_21rocsparse_index_base_b, .Lfunc_end167-_ZN9rocsparseL18bsrxmvn_4x4_kernelILj128ELj16E21rocsparse_complex_numIdEiiS1_IfES2_S2_EEvT3_20rocsparse_direction_NS_24const_host_device_scalarIT1_EES4_PKS4_PKT2_SD_SA_PKT4_PKT5_S8_PT6_21rocsparse_index_base_b
                                        ; -- End function
	.set _ZN9rocsparseL18bsrxmvn_4x4_kernelILj128ELj16E21rocsparse_complex_numIdEiiS1_IfES2_S2_EEvT3_20rocsparse_direction_NS_24const_host_device_scalarIT1_EES4_PKS4_PKT2_SD_SA_PKT4_PKT5_S8_PT6_21rocsparse_index_base_b.num_vgpr, 129
	.set _ZN9rocsparseL18bsrxmvn_4x4_kernelILj128ELj16E21rocsparse_complex_numIdEiiS1_IfES2_S2_EEvT3_20rocsparse_direction_NS_24const_host_device_scalarIT1_EES4_PKS4_PKT2_SD_SA_PKT4_PKT5_S8_PT6_21rocsparse_index_base_b.num_agpr, 0
	.set _ZN9rocsparseL18bsrxmvn_4x4_kernelILj128ELj16E21rocsparse_complex_numIdEiiS1_IfES2_S2_EEvT3_20rocsparse_direction_NS_24const_host_device_scalarIT1_EES4_PKS4_PKT2_SD_SA_PKT4_PKT5_S8_PT6_21rocsparse_index_base_b.numbered_sgpr, 14
	.set _ZN9rocsparseL18bsrxmvn_4x4_kernelILj128ELj16E21rocsparse_complex_numIdEiiS1_IfES2_S2_EEvT3_20rocsparse_direction_NS_24const_host_device_scalarIT1_EES4_PKS4_PKT2_SD_SA_PKT4_PKT5_S8_PT6_21rocsparse_index_base_b.num_named_barrier, 0
	.set _ZN9rocsparseL18bsrxmvn_4x4_kernelILj128ELj16E21rocsparse_complex_numIdEiiS1_IfES2_S2_EEvT3_20rocsparse_direction_NS_24const_host_device_scalarIT1_EES4_PKS4_PKT2_SD_SA_PKT4_PKT5_S8_PT6_21rocsparse_index_base_b.private_seg_size, 0
	.set _ZN9rocsparseL18bsrxmvn_4x4_kernelILj128ELj16E21rocsparse_complex_numIdEiiS1_IfES2_S2_EEvT3_20rocsparse_direction_NS_24const_host_device_scalarIT1_EES4_PKS4_PKT2_SD_SA_PKT4_PKT5_S8_PT6_21rocsparse_index_base_b.uses_vcc, 1
	.set _ZN9rocsparseL18bsrxmvn_4x4_kernelILj128ELj16E21rocsparse_complex_numIdEiiS1_IfES2_S2_EEvT3_20rocsparse_direction_NS_24const_host_device_scalarIT1_EES4_PKS4_PKT2_SD_SA_PKT4_PKT5_S8_PT6_21rocsparse_index_base_b.uses_flat_scratch, 0
	.set _ZN9rocsparseL18bsrxmvn_4x4_kernelILj128ELj16E21rocsparse_complex_numIdEiiS1_IfES2_S2_EEvT3_20rocsparse_direction_NS_24const_host_device_scalarIT1_EES4_PKS4_PKT2_SD_SA_PKT4_PKT5_S8_PT6_21rocsparse_index_base_b.has_dyn_sized_stack, 0
	.set _ZN9rocsparseL18bsrxmvn_4x4_kernelILj128ELj16E21rocsparse_complex_numIdEiiS1_IfES2_S2_EEvT3_20rocsparse_direction_NS_24const_host_device_scalarIT1_EES4_PKS4_PKT2_SD_SA_PKT4_PKT5_S8_PT6_21rocsparse_index_base_b.has_recursion, 0
	.set _ZN9rocsparseL18bsrxmvn_4x4_kernelILj128ELj16E21rocsparse_complex_numIdEiiS1_IfES2_S2_EEvT3_20rocsparse_direction_NS_24const_host_device_scalarIT1_EES4_PKS4_PKT2_SD_SA_PKT4_PKT5_S8_PT6_21rocsparse_index_base_b.has_indirect_call, 0
	.section	.AMDGPU.csdata,"",@progbits
; Kernel info:
; codeLenInByte = 12092
; TotalNumSgprs: 16
; NumVgprs: 129
; ScratchSize: 0
; MemoryBound: 0
; FloatMode: 240
; IeeeMode: 1
; LDSByteSize: 0 bytes/workgroup (compile time only)
; SGPRBlocks: 0
; VGPRBlocks: 16
; NumSGPRsForWavesPerEU: 16
; NumVGPRsForWavesPerEU: 129
; Occupancy: 10
; WaveLimiterHint : 1
; COMPUTE_PGM_RSRC2:SCRATCH_EN: 0
; COMPUTE_PGM_RSRC2:USER_SGPR: 2
; COMPUTE_PGM_RSRC2:TRAP_HANDLER: 0
; COMPUTE_PGM_RSRC2:TGID_X_EN: 1
; COMPUTE_PGM_RSRC2:TGID_Y_EN: 0
; COMPUTE_PGM_RSRC2:TGID_Z_EN: 0
; COMPUTE_PGM_RSRC2:TIDIG_COMP_CNT: 0
	.section	.text._ZN9rocsparseL18bsrxmvn_4x4_kernelILj128ELj32E21rocsparse_complex_numIdEiiS1_IfES2_S2_EEvT3_20rocsparse_direction_NS_24const_host_device_scalarIT1_EES4_PKS4_PKT2_SD_SA_PKT4_PKT5_S8_PT6_21rocsparse_index_base_b,"axG",@progbits,_ZN9rocsparseL18bsrxmvn_4x4_kernelILj128ELj32E21rocsparse_complex_numIdEiiS1_IfES2_S2_EEvT3_20rocsparse_direction_NS_24const_host_device_scalarIT1_EES4_PKS4_PKT2_SD_SA_PKT4_PKT5_S8_PT6_21rocsparse_index_base_b,comdat
	.globl	_ZN9rocsparseL18bsrxmvn_4x4_kernelILj128ELj32E21rocsparse_complex_numIdEiiS1_IfES2_S2_EEvT3_20rocsparse_direction_NS_24const_host_device_scalarIT1_EES4_PKS4_PKT2_SD_SA_PKT4_PKT5_S8_PT6_21rocsparse_index_base_b ; -- Begin function _ZN9rocsparseL18bsrxmvn_4x4_kernelILj128ELj32E21rocsparse_complex_numIdEiiS1_IfES2_S2_EEvT3_20rocsparse_direction_NS_24const_host_device_scalarIT1_EES4_PKS4_PKT2_SD_SA_PKT4_PKT5_S8_PT6_21rocsparse_index_base_b
	.p2align	8
	.type	_ZN9rocsparseL18bsrxmvn_4x4_kernelILj128ELj32E21rocsparse_complex_numIdEiiS1_IfES2_S2_EEvT3_20rocsparse_direction_NS_24const_host_device_scalarIT1_EES4_PKS4_PKT2_SD_SA_PKT4_PKT5_S8_PT6_21rocsparse_index_base_b,@function
_ZN9rocsparseL18bsrxmvn_4x4_kernelILj128ELj32E21rocsparse_complex_numIdEiiS1_IfES2_S2_EEvT3_20rocsparse_direction_NS_24const_host_device_scalarIT1_EES4_PKS4_PKT2_SD_SA_PKT4_PKT5_S8_PT6_21rocsparse_index_base_b: ; @_ZN9rocsparseL18bsrxmvn_4x4_kernelILj128ELj32E21rocsparse_complex_numIdEiiS1_IfES2_S2_EEvT3_20rocsparse_direction_NS_24const_host_device_scalarIT1_EES4_PKS4_PKT2_SD_SA_PKT4_PKT5_S8_PT6_21rocsparse_index_base_b
; %bb.0:
	s_clause 0x1
	s_load_b64 s[12:13], s[0:1], 0x68
	s_load_b64 s[2:3], s[0:1], 0x8
	s_add_nc_u64 s[4:5], s[0:1], 8
	s_load_b64 s[6:7], s[0:1], 0x50
	s_wait_kmcnt 0x0
	s_bitcmp1_b32 s13, 0
	s_cselect_b32 s2, s4, s2
	s_cselect_b32 s3, s5, s3
	s_delay_alu instid0(SALU_CYCLE_1)
	v_dual_mov_b32 v1, s2 :: v_dual_mov_b32 v2, s3
	s_add_nc_u64 s[2:3], s[0:1], 0x50
	s_wait_alu 0xfffe
	s_cselect_b32 s2, s2, s6
	s_cselect_b32 s3, s3, s7
	flat_load_b128 v[5:8], v[1:2]
	s_wait_alu 0xfffe
	v_dual_mov_b32 v1, s2 :: v_dual_mov_b32 v2, s3
	flat_load_b128 v[1:4], v[1:2]
	s_wait_loadcnt_dscnt 0x101
	v_cmp_eq_f64_e32 vcc_lo, 0, v[5:6]
	v_cmp_eq_f64_e64 s2, 0, v[7:8]
	s_and_b32 s4, vcc_lo, s2
	s_mov_b32 s2, -1
	s_and_saveexec_b32 s3, s4
	s_cbranch_execz .LBB168_2
; %bb.1:
	s_wait_loadcnt_dscnt 0x0
	v_cmp_neq_f64_e32 vcc_lo, 1.0, v[1:2]
	v_cmp_neq_f64_e64 s2, 0, v[3:4]
	s_wait_alu 0xfffe
	s_or_b32 s2, vcc_lo, s2
	s_wait_alu 0xfffe
	s_or_not1_b32 s2, s2, exec_lo
.LBB168_2:
	s_wait_alu 0xfffe
	s_or_b32 exec_lo, exec_lo, s3
	s_and_saveexec_b32 s3, s2
	s_cbranch_execz .LBB168_8
; %bb.3:
	s_clause 0x1
	s_load_b64 s[4:5], s[0:1], 0x20
	s_load_b64 s[2:3], s[0:1], 0x0
	v_lshrrev_b32_e32 v9, 5, v0
	s_delay_alu instid0(VALU_DEP_1)
	v_lshl_or_b32 v21, ttmp9, 2, v9
	s_wait_kmcnt 0x0
	s_cmp_lg_u64 s[4:5], 0
	s_cbranch_scc0 .LBB168_9
; %bb.4:
	s_load_b32 s6, s[0:1], 0x18
	s_mov_b32 s7, 0
                                        ; implicit-def: $vgpr9
	s_wait_kmcnt 0x0
	v_cmp_gt_i32_e32 vcc_lo, s6, v21
	s_mov_b32 s6, 0
	s_and_saveexec_b32 s8, vcc_lo
	s_delay_alu instid0(SALU_CYCLE_1)
	s_xor_b32 s8, exec_lo, s8
	s_cbranch_execz .LBB168_6
; %bb.5:
	v_ashrrev_i32_e32 v22, 31, v21
	s_mov_b32 s6, exec_lo
	s_delay_alu instid0(VALU_DEP_1) | instskip(NEXT) | instid1(VALU_DEP_1)
	v_lshlrev_b64_e32 v[9:10], 2, v[21:22]
	v_add_co_u32 v9, vcc_lo, s4, v9
	s_delay_alu instid0(VALU_DEP_1)
	v_add_co_ci_u32_e64 v10, null, s5, v10, vcc_lo
	global_load_b32 v9, v[9:10], off
	s_wait_loadcnt 0x0
	v_subrev_nc_u32_e32 v9, s12, v9
.LBB168_6:
	s_or_b32 exec_lo, exec_lo, s8
	s_delay_alu instid0(SALU_CYCLE_1)
	s_and_b32 vcc_lo, exec_lo, s7
	s_wait_alu 0xfffe
	s_cbranch_vccz .LBB168_10
.LBB168_7:
	v_cmp_gt_i32_e32 vcc_lo, s2, v21
	s_and_not1_b32 s2, s6, exec_lo
	s_and_b32 s4, vcc_lo, exec_lo
	s_wait_alu 0xfffe
	s_or_b32 s6, s2, s4
	s_wait_alu 0xfffe
	s_and_b32 exec_lo, exec_lo, s6
	s_cbranch_execnz .LBB168_11
.LBB168_8:
	s_nop 0
	s_sendmsg sendmsg(MSG_DEALLOC_VGPRS)
	s_endpgm
.LBB168_9:
	s_mov_b32 s6, 0
                                        ; implicit-def: $vgpr9
	s_cbranch_execnz .LBB168_7
.LBB168_10:
	v_mov_b32_e32 v21, v9
	s_and_b32 exec_lo, exec_lo, s6
	s_cbranch_execz .LBB168_8
.LBB168_11:
	s_load_b256 s[4:11], s[0:1], 0x28
	s_delay_alu instid0(VALU_DEP_1) | instskip(SKIP_1) | instid1(VALU_DEP_2)
	v_ashrrev_i32_e32 v22, 31, v21
	v_and_b32_e32 v0, 31, v0
	v_lshlrev_b64_e32 v[9:10], 2, v[21:22]
	s_wait_kmcnt 0x0
	s_delay_alu instid0(VALU_DEP_1) | instskip(SKIP_1) | instid1(VALU_DEP_2)
	v_add_co_u32 v11, vcc_lo, s4, v9
	s_wait_alu 0xfffd
	v_add_co_ci_u32_e64 v12, null, s5, v10, vcc_lo
	v_add_co_u32 v9, vcc_lo, s6, v9
	s_wait_alu 0xfffd
	v_add_co_ci_u32_e64 v10, null, s7, v10, vcc_lo
	global_load_b32 v35, v[11:12], off
	v_add_co_u32 v11, vcc_lo, v11, 4
	s_wait_alu 0xfffd
	v_add_co_ci_u32_e64 v12, null, 0, v12, vcc_lo
	s_cmp_eq_u64 s[6:7], 0
	s_load_b64 s[4:5], s[0:1], 0x48
	s_cselect_b32 vcc_lo, -1, 0
	s_cmp_eq_u32 s3, 1
	s_wait_alu 0xfffe
	v_dual_cndmask_b32 v10, v10, v12 :: v_dual_cndmask_b32 v9, v9, v11
	global_load_b32 v13, v[9:10], off
	s_wait_loadcnt 0x1
	v_subrev_nc_u32_e32 v9, s12, v35
	s_delay_alu instid0(VALU_DEP_1) | instskip(NEXT) | instid1(VALU_DEP_1)
	v_add_nc_u32_e32 v9, v9, v0
	v_ashrrev_i32_e32 v10, 31, v9
	s_wait_loadcnt 0x0
	v_subrev_nc_u32_e32 v34, s12, v13
	s_delay_alu instid0(VALU_DEP_2) | instskip(NEXT) | instid1(VALU_DEP_2)
	v_lshlrev_b64_e32 v[11:12], 7, v[9:10]
	v_cmp_lt_i32_e64 s2, v9, v34
	s_delay_alu instid0(VALU_DEP_2) | instskip(SKIP_1) | instid1(VALU_DEP_3)
	v_add_co_u32 v11, vcc_lo, s10, v11
	s_wait_alu 0xfffd
	v_add_co_ci_u32_e64 v12, null, s11, v12, vcc_lo
	s_cbranch_scc1 .LBB168_23
; %bb.12:
	v_dual_mov_b32 v13, 0 :: v_dual_mov_b32 v26, 0
	v_dual_mov_b32 v14, 0 :: v_dual_mov_b32 v19, 0
	;; [unrolled: 1-line block ×5, first 2 shown]
	v_mov_b32_e32 v20, 0
	v_dual_mov_b32 v18, 0 :: v_dual_mov_b32 v25, 0
	v_mov_b32_e32 v29, 0
	v_dual_mov_b32 v23, 0 :: v_dual_mov_b32 v16, 0
	s_and_saveexec_b32 s6, s2
	s_cbranch_execz .LBB168_22
; %bb.13:
	v_dual_mov_b32 v15, 0 :: v_dual_add_nc_u32 v10, v35, v0
	v_mov_b32_e32 v22, 0
	v_not_b32_e32 v13, v35
	v_dual_mov_b32 v26, 0 :: v_dual_mov_b32 v17, 0
	s_delay_alu instid0(VALU_DEP_4) | instskip(SKIP_2) | instid1(VALU_DEP_3)
	v_subrev_nc_u32_e32 v10, s12, v10
	v_mov_b32_e32 v28, 0
	v_dual_mov_b32 v24, 0 :: v_dual_mov_b32 v19, 0
	v_dual_mov_b32 v23, 0 :: v_dual_add_nc_u32 v10, 32, v10
	v_dual_mov_b32 v18, 0 :: v_dual_mov_b32 v33, v12
	v_dual_mov_b32 v16, 0 :: v_dual_mov_b32 v29, 0
	s_delay_alu instid0(VALU_DEP_3) | instskip(SKIP_3) | instid1(VALU_DEP_4)
	v_max_i32_e32 v10, v10, v34
	v_mov_b32_e32 v27, 0
	v_dual_mov_b32 v25, 0 :: v_dual_mov_b32 v20, 0
	v_mov_b32_e32 v32, v11
	v_add3_u32 v10, s12, v10, v13
	v_mov_b32_e32 v13, 0
	v_mov_b32_e32 v14, 0
	s_delay_alu instid0(VALU_DEP_3) | instskip(NEXT) | instid1(VALU_DEP_1)
	v_sub_nc_u32_e32 v10, v10, v0
	v_and_b32_e32 v30, 0x60, v10
	s_delay_alu instid0(VALU_DEP_1)
	v_cmp_ne_u32_e32 vcc_lo, 0x60, v30
	v_mov_b32_e32 v30, v9
	s_and_saveexec_b32 s3, vcc_lo
	s_cbranch_execz .LBB168_17
; %bb.14:
	v_lshrrev_b32_e32 v15, 5, v10
	v_dual_mov_b32 v13, 0 :: v_dual_mov_b32 v30, v9
	v_dual_mov_b32 v14, 0 :: v_dual_mov_b32 v19, 0
	s_delay_alu instid0(VALU_DEP_3) | instskip(SKIP_2) | instid1(VALU_DEP_3)
	v_dual_mov_b32 v24, 0 :: v_dual_add_nc_u32 v15, 1, v15
	v_dual_mov_b32 v25, 0 :: v_dual_mov_b32 v26, 0
	v_dual_mov_b32 v27, 0 :: v_dual_mov_b32 v28, 0
	v_dual_mov_b32 v20, 0 :: v_dual_and_b32 v31, 3, v15
	v_mov_b32_e32 v17, 0
	v_dual_mov_b32 v29, 0 :: v_dual_mov_b32 v22, 0
	v_mov_b32_e32 v15, 0
	v_dual_mov_b32 v33, v12 :: v_dual_mov_b32 v18, 0
	v_dual_mov_b32 v23, 0 :: v_dual_mov_b32 v16, 0
	v_sub_nc_u32_e32 v36, 0, v31
	v_mov_b32_e32 v32, v11
	s_mov_b32 s7, 0
.LBB168_15:                             ; =>This Inner Loop Header: Depth=1
	v_ashrrev_i32_e32 v31, 31, v30
	s_delay_alu instid0(VALU_DEP_3) | instskip(SKIP_2) | instid1(VALU_DEP_2)
	v_add_co_u32 v36, s10, v36, 1
	s_wait_alu 0xfffe
	s_or_b32 s7, s10, s7
	v_lshlrev_b64_e32 v[37:38], 2, v[30:31]
	v_add_nc_u32_e32 v30, 32, v30
	s_delay_alu instid0(VALU_DEP_2) | instskip(SKIP_1) | instid1(VALU_DEP_3)
	v_add_co_u32 v37, vcc_lo, s8, v37
	s_wait_alu 0xfffd
	v_add_co_ci_u32_e64 v38, null, s9, v38, vcc_lo
	global_load_b32 v31, v[37:38], off
	s_clause 0x7
	global_load_b128 v[37:40], v[32:33], off
	global_load_b128 v[41:44], v[32:33], off offset:32
	global_load_b128 v[45:48], v[32:33], off offset:64
	;; [unrolled: 1-line block ×7, first 2 shown]
	s_wait_loadcnt 0x8
	v_subrev_nc_u32_e32 v31, s12, v31
	s_wait_loadcnt 0x7
	v_cvt_f64_f32_e32 v[85:86], v37
	v_cvt_f64_f32_e32 v[37:38], v38
	s_wait_loadcnt 0x6
	v_cvt_f64_f32_e32 v[87:88], v41
	v_cvt_f64_f32_e32 v[41:42], v42
	v_lshlrev_b32_e32 v69, 2, v31
	s_wait_loadcnt 0x5
	v_cvt_f64_f32_e32 v[89:90], v45
	v_cvt_f64_f32_e32 v[45:46], v46
	s_wait_loadcnt 0x3
	v_cvt_f64_f32_e32 v[91:92], v53
	v_cvt_f64_f32_e32 v[53:54], v54
	v_ashrrev_i32_e32 v70, 31, v69
	v_cvt_f64_f32_e32 v[93:94], v43
	v_cvt_f64_f32_e32 v[43:44], v44
	;; [unrolled: 1-line block ×4, first 2 shown]
	v_lshlrev_b64_e32 v[69:70], 4, v[69:70]
	v_cvt_f64_f32_e32 v[97:98], v55
	v_cvt_f64_f32_e32 v[55:56], v56
	s_wait_kmcnt 0x0
	s_delay_alu instid0(VALU_DEP_3)
	v_add_co_u32 v81, vcc_lo, s4, v69
	s_wait_alu 0xfffd
	v_add_co_ci_u32_e64 v82, null, s5, v70, vcc_lo
	v_add_co_u32 v32, vcc_lo, 0x1000, v32
	s_wait_alu 0xfffd
	v_add_co_ci_u32_e64 v33, null, 0, v33, vcc_lo
	s_clause 0x3
	global_load_b128 v[69:72], v[81:82], off
	global_load_b128 v[73:76], v[81:82], off offset:16
	global_load_b128 v[77:80], v[81:82], off offset:32
	;; [unrolled: 1-line block ×3, first 2 shown]
	s_wait_loadcnt 0x3
	v_fma_f64 v[19:20], v[85:86], v[69:70], v[19:20]
	v_fma_f64 v[13:14], v[37:38], v[69:70], v[13:14]
	;; [unrolled: 1-line block ×8, first 2 shown]
	v_cvt_f64_f32_e32 v[69:70], v39
	v_cvt_f64_f32_e32 v[39:40], v40
	v_fma_f64 v[19:20], -v[37:38], v[71:72], v[19:20]
	v_fma_f64 v[13:14], v[85:86], v[71:72], v[13:14]
	v_fma_f64 v[24:25], -v[41:42], v[71:72], v[24:25]
	v_fma_f64 v[17:18], v[87:88], v[71:72], v[17:18]
	;; [unrolled: 2-line block ×4, first 2 shown]
	v_cvt_f64_f32_e32 v[37:38], v57
	v_cvt_f64_f32_e32 v[41:42], v58
	;; [unrolled: 1-line block ×8, first 2 shown]
	s_wait_loadcnt 0x2
	v_fma_f64 v[19:20], v[69:70], v[73:74], v[19:20]
	v_fma_f64 v[13:14], v[39:40], v[73:74], v[13:14]
	;; [unrolled: 1-line block ×8, first 2 shown]
	v_fma_f64 v[19:20], -v[39:40], v[75:76], v[19:20]
	v_fma_f64 v[13:14], v[69:70], v[75:76], v[13:14]
	v_fma_f64 v[24:25], -v[43:44], v[75:76], v[24:25]
	v_fma_f64 v[17:18], v[93:94], v[75:76], v[17:18]
	;; [unrolled: 2-line block ×4, first 2 shown]
	v_cvt_f64_f32_e32 v[39:40], v59
	v_cvt_f64_f32_e32 v[43:44], v60
	;; [unrolled: 1-line block ×8, first 2 shown]
	s_wait_loadcnt 0x1
	v_fma_f64 v[19:20], v[37:38], v[77:78], v[19:20]
	v_fma_f64 v[13:14], v[41:42], v[77:78], v[13:14]
	;; [unrolled: 1-line block ×8, first 2 shown]
	v_fma_f64 v[19:20], -v[41:42], v[79:80], v[19:20]
	v_fma_f64 v[13:14], v[37:38], v[79:80], v[13:14]
	v_fma_f64 v[24:25], -v[49:50], v[79:80], v[24:25]
	v_fma_f64 v[17:18], v[45:46], v[79:80], v[17:18]
	;; [unrolled: 2-line block ×4, first 2 shown]
	s_wait_loadcnt 0x0
	v_fma_f64 v[19:20], v[39:40], v[81:82], v[19:20]
	v_fma_f64 v[13:14], v[43:44], v[81:82], v[13:14]
	;; [unrolled: 1-line block ×8, first 2 shown]
	v_fma_f64 v[19:20], -v[43:44], v[83:84], v[19:20]
	v_fma_f64 v[13:14], v[39:40], v[83:84], v[13:14]
	v_fma_f64 v[24:25], -v[51:52], v[83:84], v[24:25]
	v_fma_f64 v[17:18], v[47:48], v[83:84], v[17:18]
	;; [unrolled: 2-line block ×4, first 2 shown]
	s_wait_alu 0xfffe
	s_and_not1_b32 exec_lo, exec_lo, s7
	s_cbranch_execnz .LBB168_15
; %bb.16:
	s_or_b32 exec_lo, exec_lo, s7
.LBB168_17:
	s_wait_alu 0xfffe
	s_or_b32 exec_lo, exec_lo, s3
	s_delay_alu instid0(SALU_CYCLE_1)
	s_mov_b32 s7, exec_lo
	v_cmpx_lt_u32_e32 0x5f, v10
	s_cbranch_execz .LBB168_21
; %bb.18:
	s_mov_b32 s10, 0
.LBB168_19:                             ; =>This Inner Loop Header: Depth=1
	v_ashrrev_i32_e32 v31, 31, v30
	s_delay_alu instid0(VALU_DEP_1) | instskip(SKIP_1) | instid1(VALU_DEP_2)
	v_lshlrev_b64_e32 v[36:37], 2, v[30:31]
	v_add_nc_u32_e32 v30, 0x80, v30
	v_add_co_u32 v52, vcc_lo, s8, v36
	s_wait_alu 0xfffd
	s_delay_alu instid0(VALU_DEP_3)
	v_add_co_ci_u32_e64 v53, null, s9, v37, vcc_lo
	global_load_b32 v31, v[52:53], off
	s_clause 0x3
	global_load_b128 v[36:39], v[32:33], off
	global_load_b128 v[40:43], v[32:33], off offset:32
	global_load_b128 v[44:47], v[32:33], off offset:64
	;; [unrolled: 1-line block ×3, first 2 shown]
	s_clause 0x2
	global_load_b32 v100, v[52:53], off offset:128
	global_load_b32 v128, v[52:53], off offset:256
	;; [unrolled: 1-line block ×3, first 2 shown]
	s_wait_loadcnt 0x7
	v_subrev_nc_u32_e32 v31, s12, v31
	s_wait_loadcnt 0x6
	v_cvt_f64_f32_e32 v[104:105], v36
	v_cvt_f64_f32_e32 v[36:37], v37
	s_wait_loadcnt 0x5
	v_cvt_f64_f32_e32 v[106:107], v40
	v_cvt_f64_f32_e32 v[40:41], v41
	v_lshlrev_b32_e32 v52, 2, v31
	s_wait_loadcnt 0x2
	v_subrev_nc_u32_e32 v31, s12, v100
	v_cvt_f64_f32_e32 v[108:109], v44
	v_cvt_f64_f32_e32 v[44:45], v45
	;; [unrolled: 1-line block ×3, first 2 shown]
	v_ashrrev_i32_e32 v53, 31, v52
	v_lshlrev_b32_e32 v100, 2, v31
	v_cvt_f64_f32_e32 v[48:49], v49
	v_cvt_f64_f32_e32 v[114:115], v39
	;; [unrolled: 1-line block ×3, first 2 shown]
	v_lshlrev_b64_e32 v[52:53], 4, v[52:53]
	v_ashrrev_i32_e32 v101, 31, v100
	v_cvt_f64_f32_e32 v[42:43], v43
	v_cvt_f64_f32_e32 v[118:119], v46
	v_cvt_f64_f32_e32 v[46:47], v47
	v_cvt_f64_f32_e32 v[120:121], v50
	s_wait_kmcnt 0x0
	v_add_co_u32 v80, vcc_lo, s4, v52
	s_wait_alu 0xfffd
	v_add_co_ci_u32_e64 v81, null, s5, v53, vcc_lo
	v_lshlrev_b64_e32 v[100:101], 4, v[100:101]
	v_cvt_f64_f32_e32 v[50:51], v51
	s_wait_loadcnt 0x1
	v_subrev_nc_u32_e32 v31, s12, v128
	s_clause 0x1
	global_load_b128 v[52:55], v[80:81], off
	global_load_b128 v[56:59], v[80:81], off offset:16
	s_clause 0x3
	global_load_b128 v[60:63], v[32:33], off offset:16
	global_load_b128 v[64:67], v[32:33], off offset:48
	;; [unrolled: 1-line block ×4, first 2 shown]
	s_clause 0x1
	global_load_b128 v[76:79], v[80:81], off offset:32
	global_load_b128 v[80:83], v[80:81], off offset:48
	s_clause 0x3
	global_load_b128 v[84:87], v[32:33], off offset:4096
	global_load_b128 v[88:91], v[32:33], off offset:4128
	;; [unrolled: 1-line block ×4, first 2 shown]
	s_wait_loadcnt 0xc
	v_subrev_nc_u32_e32 v10, s12, v10
	v_add_co_u32 v112, vcc_lo, s4, v100
	s_wait_alu 0xfffd
	v_add_co_ci_u32_e64 v113, null, s5, v101, vcc_lo
	global_load_b128 v[100:103], v[112:113], off
	s_wait_loadcnt 0xc
	v_fma_f64 v[19:20], v[104:105], v[52:53], v[19:20]
	v_fma_f64 v[13:14], v[36:37], v[52:53], v[13:14]
	;; [unrolled: 1-line block ×8, first 2 shown]
	v_cvt_f64_f32_e32 v[52:53], v38
	s_wait_loadcnt 0x9
	v_cvt_f64_f32_e32 v[122:123], v64
	v_cvt_f64_f32_e32 v[64:65], v65
	s_wait_loadcnt 0x8
	v_cvt_f64_f32_e32 v[124:125], v68
	;; [unrolled: 3-line block ×3, first 2 shown]
	v_cvt_f64_f32_e32 v[72:73], v73
	v_fma_f64 v[19:20], -v[36:37], v[54:55], v[19:20]
	v_fma_f64 v[36:37], v[104:105], v[54:55], v[13:14]
	v_fma_f64 v[24:25], -v[40:41], v[54:55], v[24:25]
	v_fma_f64 v[17:18], v[106:107], v[54:55], v[17:18]
	;; [unrolled: 2-line block ×4, first 2 shown]
	global_load_b128 v[13:16], v[112:113], off offset:16
	v_cvt_f64_f32_e32 v[110:111], v60
	v_cvt_f64_f32_e32 v[60:61], v61
	v_fma_f64 v[40:41], v[52:53], v[56:57], v[19:20]
	v_fma_f64 v[44:45], v[114:115], v[56:57], v[36:37]
	;; [unrolled: 1-line block ×8, first 2 shown]
	s_clause 0x3
	global_load_b128 v[17:20], v[32:33], off offset:4112
	global_load_b128 v[22:25], v[32:33], off offset:4144
	;; [unrolled: 1-line block ×4, first 2 shown]
	v_fma_f64 v[114:115], -v[114:115], v[58:59], v[40:41]
	v_fma_f64 v[44:45], v[52:53], v[58:59], v[44:45]
	v_fma_f64 v[48:49], -v[42:43], v[58:59], v[48:49]
	v_fma_f64 v[52:53], v[116:117], v[58:59], v[54:55]
	;; [unrolled: 2-line block ×4, first 2 shown]
	global_load_b128 v[40:43], v[112:113], off offset:32
	v_cvt_f64_f32_e32 v[104:105], v63
	v_cvt_f64_f32_e32 v[106:107], v66
	v_cvt_f64_f32_e32 v[66:67], v67
	v_cvt_f64_f32_e32 v[108:109], v70
	v_cvt_f64_f32_e32 v[70:71], v71
	s_wait_loadcnt 0xa
	v_cvt_f64_f32_e32 v[118:119], v84
	v_cvt_f64_f32_e32 v[84:85], v85
	s_wait_loadcnt 0x9
	v_cvt_f64_f32_e32 v[120:121], v88
	v_cvt_f64_f32_e32 v[88:89], v89
	v_fma_f64 v[58:59], v[110:111], v[76:77], v[114:115]
	v_fma_f64 v[44:45], v[60:61], v[76:77], v[44:45]
	;; [unrolled: 1-line block ×8, first 2 shown]
	v_cvt_f64_f32_e32 v[76:77], v62
	v_cvt_f64_f32_e32 v[114:115], v74
	;; [unrolled: 1-line block ×3, first 2 shown]
	v_fma_f64 v[58:59], -v[60:61], v[78:79], v[58:59]
	v_fma_f64 v[60:61], v[110:111], v[78:79], v[44:45]
	v_fma_f64 v[62:63], -v[64:65], v[78:79], v[48:49]
	v_fma_f64 v[64:65], v[122:123], v[78:79], v[52:53]
	;; [unrolled: 2-line block ×4, first 2 shown]
	global_load_b128 v[44:47], v[112:113], off offset:48
	s_clause 0x1
	global_load_b128 v[48:51], v[32:33], off offset:8224
	global_load_b128 v[52:55], v[32:33], off offset:8192
	v_lshlrev_b32_e32 v126, 2, v31
	s_wait_loadcnt 0xb
	v_cvt_f64_f32_e32 v[122:123], v92
	v_cvt_f64_f32_e32 v[92:93], v93
	s_wait_loadcnt 0xa
	v_cvt_f64_f32_e32 v[124:125], v96
	v_cvt_f64_f32_e32 v[96:97], v97
	v_ashrrev_i32_e32 v127, 31, v126
	v_fma_f64 v[78:79], v[76:77], v[80:81], v[58:59]
	v_fma_f64 v[112:113], v[104:105], v[80:81], v[60:61]
	;; [unrolled: 1-line block ×8, first 2 shown]
	s_clause 0x1
	global_load_b128 v[56:59], v[32:33], off offset:8256
	global_load_b128 v[60:63], v[32:33], off offset:8288
	v_fma_f64 v[78:79], -v[104:105], v[82:83], v[78:79]
	v_fma_f64 v[76:77], v[76:77], v[82:83], v[112:113]
	v_fma_f64 v[104:105], -v[66:67], v[82:83], v[116:117]
	v_fma_f64 v[106:107], v[106:107], v[82:83], v[64:65]
	;; [unrolled: 2-line block ×4, first 2 shown]
	v_lshlrev_b64_e32 v[64:65], 4, v[126:127]
	v_cvt_f64_f32_e32 v[110:111], v94
	v_cvt_f64_f32_e32 v[94:95], v95
	;; [unrolled: 1-line block ×4, first 2 shown]
	v_add_co_u32 v108, vcc_lo, s4, v64
	s_wait_alu 0xfffd
	v_add_co_ci_u32_e64 v109, null, s5, v65, vcc_lo
	global_load_b128 v[64:67], v[108:109], off
	s_wait_loadcnt 0xc
	v_fma_f64 v[78:79], v[118:119], v[100:101], v[78:79]
	v_fma_f64 v[76:77], v[84:85], v[100:101], v[76:77]
	;; [unrolled: 1-line block ×8, first 2 shown]
	v_cvt_f64_f32_e32 v[100:101], v86
	v_cvt_f64_f32_e32 v[104:105], v87
	;; [unrolled: 1-line block ×4, first 2 shown]
	v_fma_f64 v[78:79], -v[84:85], v[102:103], v[78:79]
	v_fma_f64 v[76:77], v[118:119], v[102:103], v[76:77]
	v_fma_f64 v[80:81], -v[88:89], v[102:103], v[80:81]
	v_fma_f64 v[82:83], v[120:121], v[102:103], v[82:83]
	;; [unrolled: 2-line block ×4, first 2 shown]
	global_load_b128 v[68:71], v[108:109], off offset:16
	s_wait_loadcnt 0xc
	v_fma_f64 v[88:89], v[100:101], v[13:14], v[78:79]
	v_fma_f64 v[92:93], v[104:105], v[13:14], v[76:77]
	;; [unrolled: 1-line block ×8, first 2 shown]
	s_clause 0x3
	global_load_b128 v[72:75], v[32:33], off offset:8208
	global_load_b128 v[76:79], v[32:33], off offset:8240
	global_load_b128 v[80:83], v[32:33], off offset:8272
	global_load_b128 v[84:87], v[32:33], off offset:8304
	s_wait_loadcnt 0xf
	v_cvt_f64_f32_e32 v[120:121], v17
	v_cvt_f64_f32_e32 v[17:18], v18
	s_wait_loadcnt 0xe
	v_cvt_f64_f32_e32 v[122:123], v22
	v_cvt_f64_f32_e32 v[22:23], v23
	;; [unrolled: 3-line block ×4, first 2 shown]
	v_fma_f64 v[88:89], -v[104:105], v[15:16], v[88:89]
	v_fma_f64 v[92:93], v[100:101], v[15:16], v[92:93]
	v_fma_f64 v[90:91], -v[90:91], v[15:16], v[96:97]
	v_fma_f64 v[96:97], v[106:107], v[15:16], v[102:103]
	;; [unrolled: 2-line block ×4, first 2 shown]
	global_load_b128 v[13:16], v[108:109], off offset:32
	v_cvt_f64_f32_e32 v[104:105], v20
	v_cvt_f64_f32_e32 v[106:107], v24
	;; [unrolled: 1-line block ×7, first 2 shown]
	s_wait_loadcnt 0xc
	v_fma_f64 v[88:89], v[120:121], v[40:41], v[88:89]
	v_fma_f64 v[92:93], v[17:18], v[40:41], v[92:93]
	;; [unrolled: 1-line block ×8, first 2 shown]
	v_cvt_f64_f32_e32 v[102:103], v19
	v_fma_f64 v[24:25], -v[17:18], v[42:43], v[88:89]
	v_fma_f64 v[28:29], v[120:121], v[42:43], v[92:93]
	v_fma_f64 v[22:23], -v[22:23], v[42:43], v[90:91]
	v_fma_f64 v[38:39], v[122:123], v[42:43], v[96:97]
	;; [unrolled: 2-line block ×4, first 2 shown]
	global_load_b128 v[17:20], v[108:109], off offset:48
	v_lshlrev_b32_e32 v126, 2, v10
	s_delay_alu instid0(VALU_DEP_1)
	v_ashrrev_i32_e32 v127, 31, v126
	s_wait_loadcnt 0xb
	v_cvt_f64_f32_e32 v[120:121], v48
	s_wait_loadcnt 0xa
	v_cvt_f64_f32_e32 v[108:109], v52
	v_cvt_f64_f32_e32 v[52:53], v53
	;; [unrolled: 1-line block ×3, first 2 shown]
	v_fma_f64 v[90:91], v[102:103], v[44:45], v[24:25]
	v_fma_f64 v[92:93], v[104:105], v[44:45], v[28:29]
	;; [unrolled: 1-line block ×8, first 2 shown]
	s_clause 0x3
	global_load_b128 v[22:25], v[32:33], off offset:12288
	global_load_b128 v[26:29], v[32:33], off offset:12320
	;; [unrolled: 1-line block ×4, first 2 shown]
	s_wait_loadcnt 0xd
	v_cvt_f64_f32_e32 v[122:123], v56
	v_cvt_f64_f32_e32 v[56:57], v57
	s_wait_loadcnt 0xc
	v_cvt_f64_f32_e32 v[124:125], v60
	v_cvt_f64_f32_e32 v[60:61], v61
	v_fma_f64 v[90:91], -v[104:105], v[46:47], v[90:91]
	v_fma_f64 v[92:93], v[102:103], v[46:47], v[92:93]
	v_fma_f64 v[94:95], -v[110:111], v[46:47], v[94:95]
	v_fma_f64 v[96:97], v[106:107], v[46:47], v[96:97]
	;; [unrolled: 2-line block ×4, first 2 shown]
	v_lshlrev_b64_e32 v[44:45], 4, v[126:127]
	v_cvt_f64_f32_e32 v[106:107], v55
	v_cvt_f64_f32_e32 v[110:111], v50
	;; [unrolled: 1-line block ×5, first 2 shown]
	v_add_co_u32 v104, vcc_lo, s4, v44
	s_wait_alu 0xfffd
	v_add_co_ci_u32_e64 v105, null, s5, v45, vcc_lo
	v_cvt_f64_f32_e32 v[118:119], v62
	v_cvt_f64_f32_e32 v[126:127], v63
	v_cmp_ge_i32_e32 vcc_lo, v30, v34
	global_load_b128 v[44:47], v[104:105], off
	s_wait_alu 0xfffe
	s_or_b32 s10, vcc_lo, s10
	s_wait_loadcnt 0xc
	v_fma_f64 v[90:91], v[108:109], v[64:65], v[90:91]
	v_fma_f64 v[92:93], v[52:53], v[64:65], v[92:93]
	;; [unrolled: 1-line block ×8, first 2 shown]
	v_cvt_f64_f32_e32 v[102:103], v54
	v_fma_f64 v[52:53], -v[52:53], v[66:67], v[90:91]
	v_fma_f64 v[54:55], v[108:109], v[66:67], v[92:93]
	v_fma_f64 v[58:59], -v[48:49], v[66:67], v[94:95]
	v_fma_f64 v[62:63], v[120:121], v[66:67], v[96:97]
	;; [unrolled: 2-line block ×4, first 2 shown]
	global_load_b128 v[48:51], v[104:105], off offset:16
	s_wait_loadcnt 0xc
	v_fma_f64 v[90:91], v[102:103], v[68:69], v[52:53]
	v_fma_f64 v[92:93], v[106:107], v[68:69], v[54:55]
	v_fma_f64 v[94:95], v[110:111], v[68:69], v[58:59]
	v_fma_f64 v[96:97], v[112:113], v[68:69], v[62:63]
	v_fma_f64 v[98:99], v[114:115], v[68:69], v[56:57]
	v_fma_f64 v[88:89], v[116:117], v[68:69], v[88:89]
	v_fma_f64 v[100:101], v[118:119], v[68:69], v[60:61]
	v_fma_f64 v[68:69], v[126:127], v[68:69], v[64:65]
	s_clause 0x3
	global_load_b128 v[52:55], v[32:33], off offset:12304
	global_load_b128 v[56:59], v[32:33], off offset:12336
	;; [unrolled: 1-line block ×4, first 2 shown]
	v_add_co_u32 v32, s3, 0x4000, v32
	s_wait_alu 0xf1ff
	v_add_co_ci_u32_e64 v33, null, 0, v33, s3
	s_wait_loadcnt 0xf
	v_cvt_f64_f32_e32 v[108:109], v72
	v_cvt_f64_f32_e32 v[72:73], v73
	s_wait_loadcnt 0xe
	v_cvt_f64_f32_e32 v[120:121], v76
	v_cvt_f64_f32_e32 v[76:77], v77
	;; [unrolled: 3-line block ×4, first 2 shown]
	v_fma_f64 v[90:91], -v[106:107], v[70:71], v[90:91]
	v_fma_f64 v[92:93], v[102:103], v[70:71], v[92:93]
	v_fma_f64 v[94:95], -v[112:113], v[70:71], v[94:95]
	v_fma_f64 v[96:97], v[110:111], v[70:71], v[96:97]
	;; [unrolled: 2-line block ×4, first 2 shown]
	global_load_b128 v[68:71], v[104:105], off offset:32
	v_cvt_f64_f32_e32 v[106:107], v75
	v_cvt_f64_f32_e32 v[110:111], v78
	v_cvt_f64_f32_e32 v[78:79], v79
	v_cvt_f64_f32_e32 v[112:113], v82
	v_cvt_f64_f32_e32 v[82:83], v83
	v_cvt_f64_f32_e32 v[114:115], v86
	v_cvt_f64_f32_e32 v[86:87], v87
	s_wait_loadcnt 0xc
	v_fma_f64 v[90:91], v[108:109], v[13:14], v[90:91]
	v_fma_f64 v[92:93], v[72:73], v[13:14], v[92:93]
	;; [unrolled: 1-line block ×8, first 2 shown]
	v_cvt_f64_f32_e32 v[102:103], v74
	v_fma_f64 v[90:91], -v[72:73], v[15:16], v[90:91]
	v_fma_f64 v[92:93], v[108:109], v[15:16], v[92:93]
	v_fma_f64 v[76:77], -v[76:77], v[15:16], v[94:95]
	v_fma_f64 v[94:95], v[120:121], v[15:16], v[96:97]
	;; [unrolled: 2-line block ×4, first 2 shown]
	global_load_b128 v[72:75], v[104:105], off offset:48
	s_wait_loadcnt 0xc
	v_fma_f64 v[15:16], v[102:103], v[17:18], v[90:91]
	v_fma_f64 v[90:91], v[106:107], v[17:18], v[92:93]
	;; [unrolled: 1-line block ×8, first 2 shown]
	s_wait_loadcnt 0xb
	v_cvt_f64_f32_e32 v[17:18], v22
	v_cvt_f64_f32_e32 v[22:23], v23
	s_wait_loadcnt 0xa
	v_cvt_f64_f32_e32 v[94:95], v26
	v_cvt_f64_f32_e32 v[26:27], v27
	;; [unrolled: 3-line block ×4, first 2 shown]
	v_fma_f64 v[15:16], -v[106:107], v[19:20], v[15:16]
	v_fma_f64 v[90:91], v[102:103], v[19:20], v[90:91]
	v_fma_f64 v[76:77], -v[78:79], v[19:20], v[76:77]
	v_fma_f64 v[78:79], v[110:111], v[19:20], v[92:93]
	;; [unrolled: 2-line block ×4, first 2 shown]
	v_cvt_f64_f32_e32 v[86:87], v28
	v_cvt_f64_f32_e32 v[28:29], v29
	;; [unrolled: 1-line block ×4, first 2 shown]
	s_wait_loadcnt 0x7
	v_fma_f64 v[15:16], v[17:18], v[44:45], v[15:16]
	v_fma_f64 v[19:20], v[22:23], v[44:45], v[90:91]
	v_fma_f64 v[76:77], v[94:95], v[44:45], v[76:77]
	v_fma_f64 v[78:79], v[26:27], v[44:45], v[78:79]
	v_fma_f64 v[80:81], v[96:97], v[44:45], v[80:81]
	v_fma_f64 v[82:83], v[36:37], v[44:45], v[82:83]
	v_fma_f64 v[84:85], v[98:99], v[44:45], v[84:85]
	v_fma_f64 v[13:14], v[40:41], v[44:45], v[13:14]
	v_cvt_f64_f32_e32 v[44:45], v24
	v_cvt_f64_f32_e32 v[24:25], v25
	;; [unrolled: 1-line block ×4, first 2 shown]
	v_fma_f64 v[15:16], -v[22:23], v[46:47], v[15:16]
	v_fma_f64 v[17:18], v[17:18], v[46:47], v[19:20]
	v_fma_f64 v[19:20], -v[26:27], v[46:47], v[76:77]
	v_fma_f64 v[22:23], v[94:95], v[46:47], v[78:79]
	;; [unrolled: 2-line block ×4, first 2 shown]
	s_wait_loadcnt 0x6
	v_fma_f64 v[15:16], v[44:45], v[48:49], v[15:16]
	v_fma_f64 v[17:18], v[24:25], v[48:49], v[17:18]
	;; [unrolled: 1-line block ×8, first 2 shown]
	s_wait_loadcnt 0x5
	v_cvt_f64_f32_e32 v[46:47], v52
	v_cvt_f64_f32_e32 v[48:49], v53
	s_wait_loadcnt 0x4
	v_cvt_f64_f32_e32 v[52:53], v56
	v_cvt_f64_f32_e32 v[56:57], v57
	;; [unrolled: 3-line block ×4, first 2 shown]
	v_fma_f64 v[15:16], -v[24:25], v[50:51], v[15:16]
	v_fma_f64 v[17:18], v[44:45], v[50:51], v[17:18]
	v_fma_f64 v[19:20], -v[28:29], v[50:51], v[19:20]
	v_fma_f64 v[22:23], v[86:87], v[50:51], v[22:23]
	;; [unrolled: 2-line block ×4, first 2 shown]
	v_cvt_f64_f32_e32 v[36:37], v54
	v_cvt_f64_f32_e32 v[38:39], v55
	;; [unrolled: 1-line block ×8, first 2 shown]
	s_wait_loadcnt 0x1
	v_fma_f64 v[15:16], v[46:47], v[68:69], v[15:16]
	v_fma_f64 v[17:18], v[48:49], v[68:69], v[17:18]
	;; [unrolled: 1-line block ×8, first 2 shown]
	v_fma_f64 v[15:16], -v[48:49], v[70:71], v[15:16]
	v_fma_f64 v[17:18], v[46:47], v[70:71], v[17:18]
	v_fma_f64 v[19:20], -v[56:57], v[70:71], v[19:20]
	v_fma_f64 v[22:23], v[52:53], v[70:71], v[22:23]
	;; [unrolled: 2-line block ×4, first 2 shown]
	s_wait_loadcnt 0x0
	v_fma_f64 v[15:16], v[36:37], v[72:73], v[15:16]
	v_fma_f64 v[17:18], v[38:39], v[72:73], v[17:18]
	;; [unrolled: 1-line block ×8, first 2 shown]
	v_fma_f64 v[19:20], -v[38:39], v[74:75], v[15:16]
	v_fma_f64 v[13:14], v[36:37], v[74:75], v[17:18]
	v_fma_f64 v[24:25], -v[42:43], v[74:75], v[46:47]
	v_fma_f64 v[17:18], v[40:41], v[74:75], v[22:23]
	;; [unrolled: 2-line block ×4, first 2 shown]
	s_wait_alu 0xfffe
	s_and_not1_b32 exec_lo, exec_lo, s10
	s_cbranch_execnz .LBB168_19
; %bb.20:
	s_or_b32 exec_lo, exec_lo, s10
.LBB168_21:
	s_wait_alu 0xfffe
	s_or_b32 exec_lo, exec_lo, s7
.LBB168_22:
	s_wait_alu 0xfffe
	s_or_b32 exec_lo, exec_lo, s6
	s_cbranch_execz .LBB168_24
	s_branch .LBB168_35
.LBB168_23:
                                        ; implicit-def: $vgpr13_vgpr14
                                        ; implicit-def: $vgpr19_vgpr20
                                        ; implicit-def: $vgpr17_vgpr18
                                        ; implicit-def: $vgpr24_vgpr25
                                        ; implicit-def: $vgpr26_vgpr27
                                        ; implicit-def: $vgpr28_vgpr29
                                        ; implicit-def: $vgpr22_vgpr23
                                        ; implicit-def: $vgpr15_vgpr16
.LBB168_24:
	v_dual_mov_b32 v13, 0 :: v_dual_mov_b32 v26, 0
	v_dual_mov_b32 v14, 0 :: v_dual_mov_b32 v19, 0
	;; [unrolled: 1-line block ×5, first 2 shown]
	v_mov_b32_e32 v20, 0
	v_dual_mov_b32 v18, 0 :: v_dual_mov_b32 v25, 0
	v_mov_b32_e32 v29, 0
	v_dual_mov_b32 v23, 0 :: v_dual_mov_b32 v16, 0
	s_and_saveexec_b32 s3, s2
	s_cbranch_execz .LBB168_34
; %bb.25:
	v_dual_mov_b32 v15, 0 :: v_dual_add_nc_u32 v10, v35, v0
	v_mov_b32_e32 v22, 0
	v_not_b32_e32 v13, v35
	v_mov_b32_e32 v28, 0
	s_delay_alu instid0(VALU_DEP_4) | instskip(SKIP_3) | instid1(VALU_DEP_4)
	v_subrev_nc_u32_e32 v10, s12, v10
	v_dual_mov_b32 v26, 0 :: v_dual_mov_b32 v19, 0
	v_mov_b32_e32 v24, 0
	v_dual_mov_b32 v16, 0 :: v_dual_mov_b32 v29, 0
	v_dual_mov_b32 v23, 0 :: v_dual_add_nc_u32 v10, 32, v10
	v_mov_b32_e32 v27, 0
	v_dual_mov_b32 v25, 0 :: v_dual_mov_b32 v20, 0
	s_delay_alu instid0(VALU_DEP_3) | instskip(SKIP_3) | instid1(VALU_DEP_3)
	v_max_i32_e32 v10, v10, v34
	s_mov_b32 s2, exec_lo
	v_mov_b32_e32 v17, 0
	v_mov_b32_e32 v18, 0
	v_add3_u32 v10, s12, v10, v13
	v_mov_b32_e32 v13, 0
	v_mov_b32_e32 v14, 0
	s_delay_alu instid0(VALU_DEP_3) | instskip(NEXT) | instid1(VALU_DEP_1)
	v_sub_nc_u32_e32 v30, v10, v0
	v_and_b32_e32 v10, 0x60, v30
	s_delay_alu instid0(VALU_DEP_1)
	v_cmpx_ne_u32_e32 0x60, v10
	s_cbranch_execz .LBB168_29
; %bb.26:
	v_lshrrev_b32_e32 v10, 5, v30
	v_mov_b32_e32 v24, 0
	v_mov_b32_e32 v26, 0
	v_dual_mov_b32 v28, 0 :: v_dual_mov_b32 v15, 0
	s_delay_alu instid0(VALU_DEP_4) | instskip(SKIP_2) | instid1(VALU_DEP_3)
	v_dual_mov_b32 v13, 0 :: v_dual_add_nc_u32 v10, 1, v10
	v_dual_mov_b32 v14, 0 :: v_dual_mov_b32 v19, 0
	v_dual_mov_b32 v20, 0 :: v_dual_mov_b32 v17, 0
	v_dual_mov_b32 v27, 0 :: v_dual_and_b32 v10, 3, v10
	v_mov_b32_e32 v22, 0
	v_dual_mov_b32 v18, 0 :: v_dual_mov_b32 v25, 0
	v_mov_b32_e32 v29, 0
	v_dual_mov_b32 v23, 0 :: v_dual_mov_b32 v16, 0
	v_sub_nc_u32_e32 v31, 0, v10
	s_mov_b32 s6, 0
.LBB168_27:                             ; =>This Inner Loop Header: Depth=1
	v_ashrrev_i32_e32 v10, 31, v9
	s_delay_alu instid0(VALU_DEP_2) | instskip(SKIP_2) | instid1(VALU_DEP_2)
	v_add_co_u32 v31, s7, v31, 1
	s_wait_alu 0xfffe
	s_or_b32 s6, s7, s6
	v_lshlrev_b64_e32 v[32:33], 2, v[9:10]
	v_add_nc_u32_e32 v9, 32, v9
	s_delay_alu instid0(VALU_DEP_2) | instskip(SKIP_1) | instid1(VALU_DEP_3)
	v_add_co_u32 v32, vcc_lo, s8, v32
	s_wait_alu 0xfffd
	v_add_co_ci_u32_e64 v33, null, s9, v33, vcc_lo
	global_load_b32 v10, v[32:33], off
	s_clause 0x1
	global_load_b128 v[35:38], v[11:12], off
	global_load_b128 v[39:42], v[11:12], off offset:16
	s_wait_loadcnt 0x2
	v_subrev_nc_u32_e32 v10, s12, v10
	s_wait_loadcnt 0x1
	v_cvt_f64_f32_e32 v[83:84], v37
	v_cvt_f64_f32_e32 v[37:38], v38
	s_wait_loadcnt 0x0
	v_cvt_f64_f32_e32 v[85:86], v39
	v_cvt_f64_f32_e32 v[39:40], v40
	v_lshlrev_b32_e32 v32, 2, v10
	v_cvt_f64_f32_e32 v[87:88], v41
	v_cvt_f64_f32_e32 v[41:42], v42
	s_delay_alu instid0(VALU_DEP_3) | instskip(NEXT) | instid1(VALU_DEP_1)
	v_ashrrev_i32_e32 v33, 31, v32
	v_lshlrev_b64_e32 v[32:33], 4, v[32:33]
	s_wait_kmcnt 0x0
	s_delay_alu instid0(VALU_DEP_1) | instskip(SKIP_1) | instid1(VALU_DEP_2)
	v_add_co_u32 v32, vcc_lo, s4, v32
	s_wait_alu 0xfffd
	v_add_co_ci_u32_e64 v33, null, s5, v33, vcc_lo
	s_clause 0x1
	global_load_b128 v[43:46], v[32:33], off
	global_load_b128 v[47:50], v[32:33], off offset:16
	s_clause 0x3
	global_load_b128 v[51:54], v[11:12], off offset:32
	global_load_b128 v[55:58], v[11:12], off offset:48
	;; [unrolled: 1-line block ×4, first 2 shown]
	s_clause 0x1
	global_load_b128 v[67:70], v[32:33], off offset:32
	global_load_b128 v[71:74], v[32:33], off offset:48
	s_clause 0x1
	global_load_b128 v[75:78], v[11:12], off offset:96
	global_load_b128 v[79:82], v[11:12], off offset:112
	v_cvt_f64_f32_e32 v[32:33], v35
	v_cvt_f64_f32_e32 v[35:36], v36
	v_add_co_u32 v11, vcc_lo, 0x1000, v11
	s_wait_alu 0xfffd
	v_add_co_ci_u32_e64 v12, null, 0, v12, vcc_lo
	s_wait_loadcnt 0x9
	s_delay_alu instid0(VALU_DEP_4) | instskip(NEXT) | instid1(VALU_DEP_4)
	v_fma_f64 v[19:20], v[32:33], v[43:44], v[19:20]
	v_fma_f64 v[13:14], v[35:36], v[43:44], v[13:14]
	;; [unrolled: 1-line block ×8, first 2 shown]
	s_wait_loadcnt 0x7
	v_cvt_f64_f32_e32 v[43:44], v51
	v_cvt_f64_f32_e32 v[51:52], v52
	;; [unrolled: 1-line block ×4, first 2 shown]
	s_wait_loadcnt 0x6
	v_cvt_f64_f32_e32 v[91:92], v55
	v_cvt_f64_f32_e32 v[55:56], v56
	;; [unrolled: 1-line block ×4, first 2 shown]
	v_fma_f64 v[19:20], -v[35:36], v[45:46], v[19:20]
	v_fma_f64 v[13:14], v[32:33], v[45:46], v[13:14]
	v_fma_f64 v[24:25], -v[37:38], v[45:46], v[24:25]
	v_fma_f64 v[17:18], v[83:84], v[45:46], v[17:18]
	v_fma_f64 v[28:29], -v[39:40], v[45:46], v[28:29]
	v_fma_f64 v[26:27], v[85:86], v[45:46], v[26:27]
	v_fma_f64 v[15:16], -v[41:42], v[45:46], v[15:16]
	v_fma_f64 v[22:23], v[87:88], v[45:46], v[22:23]
	s_wait_loadcnt 0x5
	v_cvt_f64_f32_e32 v[32:33], v59
	v_cvt_f64_f32_e32 v[35:36], v60
	;; [unrolled: 1-line block ×4, first 2 shown]
	s_wait_loadcnt 0x4
	v_cvt_f64_f32_e32 v[41:42], v63
	v_cvt_f64_f32_e32 v[45:46], v64
	;; [unrolled: 1-line block ×3, first 2 shown]
	s_wait_loadcnt 0x0
	v_cvt_f64_f32_e32 v[61:62], v81
	v_cvt_f64_f32_e32 v[63:64], v82
	v_fma_f64 v[19:20], v[43:44], v[47:48], v[19:20]
	v_fma_f64 v[13:14], v[51:52], v[47:48], v[13:14]
	;; [unrolled: 1-line block ×8, first 2 shown]
	v_cvt_f64_f32_e32 v[47:48], v65
	v_fma_f64 v[19:20], -v[51:52], v[49:50], v[19:20]
	v_fma_f64 v[13:14], v[43:44], v[49:50], v[13:14]
	v_fma_f64 v[24:25], -v[53:54], v[49:50], v[24:25]
	v_fma_f64 v[17:18], v[89:90], v[49:50], v[17:18]
	;; [unrolled: 2-line block ×4, first 2 shown]
	v_cvt_f64_f32_e32 v[43:44], v75
	v_cvt_f64_f32_e32 v[49:50], v76
	;; [unrolled: 1-line block ×6, first 2 shown]
	v_fma_f64 v[19:20], v[32:33], v[67:68], v[19:20]
	v_fma_f64 v[13:14], v[35:36], v[67:68], v[13:14]
	;; [unrolled: 1-line block ×8, first 2 shown]
	v_fma_f64 v[19:20], -v[35:36], v[69:70], v[19:20]
	v_fma_f64 v[13:14], v[32:33], v[69:70], v[13:14]
	v_fma_f64 v[24:25], -v[39:40], v[69:70], v[24:25]
	v_fma_f64 v[17:18], v[37:38], v[69:70], v[17:18]
	;; [unrolled: 2-line block ×4, first 2 shown]
	v_fma_f64 v[19:20], v[43:44], v[71:72], v[19:20]
	v_fma_f64 v[13:14], v[49:50], v[71:72], v[13:14]
	;; [unrolled: 1-line block ×8, first 2 shown]
	v_fma_f64 v[19:20], -v[49:50], v[73:74], v[19:20]
	v_fma_f64 v[13:14], v[43:44], v[73:74], v[13:14]
	v_fma_f64 v[24:25], -v[53:54], v[73:74], v[24:25]
	v_fma_f64 v[17:18], v[51:52], v[73:74], v[17:18]
	;; [unrolled: 2-line block ×4, first 2 shown]
	s_wait_alu 0xfffe
	s_and_not1_b32 exec_lo, exec_lo, s6
	s_cbranch_execnz .LBB168_27
; %bb.28:
	s_or_b32 exec_lo, exec_lo, s6
.LBB168_29:
	s_wait_alu 0xfffe
	s_or_b32 exec_lo, exec_lo, s2
	s_delay_alu instid0(SALU_CYCLE_1)
	s_mov_b32 s6, exec_lo
	v_cmpx_lt_u32_e32 0x5f, v30
	s_cbranch_execz .LBB168_33
; %bb.30:
	s_mov_b32 s7, 0
.LBB168_31:                             ; =>This Inner Loop Header: Depth=1
	v_ashrrev_i32_e32 v10, 31, v9
	s_delay_alu instid0(VALU_DEP_1) | instskip(SKIP_1) | instid1(VALU_DEP_2)
	v_lshlrev_b64_e32 v[30:31], 2, v[9:10]
	v_add_nc_u32_e32 v9, 0x80, v9
	v_add_co_u32 v39, vcc_lo, s8, v30
	s_wait_alu 0xfffd
	s_delay_alu instid0(VALU_DEP_3)
	v_add_co_ci_u32_e64 v40, null, s9, v31, vcc_lo
	global_load_b32 v10, v[39:40], off
	s_clause 0x1
	global_load_b128 v[30:33], v[11:12], off
	global_load_b128 v[35:38], v[11:12], off offset:16
	s_clause 0x2
	global_load_b32 v99, v[39:40], off offset:128
	global_load_b32 v117, v[39:40], off offset:256
	;; [unrolled: 1-line block ×3, first 2 shown]
	s_wait_loadcnt 0x5
	v_subrev_nc_u32_e32 v10, s12, v10
	s_wait_loadcnt 0x4
	v_cvt_f64_f32_e32 v[87:88], v30
	v_cvt_f64_f32_e32 v[89:90], v31
	;; [unrolled: 1-line block ×4, first 2 shown]
	v_lshlrev_b32_e32 v39, 2, v10
	s_wait_loadcnt 0x2
	v_subrev_nc_u32_e32 v10, s12, v99
	v_cvt_f64_f32_e32 v[95:96], v35
	v_cvt_f64_f32_e32 v[35:36], v36
	;; [unrolled: 1-line block ×3, first 2 shown]
	v_ashrrev_i32_e32 v40, 31, v39
	v_lshlrev_b32_e32 v30, 2, v10
	v_cvt_f64_f32_e32 v[37:38], v38
	s_wait_loadcnt 0x1
	v_subrev_nc_u32_e32 v10, s12, v117
	v_lshlrev_b64_e32 v[39:40], 4, v[39:40]
	v_ashrrev_i32_e32 v31, 31, v30
	s_delay_alu instid0(VALU_DEP_1) | instskip(SKIP_1) | instid1(VALU_DEP_3)
	v_lshlrev_b64_e32 v[30:31], 4, v[30:31]
	s_wait_kmcnt 0x0
	v_add_co_u32 v75, vcc_lo, s4, v39
	s_wait_alu 0xfffd
	v_add_co_ci_u32_e64 v76, null, s5, v40, vcc_lo
	global_load_b128 v[39:42], v[75:76], off
	s_clause 0x1
	global_load_b128 v[43:46], v[11:12], off offset:32
	global_load_b128 v[47:50], v[11:12], off offset:48
	global_load_b128 v[51:54], v[75:76], off offset:16
	s_clause 0x1
	global_load_b128 v[55:58], v[11:12], off offset:64
	global_load_b128 v[59:62], v[11:12], off offset:80
	global_load_b128 v[63:66], v[75:76], off offset:32
	;; [unrolled: 4-line block ×3, first 2 shown]
	s_clause 0x1
	global_load_b128 v[79:82], v[11:12], off offset:4096
	global_load_b128 v[83:86], v[11:12], off offset:4112
	v_add_co_u32 v99, vcc_lo, s4, v30
	s_wait_alu 0xfffd
	v_add_co_ci_u32_e64 v100, null, s5, v31, vcc_lo
	global_load_b128 v[30:33], v[99:100], off
	s_wait_loadcnt 0xc
	v_fma_f64 v[101:102], v[87:88], v[39:40], v[19:20]
	v_fma_f64 v[103:104], v[89:90], v[39:40], v[13:14]
	;; [unrolled: 1-line block ×8, first 2 shown]
	s_clause 0x1
	global_load_b128 v[13:16], v[11:12], off offset:4128
	global_load_b128 v[17:20], v[11:12], off offset:4144
	s_wait_loadcnt 0xd
	v_cvt_f64_f32_e32 v[39:40], v43
	v_cvt_f64_f32_e32 v[43:44], v44
	;; [unrolled: 1-line block ×4, first 2 shown]
	s_wait_loadcnt 0xc
	v_cvt_f64_f32_e32 v[111:112], v47
	v_cvt_f64_f32_e32 v[47:48], v48
	v_cvt_f64_f32_e32 v[113:114], v49
	v_cvt_f64_f32_e32 v[49:50], v50
	v_fma_f64 v[89:90], -v[89:90], v[41:42], v[101:102]
	v_fma_f64 v[87:88], v[87:88], v[41:42], v[103:104]
	v_fma_f64 v[93:94], -v[93:94], v[41:42], v[24:25]
	v_fma_f64 v[91:92], v[91:92], v[41:42], v[105:106]
	;; [unrolled: 2-line block ×4, first 2 shown]
	global_load_b128 v[22:25], v[99:100], off offset:16
	s_wait_loadcnt 0xb
	v_cvt_f64_f32_e32 v[101:102], v55
	v_cvt_f64_f32_e32 v[55:56], v56
	;; [unrolled: 1-line block ×4, first 2 shown]
	s_wait_loadcnt 0xa
	v_cvt_f64_f32_e32 v[105:106], v59
	v_cvt_f64_f32_e32 v[59:60], v60
	;; [unrolled: 1-line block ×4, first 2 shown]
	v_fma_f64 v[41:42], v[39:40], v[51:52], v[89:90]
	v_fma_f64 v[87:88], v[43:44], v[51:52], v[87:88]
	;; [unrolled: 1-line block ×8, first 2 shown]
	s_clause 0x1
	global_load_b128 v[26:29], v[11:12], off offset:4160
	global_load_b128 v[35:38], v[11:12], off offset:4176
	v_fma_f64 v[43:44], -v[43:44], v[53:54], v[41:42]
	v_fma_f64 v[87:88], v[39:40], v[53:54], v[87:88]
	v_fma_f64 v[45:46], -v[45:46], v[53:54], v[89:90]
	v_fma_f64 v[89:90], v[109:110], v[53:54], v[91:92]
	;; [unrolled: 2-line block ×4, first 2 shown]
	global_load_b128 v[39:42], v[99:100], off offset:32
	s_wait_loadcnt 0xb
	v_cvt_f64_f32_e32 v[109:110], v69
	v_cvt_f64_f32_e32 v[69:70], v70
	s_wait_loadcnt 0xa
	v_cvt_f64_f32_e32 v[111:112], v71
	v_cvt_f64_f32_e32 v[71:72], v72
	;; [unrolled: 1-line block ×4, first 2 shown]
	v_fma_f64 v[53:54], v[101:102], v[63:64], v[43:44]
	v_fma_f64 v[87:88], v[55:56], v[63:64], v[87:88]
	;; [unrolled: 1-line block ×8, first 2 shown]
	s_clause 0x1
	global_load_b128 v[43:46], v[11:12], off offset:4192
	global_load_b128 v[47:50], v[11:12], off offset:4208
	v_cvt_f64_f32_e32 v[63:64], v67
	v_cvt_f64_f32_e32 v[67:68], v68
	v_fma_f64 v[115:116], -v[55:56], v[65:66], v[53:54]
	v_fma_f64 v[87:88], v[101:102], v[65:66], v[87:88]
	v_fma_f64 v[93:94], -v[57:58], v[65:66], v[93:94]
	v_fma_f64 v[89:90], v[103:104], v[65:66], v[89:90]
	;; [unrolled: 2-line block ×4, first 2 shown]
	global_load_b128 v[51:54], v[99:100], off offset:48
	global_load_b128 v[55:58], v[11:12], off offset:8192
	v_lshlrev_b32_e32 v107, 2, v10
	s_wait_loadcnt 0xc
	v_cvt_f64_f32_e32 v[101:102], v81
	v_cvt_f64_f32_e32 v[81:82], v82
	s_wait_loadcnt 0xb
	v_cvt_f64_f32_e32 v[103:104], v83
	v_cvt_f64_f32_e32 v[83:84], v84
	;; [unrolled: 1-line block ×4, first 2 shown]
	v_ashrrev_i32_e32 v108, 31, v107
	v_subrev_nc_u32_e32 v10, s12, v123
	v_fma_f64 v[95:96], v[63:64], v[75:76], v[115:116]
	v_fma_f64 v[87:88], v[67:68], v[75:76], v[87:88]
	v_fma_f64 v[93:94], v[109:110], v[75:76], v[93:94]
	v_fma_f64 v[89:90], v[69:70], v[75:76], v[89:90]
	v_fma_f64 v[97:98], v[111:112], v[75:76], v[59:60]
	v_fma_f64 v[91:92], v[71:72], v[75:76], v[91:92]
	v_fma_f64 v[99:100], v[113:114], v[75:76], v[61:62]
	v_fma_f64 v[65:66], v[73:74], v[75:76], v[65:66]
	global_load_b128 v[59:62], v[11:12], off offset:8208
	v_cvt_f64_f32_e32 v[75:76], v79
	v_cvt_f64_f32_e32 v[79:80], v80
	v_fma_f64 v[67:68], -v[67:68], v[77:78], v[95:96]
	v_fma_f64 v[87:88], v[63:64], v[77:78], v[87:88]
	v_fma_f64 v[69:70], -v[69:70], v[77:78], v[93:94]
	v_fma_f64 v[89:90], v[109:110], v[77:78], v[89:90]
	;; [unrolled: 2-line block ×4, first 2 shown]
	v_lshlrev_b64_e32 v[63:64], 4, v[107:108]
	s_delay_alu instid0(VALU_DEP_1) | instskip(SKIP_1) | instid1(VALU_DEP_2)
	v_add_co_u32 v93, vcc_lo, s4, v63
	s_wait_alu 0xfffd
	v_add_co_ci_u32_e64 v94, null, s5, v64, vcc_lo
	global_load_b128 v[63:66], v[93:94], off
	s_wait_loadcnt 0xc
	v_fma_f64 v[95:96], v[75:76], v[30:31], v[67:68]
	v_fma_f64 v[87:88], v[79:80], v[30:31], v[87:88]
	;; [unrolled: 1-line block ×8, first 2 shown]
	s_clause 0x1
	global_load_b128 v[67:70], v[11:12], off offset:8224
	global_load_b128 v[71:74], v[11:12], off offset:8240
	s_wait_loadcnt 0xd
	v_cvt_f64_f32_e32 v[77:78], v13
	v_cvt_f64_f32_e32 v[109:110], v14
	;; [unrolled: 1-line block ×4, first 2 shown]
	s_wait_loadcnt 0xc
	v_cvt_f64_f32_e32 v[115:116], v17
	v_cvt_f64_f32_e32 v[117:118], v18
	;; [unrolled: 1-line block ×4, first 2 shown]
	global_load_b128 v[13:16], v[93:94], off offset:16
	v_fma_f64 v[17:18], -v[79:80], v[32:33], v[95:96]
	v_fma_f64 v[19:20], v[75:76], v[32:33], v[87:88]
	v_fma_f64 v[75:76], -v[81:82], v[32:33], v[97:98]
	v_fma_f64 v[79:80], v[101:102], v[32:33], v[89:90]
	;; [unrolled: 2-line block ×4, first 2 shown]
	s_wait_loadcnt 0xc
	v_fma_f64 v[87:88], v[77:78], v[22:23], v[17:18]
	v_fma_f64 v[89:90], v[109:110], v[22:23], v[19:20]
	;; [unrolled: 1-line block ×8, first 2 shown]
	s_clause 0x1
	global_load_b128 v[17:20], v[11:12], off offset:8256
	global_load_b128 v[30:33], v[11:12], off offset:8272
	s_wait_loadcnt 0xd
	v_cvt_f64_f32_e32 v[91:92], v26
	v_cvt_f64_f32_e32 v[95:96], v27
	;; [unrolled: 1-line block ×4, first 2 shown]
	s_wait_loadcnt 0xc
	v_cvt_f64_f32_e32 v[101:102], v35
	v_cvt_f64_f32_e32 v[103:104], v36
	;; [unrolled: 1-line block ×4, first 2 shown]
	v_fma_f64 v[26:27], -v[109:110], v[24:25], v[87:88]
	v_fma_f64 v[28:29], v[77:78], v[24:25], v[89:90]
	v_fma_f64 v[35:36], -v[113:114], v[24:25], v[75:76]
	v_fma_f64 v[37:38], v[111:112], v[24:25], v[79:80]
	;; [unrolled: 2-line block ×4, first 2 shown]
	global_load_b128 v[22:25], v[93:94], off offset:32
	s_wait_loadcnt 0xc
	v_fma_f64 v[83:84], v[91:92], v[39:40], v[26:27]
	v_fma_f64 v[85:86], v[95:96], v[39:40], v[28:29]
	;; [unrolled: 1-line block ×8, first 2 shown]
	s_clause 0x1
	global_load_b128 v[26:29], v[11:12], off offset:8288
	global_load_b128 v[35:38], v[11:12], off offset:8304
	s_wait_loadcnt 0xd
	v_cvt_f64_f32_e32 v[81:82], v43
	v_cvt_f64_f32_e32 v[109:110], v44
	;; [unrolled: 1-line block ×4, first 2 shown]
	s_wait_loadcnt 0xc
	v_cvt_f64_f32_e32 v[115:116], v47
	v_cvt_f64_f32_e32 v[117:118], v48
	;; [unrolled: 1-line block ×4, first 2 shown]
	v_fma_f64 v[43:44], -v[95:96], v[41:42], v[83:84]
	v_fma_f64 v[45:46], v[91:92], v[41:42], v[85:86]
	v_fma_f64 v[47:48], -v[99:100], v[41:42], v[87:88]
	v_fma_f64 v[49:50], v[97:98], v[41:42], v[89:90]
	;; [unrolled: 2-line block ×4, first 2 shown]
	global_load_b128 v[39:42], v[93:94], off offset:48
	s_wait_loadcnt 0xb
	v_cvt_f64_f32_e32 v[93:94], v56
	v_cvt_f64_f32_e32 v[95:96], v57
	;; [unrolled: 1-line block ×3, first 2 shown]
	v_fma_f64 v[85:86], v[81:82], v[51:52], v[43:44]
	v_fma_f64 v[87:88], v[109:110], v[51:52], v[45:46]
	v_fma_f64 v[89:90], v[111:112], v[51:52], v[47:48]
	v_fma_f64 v[91:92], v[113:114], v[51:52], v[49:50]
	v_fma_f64 v[75:76], v[115:116], v[51:52], v[75:76]
	v_fma_f64 v[77:78], v[117:118], v[51:52], v[77:78]
	v_fma_f64 v[79:80], v[119:120], v[51:52], v[79:80]
	v_fma_f64 v[51:52], v[121:122], v[51:52], v[83:84]
	s_clause 0x1
	global_load_b128 v[43:46], v[11:12], off offset:12288
	global_load_b128 v[47:50], v[11:12], off offset:12304
	v_cvt_f64_f32_e32 v[83:84], v55
	v_lshlrev_b32_e32 v55, 2, v10
	s_delay_alu instid0(VALU_DEP_1)
	v_ashrrev_i32_e32 v56, 31, v55
	s_wait_loadcnt 0xc
	v_cvt_f64_f32_e32 v[99:100], v59
	v_cvt_f64_f32_e32 v[101:102], v60
	;; [unrolled: 1-line block ×4, first 2 shown]
	v_fma_f64 v[57:58], -v[109:110], v[53:54], v[85:86]
	v_fma_f64 v[59:60], v[81:82], v[53:54], v[87:88]
	v_fma_f64 v[61:62], -v[113:114], v[53:54], v[89:90]
	v_fma_f64 v[81:82], v[111:112], v[53:54], v[91:92]
	;; [unrolled: 2-line block ×4, first 2 shown]
	v_lshlrev_b64_e32 v[51:52], 4, v[55:56]
	s_delay_alu instid0(VALU_DEP_1) | instskip(SKIP_1) | instid1(VALU_DEP_2)
	v_add_co_u32 v87, vcc_lo, s4, v51
	s_wait_alu 0xfffd
	v_add_co_ci_u32_e64 v88, null, s5, v52, vcc_lo
	v_cmp_ge_i32_e32 vcc_lo, v9, v34
	global_load_b128 v[51:54], v[87:88], off
	s_wait_alu 0xfffe
	s_or_b32 s7, vcc_lo, s7
	s_wait_loadcnt 0xc
	v_fma_f64 v[89:90], v[83:84], v[63:64], v[57:58]
	v_fma_f64 v[91:92], v[93:94], v[63:64], v[59:60]
	;; [unrolled: 1-line block ×8, first 2 shown]
	s_clause 0x1
	global_load_b128 v[55:58], v[11:12], off offset:12320
	global_load_b128 v[59:62], v[11:12], off offset:12336
	s_wait_loadcnt 0xd
	v_cvt_f64_f32_e32 v[85:86], v67
	v_cvt_f64_f32_e32 v[109:110], v68
	;; [unrolled: 1-line block ×4, first 2 shown]
	s_wait_loadcnt 0xc
	v_cvt_f64_f32_e32 v[115:116], v71
	v_cvt_f64_f32_e32 v[117:118], v72
	;; [unrolled: 1-line block ×4, first 2 shown]
	v_fma_f64 v[67:68], -v[93:94], v[65:66], v[89:90]
	v_fma_f64 v[69:70], v[83:84], v[65:66], v[91:92]
	v_fma_f64 v[71:72], -v[97:98], v[65:66], v[107:108]
	v_fma_f64 v[73:74], v[95:96], v[65:66], v[81:82]
	;; [unrolled: 2-line block ×4, first 2 shown]
	global_load_b128 v[63:66], v[87:88], off offset:16
	s_wait_loadcnt 0xc
	v_fma_f64 v[83:84], v[85:86], v[13:14], v[67:68]
	v_fma_f64 v[89:90], v[109:110], v[13:14], v[69:70]
	v_fma_f64 v[91:92], v[111:112], v[13:14], v[71:72]
	v_fma_f64 v[93:94], v[113:114], v[13:14], v[73:74]
	v_fma_f64 v[75:76], v[115:116], v[13:14], v[75:76]
	v_fma_f64 v[77:78], v[117:118], v[13:14], v[77:78]
	v_fma_f64 v[79:80], v[119:120], v[13:14], v[79:80]
	v_fma_f64 v[13:14], v[121:122], v[13:14], v[81:82]
	s_clause 0x1
	global_load_b128 v[67:70], v[11:12], off offset:12352
	global_load_b128 v[71:74], v[11:12], off offset:12368
	s_wait_loadcnt 0xd
	v_cvt_f64_f32_e32 v[81:82], v17
	v_cvt_f64_f32_e32 v[95:96], v18
	;; [unrolled: 1-line block ×4, first 2 shown]
	s_wait_loadcnt 0xc
	v_cvt_f64_f32_e32 v[101:102], v30
	v_cvt_f64_f32_e32 v[103:104], v31
	;; [unrolled: 1-line block ×4, first 2 shown]
	v_fma_f64 v[17:18], -v[109:110], v[15:16], v[83:84]
	v_fma_f64 v[19:20], v[85:86], v[15:16], v[89:90]
	v_fma_f64 v[30:31], -v[113:114], v[15:16], v[91:92]
	v_fma_f64 v[32:33], v[111:112], v[15:16], v[93:94]
	;; [unrolled: 2-line block ×4, first 2 shown]
	global_load_b128 v[13:16], v[87:88], off offset:32
	s_wait_loadcnt 0xc
	v_fma_f64 v[85:86], v[81:82], v[22:23], v[17:18]
	v_fma_f64 v[89:90], v[95:96], v[22:23], v[19:20]
	;; [unrolled: 1-line block ×8, first 2 shown]
	s_clause 0x1
	global_load_b128 v[17:20], v[11:12], off offset:12384
	global_load_b128 v[30:33], v[11:12], off offset:12400
	v_add_co_u32 v11, s2, 0x4000, v11
	s_wait_alu 0xf1ff
	v_add_co_ci_u32_e64 v12, null, 0, v12, s2
	s_wait_loadcnt 0xd
	v_cvt_f64_f32_e32 v[83:84], v26
	v_cvt_f64_f32_e32 v[26:27], v27
	;; [unrolled: 1-line block ×4, first 2 shown]
	s_wait_loadcnt 0xc
	v_cvt_f64_f32_e32 v[111:112], v35
	v_cvt_f64_f32_e32 v[113:114], v36
	;; [unrolled: 1-line block ×4, first 2 shown]
	global_load_b128 v[35:38], v[87:88], off offset:48
	v_fma_f64 v[85:86], -v[95:96], v[24:25], v[85:86]
	v_fma_f64 v[81:82], v[81:82], v[24:25], v[89:90]
	v_fma_f64 v[89:90], -v[99:100], v[24:25], v[91:92]
	v_fma_f64 v[91:92], v[97:98], v[24:25], v[93:94]
	v_fma_f64 v[75:76], -v[103:104], v[24:25], v[75:76]
	v_fma_f64 v[77:78], v[101:102], v[24:25], v[77:78]
	v_fma_f64 v[79:80], -v[107:108], v[24:25], v[79:80]
	v_fma_f64 v[22:23], v[105:106], v[24:25], v[22:23]
	s_wait_loadcnt 0xc
	v_fma_f64 v[24:25], v[83:84], v[39:40], v[85:86]
	v_fma_f64 v[81:82], v[26:27], v[39:40], v[81:82]
	v_fma_f64 v[85:86], v[109:110], v[39:40], v[89:90]
	v_fma_f64 v[87:88], v[28:29], v[39:40], v[91:92]
	v_fma_f64 v[75:76], v[111:112], v[39:40], v[75:76]
	v_fma_f64 v[77:78], v[113:114], v[39:40], v[77:78]
	v_fma_f64 v[79:80], v[115:116], v[39:40], v[79:80]
	v_fma_f64 v[22:23], v[117:118], v[39:40], v[22:23]
	s_wait_loadcnt 0xb
	v_cvt_f64_f32_e32 v[39:40], v43
	v_cvt_f64_f32_e32 v[43:44], v44
	v_cvt_f64_f32_e32 v[89:90], v45
	v_cvt_f64_f32_e32 v[45:46], v46
	s_wait_loadcnt 0xa
	v_cvt_f64_f32_e32 v[91:92], v47
	v_cvt_f64_f32_e32 v[47:48], v48
	v_cvt_f64_f32_e32 v[93:94], v49
	v_cvt_f64_f32_e32 v[49:50], v50
	v_fma_f64 v[24:25], -v[26:27], v[41:42], v[24:25]
	v_fma_f64 v[26:27], v[83:84], v[41:42], v[81:82]
	v_fma_f64 v[28:29], -v[28:29], v[41:42], v[85:86]
	v_fma_f64 v[81:82], v[109:110], v[41:42], v[87:88]
	v_fma_f64 v[75:76], -v[113:114], v[41:42], v[75:76]
	v_fma_f64 v[77:78], v[111:112], v[41:42], v[77:78]
	v_fma_f64 v[79:80], -v[117:118], v[41:42], v[79:80]
	v_fma_f64 v[22:23], v[115:116], v[41:42], v[22:23]
	s_wait_loadcnt 0x9
	v_fma_f64 v[24:25], v[39:40], v[51:52], v[24:25]
	v_fma_f64 v[26:27], v[43:44], v[51:52], v[26:27]
	v_fma_f64 v[28:29], v[89:90], v[51:52], v[28:29]
	v_fma_f64 v[41:42], v[45:46], v[51:52], v[81:82]
	v_fma_f64 v[75:76], v[91:92], v[51:52], v[75:76]
	v_fma_f64 v[77:78], v[47:48], v[51:52], v[77:78]
	v_fma_f64 v[79:80], v[93:94], v[51:52], v[79:80]
	v_fma_f64 v[22:23], v[49:50], v[51:52], v[22:23]
	s_wait_loadcnt 0x8
	v_cvt_f64_f32_e32 v[51:52], v55
	v_cvt_f64_f32_e32 v[55:56], v56
	v_cvt_f64_f32_e32 v[81:82], v57
	v_cvt_f64_f32_e32 v[57:58], v58
	s_wait_loadcnt 0x7
	v_cvt_f64_f32_e32 v[83:84], v59
	v_cvt_f64_f32_e32 v[59:60], v60
	v_cvt_f64_f32_e32 v[85:86], v61
	v_cvt_f64_f32_e32 v[61:62], v62
	;; [unrolled: 27-line block ×4, first 2 shown]
	v_fma_f64 v[19:20], -v[49:50], v[15:16], v[24:25]
	v_fma_f64 v[24:25], v[47:48], v[15:16], v[26:27]
	v_fma_f64 v[26:27], -v[63:64], v[15:16], v[28:29]
	v_fma_f64 v[28:29], v[53:54], v[15:16], v[39:40]
	;; [unrolled: 2-line block ×4, first 2 shown]
	s_wait_loadcnt 0x0
	v_fma_f64 v[15:16], v[22:23], v[35:36], v[19:20]
	v_fma_f64 v[24:25], v[17:18], v[35:36], v[24:25]
	;; [unrolled: 1-line block ×8, first 2 shown]
	v_fma_f64 v[19:20], -v[17:18], v[37:38], v[15:16]
	v_fma_f64 v[13:14], v[22:23], v[37:38], v[24:25]
	v_fma_f64 v[24:25], -v[55:56], v[37:38], v[26:27]
	v_fma_f64 v[17:18], v[51:52], v[37:38], v[28:29]
	;; [unrolled: 2-line block ×4, first 2 shown]
	s_wait_alu 0xfffe
	s_and_not1_b32 exec_lo, exec_lo, s7
	s_cbranch_execnz .LBB168_31
; %bb.32:
	s_or_b32 exec_lo, exec_lo, s7
.LBB168_33:
	s_wait_alu 0xfffe
	s_or_b32 exec_lo, exec_lo, s6
.LBB168_34:
	s_wait_alu 0xfffe
	s_or_b32 exec_lo, exec_lo, s3
.LBB168_35:
	v_mbcnt_lo_u32_b32 v42, -1, 0
	s_delay_alu instid0(VALU_DEP_1) | instskip(NEXT) | instid1(VALU_DEP_1)
	v_xor_b32_e32 v9, 16, v42
	v_cmp_gt_i32_e32 vcc_lo, 32, v9
	s_wait_alu 0xfffd
	v_cndmask_b32_e32 v9, v42, v9, vcc_lo
	s_delay_alu instid0(VALU_DEP_1)
	v_lshlrev_b32_e32 v41, 2, v9
	ds_bpermute_b32 v11, v41, v13
	ds_bpermute_b32 v12, v41, v14
	;; [unrolled: 1-line block ×6, first 2 shown]
	s_wait_dscnt 0x4
	v_add_f64_e32 v[11:12], v[13:14], v[11:12]
	s_wait_dscnt 0x2
	v_add_f64_e32 v[13:14], v[24:25], v[30:31]
	;; [unrolled: 2-line block ×3, first 2 shown]
	v_xor_b32_e32 v26, 8, v42
	s_delay_alu instid0(VALU_DEP_1)
	v_cmp_gt_i32_e32 vcc_lo, 32, v26
	s_wait_alu 0xfffd
	v_cndmask_b32_e32 v26, v42, v26, vcc_lo
	ds_bpermute_b32 v9, v41, v19
	ds_bpermute_b32 v10, v41, v20
	;; [unrolled: 1-line block ×10, first 2 shown]
	s_wait_dscnt 0x8
	v_add_f64_e32 v[9:10], v[19:20], v[9:10]
	s_wait_dscnt 0x6
	v_add_f64_e32 v[17:18], v[17:18], v[32:33]
	;; [unrolled: 2-line block ×5, first 2 shown]
	v_lshlrev_b32_e32 v41, 2, v26
	ds_bpermute_b32 v28, v41, v11
	ds_bpermute_b32 v29, v41, v12
	;; [unrolled: 1-line block ×6, first 2 shown]
	s_wait_dscnt 0x4
	v_add_f64_e32 v[11:12], v[11:12], v[28:29]
	s_wait_dscnt 0x2
	v_add_f64_e32 v[13:14], v[13:14], v[30:31]
	ds_bpermute_b32 v26, v41, v9
	ds_bpermute_b32 v27, v41, v10
	;; [unrolled: 1-line block ×10, first 2 shown]
	s_wait_dscnt 0xa
	v_add_f64_e32 v[24:25], v[24:25], v[36:37]
	s_wait_dscnt 0x8
	v_add_f64_e32 v[9:10], v[9:10], v[26:27]
	v_xor_b32_e32 v26, 4, v42
	s_wait_dscnt 0x6
	v_add_f64_e32 v[17:18], v[17:18], v[32:33]
	s_wait_dscnt 0x4
	v_add_f64_e32 v[19:20], v[19:20], v[34:35]
	;; [unrolled: 2-line block ×3, first 2 shown]
	v_cmp_gt_i32_e32 vcc_lo, 32, v26
	s_wait_dscnt 0x0
	v_add_f64_e32 v[22:23], v[22:23], v[40:41]
	s_wait_alu 0xfffd
	v_cndmask_b32_e32 v26, v42, v26, vcc_lo
	s_delay_alu instid0(VALU_DEP_1)
	v_lshlrev_b32_e32 v41, 2, v26
	ds_bpermute_b32 v28, v41, v11
	ds_bpermute_b32 v29, v41, v12
	;; [unrolled: 1-line block ×16, first 2 shown]
	s_wait_dscnt 0xe
	v_add_f64_e32 v[11:12], v[11:12], v[28:29]
	s_wait_dscnt 0xc
	v_add_f64_e32 v[13:14], v[13:14], v[30:31]
	;; [unrolled: 2-line block ×3, first 2 shown]
	v_add_f64_e32 v[26:27], v[24:25], v[36:37]
	s_wait_dscnt 0x6
	v_add_f64_e32 v[17:18], v[17:18], v[32:33]
	v_xor_b32_e32 v24, 2, v42
	s_wait_dscnt 0x4
	v_add_f64_e32 v[19:20], v[19:20], v[34:35]
	s_wait_dscnt 0x2
	v_add_f64_e32 v[15:16], v[15:16], v[38:39]
	;; [unrolled: 2-line block ×3, first 2 shown]
	v_cmp_gt_i32_e32 vcc_lo, 32, v24
	s_wait_alu 0xfffd
	v_cndmask_b32_e32 v24, v42, v24, vcc_lo
	s_delay_alu instid0(VALU_DEP_1)
	v_lshlrev_b32_e32 v41, 2, v24
	ds_bpermute_b32 v28, v41, v11
	ds_bpermute_b32 v29, v41, v12
	;; [unrolled: 1-line block ×16, first 2 shown]
	s_wait_dscnt 0xe
	v_add_f64_e32 v[28:29], v[11:12], v[28:29]
	s_wait_dscnt 0xc
	v_add_f64_e32 v[11:12], v[13:14], v[30:31]
	;; [unrolled: 2-line block ×8, first 2 shown]
	v_xor_b32_e32 v22, 1, v42
	s_delay_alu instid0(VALU_DEP_1) | instskip(SKIP_3) | instid1(VALU_DEP_2)
	v_cmp_gt_i32_e32 vcc_lo, 32, v22
	s_wait_alu 0xfffd
	v_cndmask_b32_e32 v22, v42, v22, vcc_lo
	v_cmp_eq_u32_e32 vcc_lo, 31, v0
	v_lshlrev_b32_e32 v35, 2, v22
	ds_bpermute_b32 v40, v35, v28
	ds_bpermute_b32 v41, v35, v29
	;; [unrolled: 1-line block ×16, first 2 shown]
	s_and_b32 exec_lo, exec_lo, vcc_lo
	s_cbranch_execz .LBB168_8
; %bb.36:
	s_wait_dscnt 0xe
	v_add_f64_e32 v[28:29], v[28:29], v[40:41]
	s_wait_dscnt 0x8
	v_add_f64_e32 v[24:25], v[24:25], v[38:39]
	;; [unrolled: 2-line block ×4, first 2 shown]
	v_add_f64_e32 v[9:10], v[9:10], v[22:23]
	v_add_f64_e32 v[11:12], v[11:12], v[26:27]
	v_add_f64_e32 v[22:23], v[13:14], v[30:31]
	v_add_f64_e32 v[26:27], v[15:16], v[32:33]
	v_cmp_eq_f64_e32 vcc_lo, 0, v[1:2]
	v_cmp_eq_f64_e64 s2, 0, v[3:4]
	s_load_b64 s[0:1], s[0:1], 0x60
	v_lshlrev_b32_e32 v21, 2, v21
	v_mul_f64_e64 v[13:14], v[28:29], -v[7:8]
	v_mul_f64_e32 v[15:16], v[5:6], v[28:29]
	v_mul_f64_e64 v[28:29], v[24:25], -v[7:8]
	v_mul_f64_e32 v[24:25], v[5:6], v[24:25]
	;; [unrolled: 2-line block ×4, first 2 shown]
	s_and_b32 s2, vcc_lo, s2
	v_fma_f64 v[17:18], v[5:6], v[9:10], v[13:14]
	v_fma_f64 v[19:20], v[7:8], v[9:10], v[15:16]
	;; [unrolled: 1-line block ×8, first 2 shown]
	s_wait_alu 0xfffe
	s_and_saveexec_b32 s3, s2
	s_wait_alu 0xfffe
	s_xor_b32 s2, exec_lo, s3
	s_cbranch_execz .LBB168_38
; %bb.37:
	v_ashrrev_i32_e32 v22, 31, v21
	s_delay_alu instid0(VALU_DEP_1) | instskip(SKIP_1) | instid1(VALU_DEP_1)
	v_lshlrev_b64_e32 v[0:1], 4, v[21:22]
                                        ; implicit-def: $vgpr21
	s_wait_kmcnt 0x0
	v_add_co_u32 v0, vcc_lo, s0, v0
	s_wait_alu 0xfffd
	s_delay_alu instid0(VALU_DEP_2)
	v_add_co_ci_u32_e64 v1, null, s1, v1, vcc_lo
	s_clause 0x3
	global_store_b128 v[0:1], v[17:20], off
	global_store_b128 v[0:1], v[13:16], off offset:16
	global_store_b128 v[0:1], v[9:12], off offset:32
	;; [unrolled: 1-line block ×3, first 2 shown]
                                        ; implicit-def: $vgpr3_vgpr4
                                        ; implicit-def: $vgpr17_vgpr18
                                        ; implicit-def: $vgpr13_vgpr14
                                        ; implicit-def: $vgpr9_vgpr10
                                        ; implicit-def: $vgpr5_vgpr6
.LBB168_38:
	s_wait_alu 0xfffe
	s_and_not1_saveexec_b32 s2, s2
	s_cbranch_execz .LBB168_8
; %bb.39:
	v_ashrrev_i32_e32 v22, 31, v21
	s_delay_alu instid0(VALU_DEP_1) | instskip(SKIP_1) | instid1(VALU_DEP_1)
	v_lshlrev_b64_e32 v[21:22], 4, v[21:22]
	s_wait_kmcnt 0x0
	v_add_co_u32 v37, vcc_lo, s0, v21
	s_wait_alu 0xfffd
	s_delay_alu instid0(VALU_DEP_2)
	v_add_co_ci_u32_e64 v38, null, s1, v22, vcc_lo
	s_clause 0x3
	global_load_b128 v[21:24], v[37:38], off
	global_load_b128 v[25:28], v[37:38], off offset:16
	global_load_b128 v[29:32], v[37:38], off offset:32
	;; [unrolled: 1-line block ×3, first 2 shown]
	s_wait_loadcnt 0x3
	v_fma_f64 v[17:18], v[1:2], v[21:22], v[17:18]
	v_fma_f64 v[19:20], v[3:4], v[21:22], v[19:20]
	s_wait_loadcnt 0x2
	v_fma_f64 v[13:14], v[1:2], v[25:26], v[13:14]
	v_fma_f64 v[15:16], v[3:4], v[25:26], v[15:16]
	;; [unrolled: 3-line block ×4, first 2 shown]
	v_fma_f64 v[5:6], -v[3:4], v[23:24], v[17:18]
	v_fma_f64 v[7:8], v[1:2], v[23:24], v[19:20]
	v_fma_f64 v[9:10], -v[3:4], v[27:28], v[13:14]
	v_fma_f64 v[11:12], v[1:2], v[27:28], v[15:16]
	;; [unrolled: 2-line block ×4, first 2 shown]
	s_clause 0x3
	global_store_b128 v[37:38], v[5:8], off
	global_store_b128 v[37:38], v[9:12], off offset:16
	global_store_b128 v[37:38], v[13:16], off offset:32
	;; [unrolled: 1-line block ×3, first 2 shown]
	s_nop 0
	s_sendmsg sendmsg(MSG_DEALLOC_VGPRS)
	s_endpgm
	.section	.rodata,"a",@progbits
	.p2align	6, 0x0
	.amdhsa_kernel _ZN9rocsparseL18bsrxmvn_4x4_kernelILj128ELj32E21rocsparse_complex_numIdEiiS1_IfES2_S2_EEvT3_20rocsparse_direction_NS_24const_host_device_scalarIT1_EES4_PKS4_PKT2_SD_SA_PKT4_PKT5_S8_PT6_21rocsparse_index_base_b
		.amdhsa_group_segment_fixed_size 0
		.amdhsa_private_segment_fixed_size 0
		.amdhsa_kernarg_size 112
		.amdhsa_user_sgpr_count 2
		.amdhsa_user_sgpr_dispatch_ptr 0
		.amdhsa_user_sgpr_queue_ptr 0
		.amdhsa_user_sgpr_kernarg_segment_ptr 1
		.amdhsa_user_sgpr_dispatch_id 0
		.amdhsa_user_sgpr_private_segment_size 0
		.amdhsa_wavefront_size32 1
		.amdhsa_uses_dynamic_stack 0
		.amdhsa_enable_private_segment 0
		.amdhsa_system_sgpr_workgroup_id_x 1
		.amdhsa_system_sgpr_workgroup_id_y 0
		.amdhsa_system_sgpr_workgroup_id_z 0
		.amdhsa_system_sgpr_workgroup_info 0
		.amdhsa_system_vgpr_workitem_id 0
		.amdhsa_next_free_vgpr 129
		.amdhsa_next_free_sgpr 14
		.amdhsa_reserve_vcc 1
		.amdhsa_float_round_mode_32 0
		.amdhsa_float_round_mode_16_64 0
		.amdhsa_float_denorm_mode_32 3
		.amdhsa_float_denorm_mode_16_64 3
		.amdhsa_fp16_overflow 0
		.amdhsa_workgroup_processor_mode 1
		.amdhsa_memory_ordered 1
		.amdhsa_forward_progress 1
		.amdhsa_inst_pref_size 97
		.amdhsa_round_robin_scheduling 0
		.amdhsa_exception_fp_ieee_invalid_op 0
		.amdhsa_exception_fp_denorm_src 0
		.amdhsa_exception_fp_ieee_div_zero 0
		.amdhsa_exception_fp_ieee_overflow 0
		.amdhsa_exception_fp_ieee_underflow 0
		.amdhsa_exception_fp_ieee_inexact 0
		.amdhsa_exception_int_div_zero 0
	.end_amdhsa_kernel
	.section	.text._ZN9rocsparseL18bsrxmvn_4x4_kernelILj128ELj32E21rocsparse_complex_numIdEiiS1_IfES2_S2_EEvT3_20rocsparse_direction_NS_24const_host_device_scalarIT1_EES4_PKS4_PKT2_SD_SA_PKT4_PKT5_S8_PT6_21rocsparse_index_base_b,"axG",@progbits,_ZN9rocsparseL18bsrxmvn_4x4_kernelILj128ELj32E21rocsparse_complex_numIdEiiS1_IfES2_S2_EEvT3_20rocsparse_direction_NS_24const_host_device_scalarIT1_EES4_PKS4_PKT2_SD_SA_PKT4_PKT5_S8_PT6_21rocsparse_index_base_b,comdat
.Lfunc_end168:
	.size	_ZN9rocsparseL18bsrxmvn_4x4_kernelILj128ELj32E21rocsparse_complex_numIdEiiS1_IfES2_S2_EEvT3_20rocsparse_direction_NS_24const_host_device_scalarIT1_EES4_PKS4_PKT2_SD_SA_PKT4_PKT5_S8_PT6_21rocsparse_index_base_b, .Lfunc_end168-_ZN9rocsparseL18bsrxmvn_4x4_kernelILj128ELj32E21rocsparse_complex_numIdEiiS1_IfES2_S2_EEvT3_20rocsparse_direction_NS_24const_host_device_scalarIT1_EES4_PKS4_PKT2_SD_SA_PKT4_PKT5_S8_PT6_21rocsparse_index_base_b
                                        ; -- End function
	.set _ZN9rocsparseL18bsrxmvn_4x4_kernelILj128ELj32E21rocsparse_complex_numIdEiiS1_IfES2_S2_EEvT3_20rocsparse_direction_NS_24const_host_device_scalarIT1_EES4_PKS4_PKT2_SD_SA_PKT4_PKT5_S8_PT6_21rocsparse_index_base_b.num_vgpr, 129
	.set _ZN9rocsparseL18bsrxmvn_4x4_kernelILj128ELj32E21rocsparse_complex_numIdEiiS1_IfES2_S2_EEvT3_20rocsparse_direction_NS_24const_host_device_scalarIT1_EES4_PKS4_PKT2_SD_SA_PKT4_PKT5_S8_PT6_21rocsparse_index_base_b.num_agpr, 0
	.set _ZN9rocsparseL18bsrxmvn_4x4_kernelILj128ELj32E21rocsparse_complex_numIdEiiS1_IfES2_S2_EEvT3_20rocsparse_direction_NS_24const_host_device_scalarIT1_EES4_PKS4_PKT2_SD_SA_PKT4_PKT5_S8_PT6_21rocsparse_index_base_b.numbered_sgpr, 14
	.set _ZN9rocsparseL18bsrxmvn_4x4_kernelILj128ELj32E21rocsparse_complex_numIdEiiS1_IfES2_S2_EEvT3_20rocsparse_direction_NS_24const_host_device_scalarIT1_EES4_PKS4_PKT2_SD_SA_PKT4_PKT5_S8_PT6_21rocsparse_index_base_b.num_named_barrier, 0
	.set _ZN9rocsparseL18bsrxmvn_4x4_kernelILj128ELj32E21rocsparse_complex_numIdEiiS1_IfES2_S2_EEvT3_20rocsparse_direction_NS_24const_host_device_scalarIT1_EES4_PKS4_PKT2_SD_SA_PKT4_PKT5_S8_PT6_21rocsparse_index_base_b.private_seg_size, 0
	.set _ZN9rocsparseL18bsrxmvn_4x4_kernelILj128ELj32E21rocsparse_complex_numIdEiiS1_IfES2_S2_EEvT3_20rocsparse_direction_NS_24const_host_device_scalarIT1_EES4_PKS4_PKT2_SD_SA_PKT4_PKT5_S8_PT6_21rocsparse_index_base_b.uses_vcc, 1
	.set _ZN9rocsparseL18bsrxmvn_4x4_kernelILj128ELj32E21rocsparse_complex_numIdEiiS1_IfES2_S2_EEvT3_20rocsparse_direction_NS_24const_host_device_scalarIT1_EES4_PKS4_PKT2_SD_SA_PKT4_PKT5_S8_PT6_21rocsparse_index_base_b.uses_flat_scratch, 0
	.set _ZN9rocsparseL18bsrxmvn_4x4_kernelILj128ELj32E21rocsparse_complex_numIdEiiS1_IfES2_S2_EEvT3_20rocsparse_direction_NS_24const_host_device_scalarIT1_EES4_PKS4_PKT2_SD_SA_PKT4_PKT5_S8_PT6_21rocsparse_index_base_b.has_dyn_sized_stack, 0
	.set _ZN9rocsparseL18bsrxmvn_4x4_kernelILj128ELj32E21rocsparse_complex_numIdEiiS1_IfES2_S2_EEvT3_20rocsparse_direction_NS_24const_host_device_scalarIT1_EES4_PKS4_PKT2_SD_SA_PKT4_PKT5_S8_PT6_21rocsparse_index_base_b.has_recursion, 0
	.set _ZN9rocsparseL18bsrxmvn_4x4_kernelILj128ELj32E21rocsparse_complex_numIdEiiS1_IfES2_S2_EEvT3_20rocsparse_direction_NS_24const_host_device_scalarIT1_EES4_PKS4_PKT2_SD_SA_PKT4_PKT5_S8_PT6_21rocsparse_index_base_b.has_indirect_call, 0
	.section	.AMDGPU.csdata,"",@progbits
; Kernel info:
; codeLenInByte = 12344
; TotalNumSgprs: 16
; NumVgprs: 129
; ScratchSize: 0
; MemoryBound: 0
; FloatMode: 240
; IeeeMode: 1
; LDSByteSize: 0 bytes/workgroup (compile time only)
; SGPRBlocks: 0
; VGPRBlocks: 16
; NumSGPRsForWavesPerEU: 16
; NumVGPRsForWavesPerEU: 129
; Occupancy: 10
; WaveLimiterHint : 1
; COMPUTE_PGM_RSRC2:SCRATCH_EN: 0
; COMPUTE_PGM_RSRC2:USER_SGPR: 2
; COMPUTE_PGM_RSRC2:TRAP_HANDLER: 0
; COMPUTE_PGM_RSRC2:TGID_X_EN: 1
; COMPUTE_PGM_RSRC2:TGID_Y_EN: 0
; COMPUTE_PGM_RSRC2:TGID_Z_EN: 0
; COMPUTE_PGM_RSRC2:TIDIG_COMP_CNT: 0
	.section	.text._ZN9rocsparseL18bsrxmvn_4x4_kernelILj128ELj64E21rocsparse_complex_numIdEiiS1_IfES2_S2_EEvT3_20rocsparse_direction_NS_24const_host_device_scalarIT1_EES4_PKS4_PKT2_SD_SA_PKT4_PKT5_S8_PT6_21rocsparse_index_base_b,"axG",@progbits,_ZN9rocsparseL18bsrxmvn_4x4_kernelILj128ELj64E21rocsparse_complex_numIdEiiS1_IfES2_S2_EEvT3_20rocsparse_direction_NS_24const_host_device_scalarIT1_EES4_PKS4_PKT2_SD_SA_PKT4_PKT5_S8_PT6_21rocsparse_index_base_b,comdat
	.globl	_ZN9rocsparseL18bsrxmvn_4x4_kernelILj128ELj64E21rocsparse_complex_numIdEiiS1_IfES2_S2_EEvT3_20rocsparse_direction_NS_24const_host_device_scalarIT1_EES4_PKS4_PKT2_SD_SA_PKT4_PKT5_S8_PT6_21rocsparse_index_base_b ; -- Begin function _ZN9rocsparseL18bsrxmvn_4x4_kernelILj128ELj64E21rocsparse_complex_numIdEiiS1_IfES2_S2_EEvT3_20rocsparse_direction_NS_24const_host_device_scalarIT1_EES4_PKS4_PKT2_SD_SA_PKT4_PKT5_S8_PT6_21rocsparse_index_base_b
	.p2align	8
	.type	_ZN9rocsparseL18bsrxmvn_4x4_kernelILj128ELj64E21rocsparse_complex_numIdEiiS1_IfES2_S2_EEvT3_20rocsparse_direction_NS_24const_host_device_scalarIT1_EES4_PKS4_PKT2_SD_SA_PKT4_PKT5_S8_PT6_21rocsparse_index_base_b,@function
_ZN9rocsparseL18bsrxmvn_4x4_kernelILj128ELj64E21rocsparse_complex_numIdEiiS1_IfES2_S2_EEvT3_20rocsparse_direction_NS_24const_host_device_scalarIT1_EES4_PKS4_PKT2_SD_SA_PKT4_PKT5_S8_PT6_21rocsparse_index_base_b: ; @_ZN9rocsparseL18bsrxmvn_4x4_kernelILj128ELj64E21rocsparse_complex_numIdEiiS1_IfES2_S2_EEvT3_20rocsparse_direction_NS_24const_host_device_scalarIT1_EES4_PKS4_PKT2_SD_SA_PKT4_PKT5_S8_PT6_21rocsparse_index_base_b
; %bb.0:
	s_clause 0x1
	s_load_b64 s[12:13], s[0:1], 0x68
	s_load_b64 s[2:3], s[0:1], 0x8
	s_add_nc_u64 s[4:5], s[0:1], 8
	s_load_b64 s[6:7], s[0:1], 0x50
	s_wait_kmcnt 0x0
	s_bitcmp1_b32 s13, 0
	s_cselect_b32 s2, s4, s2
	s_cselect_b32 s3, s5, s3
	s_delay_alu instid0(SALU_CYCLE_1)
	v_dual_mov_b32 v1, s2 :: v_dual_mov_b32 v2, s3
	s_add_nc_u64 s[2:3], s[0:1], 0x50
	s_wait_alu 0xfffe
	s_cselect_b32 s2, s2, s6
	s_cselect_b32 s3, s3, s7
	flat_load_b128 v[5:8], v[1:2]
	s_wait_alu 0xfffe
	v_dual_mov_b32 v1, s2 :: v_dual_mov_b32 v2, s3
	flat_load_b128 v[1:4], v[1:2]
	s_wait_loadcnt_dscnt 0x101
	v_cmp_eq_f64_e32 vcc_lo, 0, v[5:6]
	v_cmp_eq_f64_e64 s2, 0, v[7:8]
	s_and_b32 s4, vcc_lo, s2
	s_mov_b32 s2, -1
	s_and_saveexec_b32 s3, s4
	s_cbranch_execz .LBB169_2
; %bb.1:
	s_wait_loadcnt_dscnt 0x0
	v_cmp_neq_f64_e32 vcc_lo, 1.0, v[1:2]
	v_cmp_neq_f64_e64 s2, 0, v[3:4]
	s_wait_alu 0xfffe
	s_or_b32 s2, vcc_lo, s2
	s_wait_alu 0xfffe
	s_or_not1_b32 s2, s2, exec_lo
.LBB169_2:
	s_wait_alu 0xfffe
	s_or_b32 exec_lo, exec_lo, s3
	s_and_saveexec_b32 s3, s2
	s_cbranch_execz .LBB169_8
; %bb.3:
	s_clause 0x1
	s_load_b64 s[4:5], s[0:1], 0x20
	s_load_b64 s[2:3], s[0:1], 0x0
	v_lshrrev_b32_e32 v9, 6, v0
	s_delay_alu instid0(VALU_DEP_1)
	v_lshl_or_b32 v21, ttmp9, 1, v9
	s_wait_kmcnt 0x0
	s_cmp_lg_u64 s[4:5], 0
	s_cbranch_scc0 .LBB169_9
; %bb.4:
	s_load_b32 s6, s[0:1], 0x18
	s_mov_b32 s7, 0
                                        ; implicit-def: $vgpr9
	s_wait_kmcnt 0x0
	v_cmp_gt_i32_e32 vcc_lo, s6, v21
	s_mov_b32 s6, 0
	s_and_saveexec_b32 s8, vcc_lo
	s_delay_alu instid0(SALU_CYCLE_1)
	s_xor_b32 s8, exec_lo, s8
	s_cbranch_execz .LBB169_6
; %bb.5:
	v_ashrrev_i32_e32 v22, 31, v21
	s_mov_b32 s6, exec_lo
	s_delay_alu instid0(VALU_DEP_1) | instskip(NEXT) | instid1(VALU_DEP_1)
	v_lshlrev_b64_e32 v[9:10], 2, v[21:22]
	v_add_co_u32 v9, vcc_lo, s4, v9
	s_delay_alu instid0(VALU_DEP_1)
	v_add_co_ci_u32_e64 v10, null, s5, v10, vcc_lo
	global_load_b32 v9, v[9:10], off
	s_wait_loadcnt 0x0
	v_subrev_nc_u32_e32 v9, s12, v9
.LBB169_6:
	s_or_b32 exec_lo, exec_lo, s8
	s_delay_alu instid0(SALU_CYCLE_1)
	s_and_b32 vcc_lo, exec_lo, s7
	s_wait_alu 0xfffe
	s_cbranch_vccz .LBB169_10
.LBB169_7:
	v_cmp_gt_i32_e32 vcc_lo, s2, v21
	s_and_not1_b32 s2, s6, exec_lo
	s_and_b32 s4, vcc_lo, exec_lo
	s_wait_alu 0xfffe
	s_or_b32 s6, s2, s4
	s_wait_alu 0xfffe
	s_and_b32 exec_lo, exec_lo, s6
	s_cbranch_execnz .LBB169_11
.LBB169_8:
	s_nop 0
	s_sendmsg sendmsg(MSG_DEALLOC_VGPRS)
	s_endpgm
.LBB169_9:
	s_mov_b32 s6, 0
                                        ; implicit-def: $vgpr9
	s_cbranch_execnz .LBB169_7
.LBB169_10:
	v_mov_b32_e32 v21, v9
	s_and_b32 exec_lo, exec_lo, s6
	s_cbranch_execz .LBB169_8
.LBB169_11:
	s_load_b256 s[4:11], s[0:1], 0x28
	s_delay_alu instid0(VALU_DEP_1) | instskip(SKIP_1) | instid1(VALU_DEP_2)
	v_ashrrev_i32_e32 v22, 31, v21
	v_and_b32_e32 v0, 63, v0
	v_lshlrev_b64_e32 v[9:10], 2, v[21:22]
	s_wait_kmcnt 0x0
	s_delay_alu instid0(VALU_DEP_1) | instskip(SKIP_1) | instid1(VALU_DEP_2)
	v_add_co_u32 v11, vcc_lo, s4, v9
	s_wait_alu 0xfffd
	v_add_co_ci_u32_e64 v12, null, s5, v10, vcc_lo
	v_add_co_u32 v9, vcc_lo, s6, v9
	s_wait_alu 0xfffd
	v_add_co_ci_u32_e64 v10, null, s7, v10, vcc_lo
	global_load_b32 v35, v[11:12], off
	v_add_co_u32 v11, vcc_lo, v11, 4
	s_wait_alu 0xfffd
	v_add_co_ci_u32_e64 v12, null, 0, v12, vcc_lo
	s_cmp_eq_u64 s[6:7], 0
	s_load_b64 s[4:5], s[0:1], 0x48
	s_cselect_b32 vcc_lo, -1, 0
	s_cmp_eq_u32 s3, 1
	s_wait_alu 0xfffe
	v_dual_cndmask_b32 v10, v10, v12 :: v_dual_cndmask_b32 v9, v9, v11
	global_load_b32 v13, v[9:10], off
	s_wait_loadcnt 0x1
	v_subrev_nc_u32_e32 v9, s12, v35
	s_delay_alu instid0(VALU_DEP_1) | instskip(NEXT) | instid1(VALU_DEP_1)
	v_add_nc_u32_e32 v9, v9, v0
	v_ashrrev_i32_e32 v10, 31, v9
	s_wait_loadcnt 0x0
	v_subrev_nc_u32_e32 v34, s12, v13
	s_delay_alu instid0(VALU_DEP_2) | instskip(NEXT) | instid1(VALU_DEP_2)
	v_lshlrev_b64_e32 v[11:12], 7, v[9:10]
	v_cmp_lt_i32_e64 s2, v9, v34
	s_delay_alu instid0(VALU_DEP_2) | instskip(SKIP_1) | instid1(VALU_DEP_3)
	v_add_co_u32 v11, vcc_lo, s10, v11
	s_wait_alu 0xfffd
	v_add_co_ci_u32_e64 v12, null, s11, v12, vcc_lo
	s_cbranch_scc1 .LBB169_23
; %bb.12:
	v_dual_mov_b32 v13, 0 :: v_dual_mov_b32 v26, 0
	v_dual_mov_b32 v14, 0 :: v_dual_mov_b32 v19, 0
	;; [unrolled: 1-line block ×5, first 2 shown]
	v_mov_b32_e32 v20, 0
	v_dual_mov_b32 v18, 0 :: v_dual_mov_b32 v25, 0
	v_mov_b32_e32 v29, 0
	v_dual_mov_b32 v23, 0 :: v_dual_mov_b32 v16, 0
	s_and_saveexec_b32 s6, s2
	s_cbranch_execz .LBB169_22
; %bb.13:
	v_dual_mov_b32 v15, 0 :: v_dual_add_nc_u32 v10, v35, v0
	v_mov_b32_e32 v22, 0
	v_not_b32_e32 v13, v35
	v_dual_mov_b32 v26, 0 :: v_dual_mov_b32 v17, 0
	s_delay_alu instid0(VALU_DEP_4) | instskip(SKIP_2) | instid1(VALU_DEP_3)
	v_subrev_nc_u32_e32 v10, s12, v10
	v_mov_b32_e32 v28, 0
	v_dual_mov_b32 v24, 0 :: v_dual_mov_b32 v19, 0
	v_dual_mov_b32 v23, 0 :: v_dual_add_nc_u32 v10, 64, v10
	v_dual_mov_b32 v18, 0 :: v_dual_mov_b32 v33, v12
	v_dual_mov_b32 v16, 0 :: v_dual_mov_b32 v29, 0
	s_delay_alu instid0(VALU_DEP_3) | instskip(SKIP_3) | instid1(VALU_DEP_4)
	v_max_i32_e32 v10, v10, v34
	v_mov_b32_e32 v27, 0
	v_dual_mov_b32 v25, 0 :: v_dual_mov_b32 v20, 0
	v_mov_b32_e32 v32, v11
	v_add3_u32 v10, s12, v10, v13
	v_mov_b32_e32 v13, 0
	v_mov_b32_e32 v14, 0
	s_delay_alu instid0(VALU_DEP_3) | instskip(NEXT) | instid1(VALU_DEP_1)
	v_sub_nc_u32_e32 v10, v10, v0
	v_and_b32_e32 v30, 0xc0, v10
	s_delay_alu instid0(VALU_DEP_1)
	v_cmp_ne_u32_e32 vcc_lo, 0xc0, v30
	v_mov_b32_e32 v30, v9
	s_and_saveexec_b32 s3, vcc_lo
	s_cbranch_execz .LBB169_17
; %bb.14:
	v_lshrrev_b32_e32 v15, 6, v10
	v_dual_mov_b32 v13, 0 :: v_dual_mov_b32 v30, v9
	v_dual_mov_b32 v14, 0 :: v_dual_mov_b32 v19, 0
	s_delay_alu instid0(VALU_DEP_3) | instskip(SKIP_2) | instid1(VALU_DEP_3)
	v_dual_mov_b32 v24, 0 :: v_dual_add_nc_u32 v15, 1, v15
	v_dual_mov_b32 v25, 0 :: v_dual_mov_b32 v26, 0
	v_dual_mov_b32 v27, 0 :: v_dual_mov_b32 v28, 0
	v_dual_mov_b32 v20, 0 :: v_dual_and_b32 v31, 3, v15
	v_mov_b32_e32 v17, 0
	v_dual_mov_b32 v29, 0 :: v_dual_mov_b32 v22, 0
	v_mov_b32_e32 v15, 0
	v_dual_mov_b32 v33, v12 :: v_dual_mov_b32 v18, 0
	v_dual_mov_b32 v23, 0 :: v_dual_mov_b32 v16, 0
	v_sub_nc_u32_e32 v36, 0, v31
	v_mov_b32_e32 v32, v11
	s_mov_b32 s7, 0
.LBB169_15:                             ; =>This Inner Loop Header: Depth=1
	v_ashrrev_i32_e32 v31, 31, v30
	s_delay_alu instid0(VALU_DEP_3) | instskip(SKIP_2) | instid1(VALU_DEP_2)
	v_add_co_u32 v36, s10, v36, 1
	s_wait_alu 0xfffe
	s_or_b32 s7, s10, s7
	v_lshlrev_b64_e32 v[37:38], 2, v[30:31]
	v_add_nc_u32_e32 v30, 64, v30
	s_delay_alu instid0(VALU_DEP_2) | instskip(SKIP_1) | instid1(VALU_DEP_3)
	v_add_co_u32 v37, vcc_lo, s8, v37
	s_wait_alu 0xfffd
	v_add_co_ci_u32_e64 v38, null, s9, v38, vcc_lo
	global_load_b32 v31, v[37:38], off
	s_clause 0x7
	global_load_b128 v[37:40], v[32:33], off
	global_load_b128 v[41:44], v[32:33], off offset:32
	global_load_b128 v[45:48], v[32:33], off offset:64
	;; [unrolled: 1-line block ×7, first 2 shown]
	s_wait_loadcnt 0x8
	v_subrev_nc_u32_e32 v31, s12, v31
	s_wait_loadcnt 0x7
	v_cvt_f64_f32_e32 v[85:86], v37
	v_cvt_f64_f32_e32 v[37:38], v38
	s_wait_loadcnt 0x6
	v_cvt_f64_f32_e32 v[87:88], v41
	v_cvt_f64_f32_e32 v[41:42], v42
	v_lshlrev_b32_e32 v69, 2, v31
	s_wait_loadcnt 0x5
	v_cvt_f64_f32_e32 v[89:90], v45
	v_cvt_f64_f32_e32 v[45:46], v46
	s_wait_loadcnt 0x3
	v_cvt_f64_f32_e32 v[91:92], v53
	v_cvt_f64_f32_e32 v[53:54], v54
	v_ashrrev_i32_e32 v70, 31, v69
	v_cvt_f64_f32_e32 v[93:94], v43
	v_cvt_f64_f32_e32 v[43:44], v44
	;; [unrolled: 1-line block ×4, first 2 shown]
	v_lshlrev_b64_e32 v[69:70], 4, v[69:70]
	v_cvt_f64_f32_e32 v[97:98], v55
	v_cvt_f64_f32_e32 v[55:56], v56
	s_wait_kmcnt 0x0
	s_delay_alu instid0(VALU_DEP_3)
	v_add_co_u32 v81, vcc_lo, s4, v69
	s_wait_alu 0xfffd
	v_add_co_ci_u32_e64 v82, null, s5, v70, vcc_lo
	v_add_co_u32 v32, vcc_lo, 0x2000, v32
	s_wait_alu 0xfffd
	v_add_co_ci_u32_e64 v33, null, 0, v33, vcc_lo
	s_clause 0x3
	global_load_b128 v[69:72], v[81:82], off
	global_load_b128 v[73:76], v[81:82], off offset:16
	global_load_b128 v[77:80], v[81:82], off offset:32
	;; [unrolled: 1-line block ×3, first 2 shown]
	s_wait_loadcnt 0x3
	v_fma_f64 v[19:20], v[85:86], v[69:70], v[19:20]
	v_fma_f64 v[13:14], v[37:38], v[69:70], v[13:14]
	;; [unrolled: 1-line block ×8, first 2 shown]
	v_cvt_f64_f32_e32 v[69:70], v39
	v_cvt_f64_f32_e32 v[39:40], v40
	v_fma_f64 v[19:20], -v[37:38], v[71:72], v[19:20]
	v_fma_f64 v[13:14], v[85:86], v[71:72], v[13:14]
	v_fma_f64 v[24:25], -v[41:42], v[71:72], v[24:25]
	v_fma_f64 v[17:18], v[87:88], v[71:72], v[17:18]
	;; [unrolled: 2-line block ×4, first 2 shown]
	v_cvt_f64_f32_e32 v[37:38], v57
	v_cvt_f64_f32_e32 v[41:42], v58
	;; [unrolled: 1-line block ×8, first 2 shown]
	s_wait_loadcnt 0x2
	v_fma_f64 v[19:20], v[69:70], v[73:74], v[19:20]
	v_fma_f64 v[13:14], v[39:40], v[73:74], v[13:14]
	;; [unrolled: 1-line block ×8, first 2 shown]
	v_fma_f64 v[19:20], -v[39:40], v[75:76], v[19:20]
	v_fma_f64 v[13:14], v[69:70], v[75:76], v[13:14]
	v_fma_f64 v[24:25], -v[43:44], v[75:76], v[24:25]
	v_fma_f64 v[17:18], v[93:94], v[75:76], v[17:18]
	;; [unrolled: 2-line block ×4, first 2 shown]
	v_cvt_f64_f32_e32 v[39:40], v59
	v_cvt_f64_f32_e32 v[43:44], v60
	v_cvt_f64_f32_e32 v[47:48], v51
	v_cvt_f64_f32_e32 v[51:52], v52
	v_cvt_f64_f32_e32 v[55:56], v67
	v_cvt_f64_f32_e32 v[59:60], v68
	v_cvt_f64_f32_e32 v[67:68], v63
	v_cvt_f64_f32_e32 v[63:64], v64
	s_wait_loadcnt 0x1
	v_fma_f64 v[19:20], v[37:38], v[77:78], v[19:20]
	v_fma_f64 v[13:14], v[41:42], v[77:78], v[13:14]
	;; [unrolled: 1-line block ×8, first 2 shown]
	v_fma_f64 v[19:20], -v[41:42], v[79:80], v[19:20]
	v_fma_f64 v[13:14], v[37:38], v[79:80], v[13:14]
	v_fma_f64 v[24:25], -v[49:50], v[79:80], v[24:25]
	v_fma_f64 v[17:18], v[45:46], v[79:80], v[17:18]
	;; [unrolled: 2-line block ×4, first 2 shown]
	s_wait_loadcnt 0x0
	v_fma_f64 v[19:20], v[39:40], v[81:82], v[19:20]
	v_fma_f64 v[13:14], v[43:44], v[81:82], v[13:14]
	;; [unrolled: 1-line block ×8, first 2 shown]
	v_fma_f64 v[19:20], -v[43:44], v[83:84], v[19:20]
	v_fma_f64 v[13:14], v[39:40], v[83:84], v[13:14]
	v_fma_f64 v[24:25], -v[51:52], v[83:84], v[24:25]
	v_fma_f64 v[17:18], v[47:48], v[83:84], v[17:18]
	;; [unrolled: 2-line block ×4, first 2 shown]
	s_wait_alu 0xfffe
	s_and_not1_b32 exec_lo, exec_lo, s7
	s_cbranch_execnz .LBB169_15
; %bb.16:
	s_or_b32 exec_lo, exec_lo, s7
.LBB169_17:
	s_wait_alu 0xfffe
	s_or_b32 exec_lo, exec_lo, s3
	s_delay_alu instid0(SALU_CYCLE_1)
	s_mov_b32 s7, exec_lo
	v_cmpx_lt_u32_e32 0xbf, v10
	s_cbranch_execz .LBB169_21
; %bb.18:
	s_mov_b32 s10, 0
.LBB169_19:                             ; =>This Inner Loop Header: Depth=1
	v_ashrrev_i32_e32 v31, 31, v30
	s_delay_alu instid0(VALU_DEP_1) | instskip(SKIP_1) | instid1(VALU_DEP_2)
	v_lshlrev_b64_e32 v[36:37], 2, v[30:31]
	v_add_nc_u32_e32 v30, 0x100, v30
	v_add_co_u32 v52, vcc_lo, s8, v36
	s_wait_alu 0xfffd
	s_delay_alu instid0(VALU_DEP_3)
	v_add_co_ci_u32_e64 v53, null, s9, v37, vcc_lo
	global_load_b32 v31, v[52:53], off
	s_clause 0x3
	global_load_b128 v[36:39], v[32:33], off
	global_load_b128 v[40:43], v[32:33], off offset:32
	global_load_b128 v[44:47], v[32:33], off offset:64
	;; [unrolled: 1-line block ×3, first 2 shown]
	s_clause 0x2
	global_load_b32 v100, v[52:53], off offset:256
	global_load_b32 v128, v[52:53], off offset:512
	;; [unrolled: 1-line block ×3, first 2 shown]
	s_wait_loadcnt 0x7
	v_subrev_nc_u32_e32 v31, s12, v31
	s_wait_loadcnt 0x6
	v_cvt_f64_f32_e32 v[104:105], v36
	v_cvt_f64_f32_e32 v[36:37], v37
	s_wait_loadcnt 0x5
	v_cvt_f64_f32_e32 v[106:107], v40
	v_cvt_f64_f32_e32 v[40:41], v41
	v_lshlrev_b32_e32 v52, 2, v31
	s_wait_loadcnt 0x2
	v_subrev_nc_u32_e32 v31, s12, v100
	v_cvt_f64_f32_e32 v[108:109], v44
	v_cvt_f64_f32_e32 v[44:45], v45
	;; [unrolled: 1-line block ×3, first 2 shown]
	v_ashrrev_i32_e32 v53, 31, v52
	v_lshlrev_b32_e32 v100, 2, v31
	v_cvt_f64_f32_e32 v[48:49], v49
	v_cvt_f64_f32_e32 v[114:115], v39
	;; [unrolled: 1-line block ×3, first 2 shown]
	v_lshlrev_b64_e32 v[52:53], 4, v[52:53]
	v_ashrrev_i32_e32 v101, 31, v100
	v_cvt_f64_f32_e32 v[42:43], v43
	v_cvt_f64_f32_e32 v[118:119], v46
	;; [unrolled: 1-line block ×4, first 2 shown]
	s_wait_kmcnt 0x0
	v_add_co_u32 v80, vcc_lo, s4, v52
	s_wait_alu 0xfffd
	v_add_co_ci_u32_e64 v81, null, s5, v53, vcc_lo
	v_lshlrev_b64_e32 v[100:101], 4, v[100:101]
	v_cvt_f64_f32_e32 v[50:51], v51
	s_wait_loadcnt 0x1
	v_subrev_nc_u32_e32 v31, s12, v128
	s_clause 0x1
	global_load_b128 v[52:55], v[80:81], off
	global_load_b128 v[56:59], v[80:81], off offset:16
	s_clause 0x3
	global_load_b128 v[60:63], v[32:33], off offset:16
	global_load_b128 v[64:67], v[32:33], off offset:48
	;; [unrolled: 1-line block ×4, first 2 shown]
	s_clause 0x1
	global_load_b128 v[76:79], v[80:81], off offset:32
	global_load_b128 v[80:83], v[80:81], off offset:48
	s_clause 0x3
	global_load_b128 v[84:87], v[32:33], off offset:8192
	global_load_b128 v[88:91], v[32:33], off offset:8224
	;; [unrolled: 1-line block ×4, first 2 shown]
	s_wait_loadcnt 0xc
	v_subrev_nc_u32_e32 v10, s12, v10
	v_add_co_u32 v112, vcc_lo, s4, v100
	s_wait_alu 0xfffd
	v_add_co_ci_u32_e64 v113, null, s5, v101, vcc_lo
	global_load_b128 v[100:103], v[112:113], off
	s_wait_loadcnt 0xc
	v_fma_f64 v[19:20], v[104:105], v[52:53], v[19:20]
	v_fma_f64 v[13:14], v[36:37], v[52:53], v[13:14]
	;; [unrolled: 1-line block ×8, first 2 shown]
	v_cvt_f64_f32_e32 v[52:53], v38
	s_wait_loadcnt 0x9
	v_cvt_f64_f32_e32 v[122:123], v64
	v_cvt_f64_f32_e32 v[64:65], v65
	s_wait_loadcnt 0x8
	v_cvt_f64_f32_e32 v[124:125], v68
	;; [unrolled: 3-line block ×3, first 2 shown]
	v_cvt_f64_f32_e32 v[72:73], v73
	v_fma_f64 v[19:20], -v[36:37], v[54:55], v[19:20]
	v_fma_f64 v[36:37], v[104:105], v[54:55], v[13:14]
	v_fma_f64 v[24:25], -v[40:41], v[54:55], v[24:25]
	v_fma_f64 v[17:18], v[106:107], v[54:55], v[17:18]
	;; [unrolled: 2-line block ×4, first 2 shown]
	global_load_b128 v[13:16], v[112:113], off offset:16
	v_cvt_f64_f32_e32 v[110:111], v60
	v_cvt_f64_f32_e32 v[60:61], v61
	v_fma_f64 v[40:41], v[52:53], v[56:57], v[19:20]
	v_fma_f64 v[44:45], v[114:115], v[56:57], v[36:37]
	;; [unrolled: 1-line block ×8, first 2 shown]
	s_clause 0x3
	global_load_b128 v[17:20], v[32:33], off offset:8208
	global_load_b128 v[22:25], v[32:33], off offset:8240
	;; [unrolled: 1-line block ×4, first 2 shown]
	v_fma_f64 v[114:115], -v[114:115], v[58:59], v[40:41]
	v_fma_f64 v[44:45], v[52:53], v[58:59], v[44:45]
	v_fma_f64 v[48:49], -v[42:43], v[58:59], v[48:49]
	v_fma_f64 v[52:53], v[116:117], v[58:59], v[54:55]
	v_fma_f64 v[46:47], -v[46:47], v[58:59], v[104:105]
	v_fma_f64 v[54:55], v[118:119], v[58:59], v[106:107]
	v_fma_f64 v[50:51], -v[50:51], v[58:59], v[108:109]
	v_fma_f64 v[56:57], v[120:121], v[58:59], v[56:57]
	global_load_b128 v[40:43], v[112:113], off offset:32
	v_cvt_f64_f32_e32 v[104:105], v63
	v_cvt_f64_f32_e32 v[106:107], v66
	;; [unrolled: 1-line block ×5, first 2 shown]
	s_wait_loadcnt 0xa
	v_cvt_f64_f32_e32 v[118:119], v84
	v_cvt_f64_f32_e32 v[84:85], v85
	s_wait_loadcnt 0x9
	v_cvt_f64_f32_e32 v[120:121], v88
	v_cvt_f64_f32_e32 v[88:89], v89
	v_fma_f64 v[58:59], v[110:111], v[76:77], v[114:115]
	v_fma_f64 v[44:45], v[60:61], v[76:77], v[44:45]
	;; [unrolled: 1-line block ×8, first 2 shown]
	v_cvt_f64_f32_e32 v[76:77], v62
	v_cvt_f64_f32_e32 v[114:115], v74
	;; [unrolled: 1-line block ×3, first 2 shown]
	v_fma_f64 v[58:59], -v[60:61], v[78:79], v[58:59]
	v_fma_f64 v[60:61], v[110:111], v[78:79], v[44:45]
	v_fma_f64 v[62:63], -v[64:65], v[78:79], v[48:49]
	v_fma_f64 v[64:65], v[122:123], v[78:79], v[52:53]
	;; [unrolled: 2-line block ×4, first 2 shown]
	global_load_b128 v[44:47], v[112:113], off offset:48
	s_clause 0x1
	global_load_b128 v[48:51], v[32:33], off offset:16416
	global_load_b128 v[52:55], v[32:33], off offset:16384
	v_lshlrev_b32_e32 v126, 2, v31
	s_wait_loadcnt 0xb
	v_cvt_f64_f32_e32 v[122:123], v92
	v_cvt_f64_f32_e32 v[92:93], v93
	s_wait_loadcnt 0xa
	v_cvt_f64_f32_e32 v[124:125], v96
	v_cvt_f64_f32_e32 v[96:97], v97
	v_ashrrev_i32_e32 v127, 31, v126
	v_fma_f64 v[78:79], v[76:77], v[80:81], v[58:59]
	v_fma_f64 v[112:113], v[104:105], v[80:81], v[60:61]
	;; [unrolled: 1-line block ×8, first 2 shown]
	s_clause 0x1
	global_load_b128 v[56:59], v[32:33], off offset:16448
	global_load_b128 v[60:63], v[32:33], off offset:16480
	v_fma_f64 v[78:79], -v[104:105], v[82:83], v[78:79]
	v_fma_f64 v[76:77], v[76:77], v[82:83], v[112:113]
	v_fma_f64 v[104:105], -v[66:67], v[82:83], v[116:117]
	v_fma_f64 v[106:107], v[106:107], v[82:83], v[64:65]
	;; [unrolled: 2-line block ×4, first 2 shown]
	v_lshlrev_b64_e32 v[64:65], 4, v[126:127]
	v_cvt_f64_f32_e32 v[110:111], v94
	v_cvt_f64_f32_e32 v[94:95], v95
	;; [unrolled: 1-line block ×4, first 2 shown]
	v_add_co_u32 v108, vcc_lo, s4, v64
	s_wait_alu 0xfffd
	v_add_co_ci_u32_e64 v109, null, s5, v65, vcc_lo
	global_load_b128 v[64:67], v[108:109], off
	s_wait_loadcnt 0xc
	v_fma_f64 v[78:79], v[118:119], v[100:101], v[78:79]
	v_fma_f64 v[76:77], v[84:85], v[100:101], v[76:77]
	;; [unrolled: 1-line block ×8, first 2 shown]
	v_cvt_f64_f32_e32 v[100:101], v86
	v_cvt_f64_f32_e32 v[104:105], v87
	v_cvt_f64_f32_e32 v[106:107], v90
	v_cvt_f64_f32_e32 v[90:91], v91
	v_fma_f64 v[78:79], -v[84:85], v[102:103], v[78:79]
	v_fma_f64 v[76:77], v[118:119], v[102:103], v[76:77]
	v_fma_f64 v[80:81], -v[88:89], v[102:103], v[80:81]
	v_fma_f64 v[82:83], v[120:121], v[102:103], v[82:83]
	;; [unrolled: 2-line block ×4, first 2 shown]
	global_load_b128 v[68:71], v[108:109], off offset:16
	s_wait_loadcnt 0xc
	v_fma_f64 v[88:89], v[100:101], v[13:14], v[78:79]
	v_fma_f64 v[92:93], v[104:105], v[13:14], v[76:77]
	;; [unrolled: 1-line block ×8, first 2 shown]
	s_clause 0x3
	global_load_b128 v[72:75], v[32:33], off offset:16400
	global_load_b128 v[76:79], v[32:33], off offset:16432
	;; [unrolled: 1-line block ×4, first 2 shown]
	s_wait_loadcnt 0xf
	v_cvt_f64_f32_e32 v[120:121], v17
	v_cvt_f64_f32_e32 v[17:18], v18
	s_wait_loadcnt 0xe
	v_cvt_f64_f32_e32 v[122:123], v22
	v_cvt_f64_f32_e32 v[22:23], v23
	;; [unrolled: 3-line block ×4, first 2 shown]
	v_fma_f64 v[88:89], -v[104:105], v[15:16], v[88:89]
	v_fma_f64 v[92:93], v[100:101], v[15:16], v[92:93]
	v_fma_f64 v[90:91], -v[90:91], v[15:16], v[96:97]
	v_fma_f64 v[96:97], v[106:107], v[15:16], v[102:103]
	v_fma_f64 v[94:95], -v[94:95], v[15:16], v[114:115]
	v_fma_f64 v[100:101], v[110:111], v[15:16], v[116:117]
	v_fma_f64 v[98:99], -v[98:99], v[15:16], v[118:119]
	v_fma_f64 v[102:103], v[112:113], v[15:16], v[13:14]
	global_load_b128 v[13:16], v[108:109], off offset:32
	v_cvt_f64_f32_e32 v[104:105], v20
	v_cvt_f64_f32_e32 v[106:107], v24
	;; [unrolled: 1-line block ×7, first 2 shown]
	s_wait_loadcnt 0xc
	v_fma_f64 v[88:89], v[120:121], v[40:41], v[88:89]
	v_fma_f64 v[92:93], v[17:18], v[40:41], v[92:93]
	;; [unrolled: 1-line block ×8, first 2 shown]
	v_cvt_f64_f32_e32 v[102:103], v19
	v_fma_f64 v[24:25], -v[17:18], v[42:43], v[88:89]
	v_fma_f64 v[28:29], v[120:121], v[42:43], v[92:93]
	v_fma_f64 v[22:23], -v[22:23], v[42:43], v[90:91]
	v_fma_f64 v[38:39], v[122:123], v[42:43], v[96:97]
	;; [unrolled: 2-line block ×4, first 2 shown]
	global_load_b128 v[17:20], v[108:109], off offset:48
	v_lshlrev_b32_e32 v126, 2, v10
	s_delay_alu instid0(VALU_DEP_1)
	v_ashrrev_i32_e32 v127, 31, v126
	s_wait_loadcnt 0xb
	v_cvt_f64_f32_e32 v[120:121], v48
	s_wait_loadcnt 0xa
	v_cvt_f64_f32_e32 v[108:109], v52
	v_cvt_f64_f32_e32 v[52:53], v53
	;; [unrolled: 1-line block ×3, first 2 shown]
	v_fma_f64 v[90:91], v[102:103], v[44:45], v[24:25]
	v_fma_f64 v[92:93], v[104:105], v[44:45], v[28:29]
	;; [unrolled: 1-line block ×8, first 2 shown]
	s_clause 0x3
	global_load_b128 v[22:25], v[32:33], off offset:24576
	global_load_b128 v[26:29], v[32:33], off offset:24608
	;; [unrolled: 1-line block ×4, first 2 shown]
	s_wait_loadcnt 0xd
	v_cvt_f64_f32_e32 v[122:123], v56
	v_cvt_f64_f32_e32 v[56:57], v57
	s_wait_loadcnt 0xc
	v_cvt_f64_f32_e32 v[124:125], v60
	v_cvt_f64_f32_e32 v[60:61], v61
	v_fma_f64 v[90:91], -v[104:105], v[46:47], v[90:91]
	v_fma_f64 v[92:93], v[102:103], v[46:47], v[92:93]
	v_fma_f64 v[94:95], -v[110:111], v[46:47], v[94:95]
	v_fma_f64 v[96:97], v[106:107], v[46:47], v[96:97]
	;; [unrolled: 2-line block ×4, first 2 shown]
	v_lshlrev_b64_e32 v[44:45], 4, v[126:127]
	v_cvt_f64_f32_e32 v[106:107], v55
	v_cvt_f64_f32_e32 v[110:111], v50
	;; [unrolled: 1-line block ×5, first 2 shown]
	v_add_co_u32 v104, vcc_lo, s4, v44
	s_wait_alu 0xfffd
	v_add_co_ci_u32_e64 v105, null, s5, v45, vcc_lo
	v_cvt_f64_f32_e32 v[118:119], v62
	v_cvt_f64_f32_e32 v[126:127], v63
	v_cmp_ge_i32_e32 vcc_lo, v30, v34
	global_load_b128 v[44:47], v[104:105], off
	s_wait_alu 0xfffe
	s_or_b32 s10, vcc_lo, s10
	s_wait_loadcnt 0xc
	v_fma_f64 v[90:91], v[108:109], v[64:65], v[90:91]
	v_fma_f64 v[92:93], v[52:53], v[64:65], v[92:93]
	;; [unrolled: 1-line block ×8, first 2 shown]
	v_cvt_f64_f32_e32 v[102:103], v54
	v_fma_f64 v[52:53], -v[52:53], v[66:67], v[90:91]
	v_fma_f64 v[54:55], v[108:109], v[66:67], v[92:93]
	v_fma_f64 v[58:59], -v[48:49], v[66:67], v[94:95]
	v_fma_f64 v[62:63], v[120:121], v[66:67], v[96:97]
	;; [unrolled: 2-line block ×4, first 2 shown]
	global_load_b128 v[48:51], v[104:105], off offset:16
	s_wait_loadcnt 0xc
	v_fma_f64 v[90:91], v[102:103], v[68:69], v[52:53]
	v_fma_f64 v[92:93], v[106:107], v[68:69], v[54:55]
	;; [unrolled: 1-line block ×8, first 2 shown]
	s_clause 0x3
	global_load_b128 v[52:55], v[32:33], off offset:24592
	global_load_b128 v[56:59], v[32:33], off offset:24624
	;; [unrolled: 1-line block ×4, first 2 shown]
	v_add_co_u32 v32, s3, 0x8000, v32
	s_wait_alu 0xf1ff
	v_add_co_ci_u32_e64 v33, null, 0, v33, s3
	s_wait_loadcnt 0xf
	v_cvt_f64_f32_e32 v[108:109], v72
	v_cvt_f64_f32_e32 v[72:73], v73
	s_wait_loadcnt 0xe
	v_cvt_f64_f32_e32 v[120:121], v76
	v_cvt_f64_f32_e32 v[76:77], v77
	;; [unrolled: 3-line block ×4, first 2 shown]
	v_fma_f64 v[90:91], -v[106:107], v[70:71], v[90:91]
	v_fma_f64 v[92:93], v[102:103], v[70:71], v[92:93]
	v_fma_f64 v[94:95], -v[112:113], v[70:71], v[94:95]
	v_fma_f64 v[96:97], v[110:111], v[70:71], v[96:97]
	;; [unrolled: 2-line block ×4, first 2 shown]
	global_load_b128 v[68:71], v[104:105], off offset:32
	v_cvt_f64_f32_e32 v[106:107], v75
	v_cvt_f64_f32_e32 v[110:111], v78
	;; [unrolled: 1-line block ×7, first 2 shown]
	s_wait_loadcnt 0xc
	v_fma_f64 v[90:91], v[108:109], v[13:14], v[90:91]
	v_fma_f64 v[92:93], v[72:73], v[13:14], v[92:93]
	;; [unrolled: 1-line block ×8, first 2 shown]
	v_cvt_f64_f32_e32 v[102:103], v74
	v_fma_f64 v[90:91], -v[72:73], v[15:16], v[90:91]
	v_fma_f64 v[92:93], v[108:109], v[15:16], v[92:93]
	v_fma_f64 v[76:77], -v[76:77], v[15:16], v[94:95]
	v_fma_f64 v[94:95], v[120:121], v[15:16], v[96:97]
	;; [unrolled: 2-line block ×4, first 2 shown]
	global_load_b128 v[72:75], v[104:105], off offset:48
	s_wait_loadcnt 0xc
	v_fma_f64 v[15:16], v[102:103], v[17:18], v[90:91]
	v_fma_f64 v[90:91], v[106:107], v[17:18], v[92:93]
	;; [unrolled: 1-line block ×8, first 2 shown]
	s_wait_loadcnt 0xb
	v_cvt_f64_f32_e32 v[17:18], v22
	v_cvt_f64_f32_e32 v[22:23], v23
	s_wait_loadcnt 0xa
	v_cvt_f64_f32_e32 v[94:95], v26
	v_cvt_f64_f32_e32 v[26:27], v27
	;; [unrolled: 3-line block ×4, first 2 shown]
	v_fma_f64 v[15:16], -v[106:107], v[19:20], v[15:16]
	v_fma_f64 v[90:91], v[102:103], v[19:20], v[90:91]
	v_fma_f64 v[76:77], -v[78:79], v[19:20], v[76:77]
	v_fma_f64 v[78:79], v[110:111], v[19:20], v[92:93]
	;; [unrolled: 2-line block ×4, first 2 shown]
	v_cvt_f64_f32_e32 v[86:87], v28
	v_cvt_f64_f32_e32 v[28:29], v29
	;; [unrolled: 1-line block ×4, first 2 shown]
	s_wait_loadcnt 0x7
	v_fma_f64 v[15:16], v[17:18], v[44:45], v[15:16]
	v_fma_f64 v[19:20], v[22:23], v[44:45], v[90:91]
	;; [unrolled: 1-line block ×8, first 2 shown]
	v_cvt_f64_f32_e32 v[44:45], v24
	v_cvt_f64_f32_e32 v[24:25], v25
	;; [unrolled: 1-line block ×4, first 2 shown]
	v_fma_f64 v[15:16], -v[22:23], v[46:47], v[15:16]
	v_fma_f64 v[17:18], v[17:18], v[46:47], v[19:20]
	v_fma_f64 v[19:20], -v[26:27], v[46:47], v[76:77]
	v_fma_f64 v[22:23], v[94:95], v[46:47], v[78:79]
	;; [unrolled: 2-line block ×4, first 2 shown]
	s_wait_loadcnt 0x6
	v_fma_f64 v[15:16], v[44:45], v[48:49], v[15:16]
	v_fma_f64 v[17:18], v[24:25], v[48:49], v[17:18]
	;; [unrolled: 1-line block ×8, first 2 shown]
	s_wait_loadcnt 0x5
	v_cvt_f64_f32_e32 v[46:47], v52
	v_cvt_f64_f32_e32 v[48:49], v53
	s_wait_loadcnt 0x4
	v_cvt_f64_f32_e32 v[52:53], v56
	v_cvt_f64_f32_e32 v[56:57], v57
	;; [unrolled: 3-line block ×4, first 2 shown]
	v_fma_f64 v[15:16], -v[24:25], v[50:51], v[15:16]
	v_fma_f64 v[17:18], v[44:45], v[50:51], v[17:18]
	v_fma_f64 v[19:20], -v[28:29], v[50:51], v[19:20]
	v_fma_f64 v[22:23], v[86:87], v[50:51], v[22:23]
	;; [unrolled: 2-line block ×4, first 2 shown]
	v_cvt_f64_f32_e32 v[36:37], v54
	v_cvt_f64_f32_e32 v[38:39], v55
	v_cvt_f64_f32_e32 v[40:41], v58
	v_cvt_f64_f32_e32 v[42:43], v59
	v_cvt_f64_f32_e32 v[44:45], v62
	v_cvt_f64_f32_e32 v[50:51], v63
	v_cvt_f64_f32_e32 v[54:55], v66
	v_cvt_f64_f32_e32 v[58:59], v67
	s_wait_loadcnt 0x1
	v_fma_f64 v[15:16], v[46:47], v[68:69], v[15:16]
	v_fma_f64 v[17:18], v[48:49], v[68:69], v[17:18]
	;; [unrolled: 1-line block ×8, first 2 shown]
	v_fma_f64 v[15:16], -v[48:49], v[70:71], v[15:16]
	v_fma_f64 v[17:18], v[46:47], v[70:71], v[17:18]
	v_fma_f64 v[19:20], -v[56:57], v[70:71], v[19:20]
	v_fma_f64 v[22:23], v[52:53], v[70:71], v[22:23]
	;; [unrolled: 2-line block ×4, first 2 shown]
	s_wait_loadcnt 0x0
	v_fma_f64 v[15:16], v[36:37], v[72:73], v[15:16]
	v_fma_f64 v[17:18], v[38:39], v[72:73], v[17:18]
	;; [unrolled: 1-line block ×8, first 2 shown]
	v_fma_f64 v[19:20], -v[38:39], v[74:75], v[15:16]
	v_fma_f64 v[13:14], v[36:37], v[74:75], v[17:18]
	v_fma_f64 v[24:25], -v[42:43], v[74:75], v[46:47]
	v_fma_f64 v[17:18], v[40:41], v[74:75], v[22:23]
	;; [unrolled: 2-line block ×4, first 2 shown]
	s_wait_alu 0xfffe
	s_and_not1_b32 exec_lo, exec_lo, s10
	s_cbranch_execnz .LBB169_19
; %bb.20:
	s_or_b32 exec_lo, exec_lo, s10
.LBB169_21:
	s_wait_alu 0xfffe
	s_or_b32 exec_lo, exec_lo, s7
.LBB169_22:
	s_wait_alu 0xfffe
	s_or_b32 exec_lo, exec_lo, s6
	s_cbranch_execz .LBB169_24
	s_branch .LBB169_35
.LBB169_23:
                                        ; implicit-def: $vgpr13_vgpr14
                                        ; implicit-def: $vgpr19_vgpr20
                                        ; implicit-def: $vgpr17_vgpr18
                                        ; implicit-def: $vgpr24_vgpr25
                                        ; implicit-def: $vgpr26_vgpr27
                                        ; implicit-def: $vgpr28_vgpr29
                                        ; implicit-def: $vgpr22_vgpr23
                                        ; implicit-def: $vgpr15_vgpr16
.LBB169_24:
	v_dual_mov_b32 v13, 0 :: v_dual_mov_b32 v26, 0
	v_dual_mov_b32 v14, 0 :: v_dual_mov_b32 v19, 0
	;; [unrolled: 1-line block ×5, first 2 shown]
	v_mov_b32_e32 v20, 0
	v_dual_mov_b32 v18, 0 :: v_dual_mov_b32 v25, 0
	v_mov_b32_e32 v29, 0
	v_dual_mov_b32 v23, 0 :: v_dual_mov_b32 v16, 0
	s_and_saveexec_b32 s3, s2
	s_cbranch_execz .LBB169_34
; %bb.25:
	v_dual_mov_b32 v15, 0 :: v_dual_add_nc_u32 v10, v35, v0
	v_mov_b32_e32 v22, 0
	v_not_b32_e32 v13, v35
	v_mov_b32_e32 v28, 0
	s_delay_alu instid0(VALU_DEP_4) | instskip(SKIP_3) | instid1(VALU_DEP_4)
	v_subrev_nc_u32_e32 v10, s12, v10
	v_dual_mov_b32 v26, 0 :: v_dual_mov_b32 v19, 0
	v_mov_b32_e32 v24, 0
	v_dual_mov_b32 v16, 0 :: v_dual_mov_b32 v29, 0
	v_dual_mov_b32 v23, 0 :: v_dual_add_nc_u32 v10, 64, v10
	v_mov_b32_e32 v27, 0
	v_dual_mov_b32 v25, 0 :: v_dual_mov_b32 v20, 0
	s_delay_alu instid0(VALU_DEP_3) | instskip(SKIP_3) | instid1(VALU_DEP_3)
	v_max_i32_e32 v10, v10, v34
	s_mov_b32 s2, exec_lo
	v_mov_b32_e32 v17, 0
	v_mov_b32_e32 v18, 0
	v_add3_u32 v10, s12, v10, v13
	v_mov_b32_e32 v13, 0
	v_mov_b32_e32 v14, 0
	s_delay_alu instid0(VALU_DEP_3) | instskip(NEXT) | instid1(VALU_DEP_1)
	v_sub_nc_u32_e32 v30, v10, v0
	v_and_b32_e32 v10, 0xc0, v30
	s_delay_alu instid0(VALU_DEP_1)
	v_cmpx_ne_u32_e32 0xc0, v10
	s_cbranch_execz .LBB169_29
; %bb.26:
	v_lshrrev_b32_e32 v10, 6, v30
	v_mov_b32_e32 v24, 0
	v_mov_b32_e32 v26, 0
	v_dual_mov_b32 v28, 0 :: v_dual_mov_b32 v15, 0
	s_delay_alu instid0(VALU_DEP_4) | instskip(SKIP_2) | instid1(VALU_DEP_3)
	v_dual_mov_b32 v13, 0 :: v_dual_add_nc_u32 v10, 1, v10
	v_dual_mov_b32 v14, 0 :: v_dual_mov_b32 v19, 0
	v_dual_mov_b32 v20, 0 :: v_dual_mov_b32 v17, 0
	v_dual_mov_b32 v27, 0 :: v_dual_and_b32 v10, 3, v10
	v_mov_b32_e32 v22, 0
	v_dual_mov_b32 v18, 0 :: v_dual_mov_b32 v25, 0
	v_mov_b32_e32 v29, 0
	v_dual_mov_b32 v23, 0 :: v_dual_mov_b32 v16, 0
	v_sub_nc_u32_e32 v31, 0, v10
	s_mov_b32 s6, 0
.LBB169_27:                             ; =>This Inner Loop Header: Depth=1
	v_ashrrev_i32_e32 v10, 31, v9
	s_delay_alu instid0(VALU_DEP_2) | instskip(SKIP_2) | instid1(VALU_DEP_2)
	v_add_co_u32 v31, s7, v31, 1
	s_wait_alu 0xfffe
	s_or_b32 s6, s7, s6
	v_lshlrev_b64_e32 v[32:33], 2, v[9:10]
	v_add_nc_u32_e32 v9, 64, v9
	s_delay_alu instid0(VALU_DEP_2) | instskip(SKIP_1) | instid1(VALU_DEP_3)
	v_add_co_u32 v32, vcc_lo, s8, v32
	s_wait_alu 0xfffd
	v_add_co_ci_u32_e64 v33, null, s9, v33, vcc_lo
	global_load_b32 v10, v[32:33], off
	s_clause 0x1
	global_load_b128 v[35:38], v[11:12], off
	global_load_b128 v[39:42], v[11:12], off offset:16
	s_wait_loadcnt 0x2
	v_subrev_nc_u32_e32 v10, s12, v10
	s_wait_loadcnt 0x1
	v_cvt_f64_f32_e32 v[83:84], v37
	v_cvt_f64_f32_e32 v[37:38], v38
	s_wait_loadcnt 0x0
	v_cvt_f64_f32_e32 v[85:86], v39
	v_cvt_f64_f32_e32 v[39:40], v40
	v_lshlrev_b32_e32 v32, 2, v10
	v_cvt_f64_f32_e32 v[87:88], v41
	v_cvt_f64_f32_e32 v[41:42], v42
	s_delay_alu instid0(VALU_DEP_3) | instskip(NEXT) | instid1(VALU_DEP_1)
	v_ashrrev_i32_e32 v33, 31, v32
	v_lshlrev_b64_e32 v[32:33], 4, v[32:33]
	s_wait_kmcnt 0x0
	s_delay_alu instid0(VALU_DEP_1) | instskip(SKIP_1) | instid1(VALU_DEP_2)
	v_add_co_u32 v32, vcc_lo, s4, v32
	s_wait_alu 0xfffd
	v_add_co_ci_u32_e64 v33, null, s5, v33, vcc_lo
	s_clause 0x1
	global_load_b128 v[43:46], v[32:33], off
	global_load_b128 v[47:50], v[32:33], off offset:16
	s_clause 0x3
	global_load_b128 v[51:54], v[11:12], off offset:32
	global_load_b128 v[55:58], v[11:12], off offset:48
	;; [unrolled: 1-line block ×4, first 2 shown]
	s_clause 0x1
	global_load_b128 v[67:70], v[32:33], off offset:32
	global_load_b128 v[71:74], v[32:33], off offset:48
	s_clause 0x1
	global_load_b128 v[75:78], v[11:12], off offset:96
	global_load_b128 v[79:82], v[11:12], off offset:112
	v_cvt_f64_f32_e32 v[32:33], v35
	v_cvt_f64_f32_e32 v[35:36], v36
	v_add_co_u32 v11, vcc_lo, 0x2000, v11
	s_wait_alu 0xfffd
	v_add_co_ci_u32_e64 v12, null, 0, v12, vcc_lo
	s_wait_loadcnt 0x9
	s_delay_alu instid0(VALU_DEP_4) | instskip(NEXT) | instid1(VALU_DEP_4)
	v_fma_f64 v[19:20], v[32:33], v[43:44], v[19:20]
	v_fma_f64 v[13:14], v[35:36], v[43:44], v[13:14]
	;; [unrolled: 1-line block ×8, first 2 shown]
	s_wait_loadcnt 0x7
	v_cvt_f64_f32_e32 v[43:44], v51
	v_cvt_f64_f32_e32 v[51:52], v52
	;; [unrolled: 1-line block ×4, first 2 shown]
	s_wait_loadcnt 0x6
	v_cvt_f64_f32_e32 v[91:92], v55
	v_cvt_f64_f32_e32 v[55:56], v56
	;; [unrolled: 1-line block ×4, first 2 shown]
	v_fma_f64 v[19:20], -v[35:36], v[45:46], v[19:20]
	v_fma_f64 v[13:14], v[32:33], v[45:46], v[13:14]
	v_fma_f64 v[24:25], -v[37:38], v[45:46], v[24:25]
	v_fma_f64 v[17:18], v[83:84], v[45:46], v[17:18]
	;; [unrolled: 2-line block ×4, first 2 shown]
	s_wait_loadcnt 0x5
	v_cvt_f64_f32_e32 v[32:33], v59
	v_cvt_f64_f32_e32 v[35:36], v60
	;; [unrolled: 1-line block ×4, first 2 shown]
	s_wait_loadcnt 0x4
	v_cvt_f64_f32_e32 v[41:42], v63
	v_cvt_f64_f32_e32 v[45:46], v64
	;; [unrolled: 1-line block ×3, first 2 shown]
	s_wait_loadcnt 0x0
	v_cvt_f64_f32_e32 v[61:62], v81
	v_cvt_f64_f32_e32 v[63:64], v82
	v_fma_f64 v[19:20], v[43:44], v[47:48], v[19:20]
	v_fma_f64 v[13:14], v[51:52], v[47:48], v[13:14]
	;; [unrolled: 1-line block ×8, first 2 shown]
	v_cvt_f64_f32_e32 v[47:48], v65
	v_fma_f64 v[19:20], -v[51:52], v[49:50], v[19:20]
	v_fma_f64 v[13:14], v[43:44], v[49:50], v[13:14]
	v_fma_f64 v[24:25], -v[53:54], v[49:50], v[24:25]
	v_fma_f64 v[17:18], v[89:90], v[49:50], v[17:18]
	;; [unrolled: 2-line block ×4, first 2 shown]
	v_cvt_f64_f32_e32 v[43:44], v75
	v_cvt_f64_f32_e32 v[49:50], v76
	;; [unrolled: 1-line block ×6, first 2 shown]
	v_fma_f64 v[19:20], v[32:33], v[67:68], v[19:20]
	v_fma_f64 v[13:14], v[35:36], v[67:68], v[13:14]
	;; [unrolled: 1-line block ×8, first 2 shown]
	v_fma_f64 v[19:20], -v[35:36], v[69:70], v[19:20]
	v_fma_f64 v[13:14], v[32:33], v[69:70], v[13:14]
	v_fma_f64 v[24:25], -v[39:40], v[69:70], v[24:25]
	v_fma_f64 v[17:18], v[37:38], v[69:70], v[17:18]
	;; [unrolled: 2-line block ×4, first 2 shown]
	v_fma_f64 v[19:20], v[43:44], v[71:72], v[19:20]
	v_fma_f64 v[13:14], v[49:50], v[71:72], v[13:14]
	;; [unrolled: 1-line block ×8, first 2 shown]
	v_fma_f64 v[19:20], -v[49:50], v[73:74], v[19:20]
	v_fma_f64 v[13:14], v[43:44], v[73:74], v[13:14]
	v_fma_f64 v[24:25], -v[53:54], v[73:74], v[24:25]
	v_fma_f64 v[17:18], v[51:52], v[73:74], v[17:18]
	;; [unrolled: 2-line block ×4, first 2 shown]
	s_wait_alu 0xfffe
	s_and_not1_b32 exec_lo, exec_lo, s6
	s_cbranch_execnz .LBB169_27
; %bb.28:
	s_or_b32 exec_lo, exec_lo, s6
.LBB169_29:
	s_wait_alu 0xfffe
	s_or_b32 exec_lo, exec_lo, s2
	s_delay_alu instid0(SALU_CYCLE_1)
	s_mov_b32 s6, exec_lo
	v_cmpx_lt_u32_e32 0xbf, v30
	s_cbranch_execz .LBB169_33
; %bb.30:
	s_mov_b32 s7, 0
.LBB169_31:                             ; =>This Inner Loop Header: Depth=1
	v_ashrrev_i32_e32 v10, 31, v9
	s_delay_alu instid0(VALU_DEP_1) | instskip(SKIP_1) | instid1(VALU_DEP_2)
	v_lshlrev_b64_e32 v[30:31], 2, v[9:10]
	v_add_nc_u32_e32 v9, 0x100, v9
	v_add_co_u32 v39, vcc_lo, s8, v30
	s_wait_alu 0xfffd
	s_delay_alu instid0(VALU_DEP_3)
	v_add_co_ci_u32_e64 v40, null, s9, v31, vcc_lo
	global_load_b32 v10, v[39:40], off
	s_clause 0x1
	global_load_b128 v[30:33], v[11:12], off
	global_load_b128 v[35:38], v[11:12], off offset:16
	s_clause 0x2
	global_load_b32 v99, v[39:40], off offset:256
	global_load_b32 v117, v[39:40], off offset:512
	;; [unrolled: 1-line block ×3, first 2 shown]
	s_wait_loadcnt 0x5
	v_subrev_nc_u32_e32 v10, s12, v10
	s_wait_loadcnt 0x4
	v_cvt_f64_f32_e32 v[87:88], v30
	v_cvt_f64_f32_e32 v[89:90], v31
	;; [unrolled: 1-line block ×4, first 2 shown]
	v_lshlrev_b32_e32 v39, 2, v10
	s_wait_loadcnt 0x2
	v_subrev_nc_u32_e32 v10, s12, v99
	v_cvt_f64_f32_e32 v[95:96], v35
	v_cvt_f64_f32_e32 v[35:36], v36
	;; [unrolled: 1-line block ×3, first 2 shown]
	v_ashrrev_i32_e32 v40, 31, v39
	v_lshlrev_b32_e32 v30, 2, v10
	v_cvt_f64_f32_e32 v[37:38], v38
	s_wait_loadcnt 0x1
	v_subrev_nc_u32_e32 v10, s12, v117
	v_lshlrev_b64_e32 v[39:40], 4, v[39:40]
	v_ashrrev_i32_e32 v31, 31, v30
	s_delay_alu instid0(VALU_DEP_1) | instskip(SKIP_1) | instid1(VALU_DEP_3)
	v_lshlrev_b64_e32 v[30:31], 4, v[30:31]
	s_wait_kmcnt 0x0
	v_add_co_u32 v75, vcc_lo, s4, v39
	s_wait_alu 0xfffd
	v_add_co_ci_u32_e64 v76, null, s5, v40, vcc_lo
	global_load_b128 v[39:42], v[75:76], off
	s_clause 0x1
	global_load_b128 v[43:46], v[11:12], off offset:32
	global_load_b128 v[47:50], v[11:12], off offset:48
	global_load_b128 v[51:54], v[75:76], off offset:16
	s_clause 0x1
	global_load_b128 v[55:58], v[11:12], off offset:64
	global_load_b128 v[59:62], v[11:12], off offset:80
	global_load_b128 v[63:66], v[75:76], off offset:32
	s_clause 0x1
	global_load_b128 v[67:70], v[11:12], off offset:96
	global_load_b128 v[71:74], v[11:12], off offset:112
	global_load_b128 v[75:78], v[75:76], off offset:48
	s_clause 0x1
	global_load_b128 v[79:82], v[11:12], off offset:8192
	global_load_b128 v[83:86], v[11:12], off offset:8208
	v_add_co_u32 v99, vcc_lo, s4, v30
	s_wait_alu 0xfffd
	v_add_co_ci_u32_e64 v100, null, s5, v31, vcc_lo
	global_load_b128 v[30:33], v[99:100], off
	s_wait_loadcnt 0xc
	v_fma_f64 v[101:102], v[87:88], v[39:40], v[19:20]
	v_fma_f64 v[103:104], v[89:90], v[39:40], v[13:14]
	v_fma_f64 v[24:25], v[91:92], v[39:40], v[24:25]
	v_fma_f64 v[105:106], v[93:94], v[39:40], v[17:18]
	v_fma_f64 v[28:29], v[95:96], v[39:40], v[28:29]
	v_fma_f64 v[26:27], v[35:36], v[39:40], v[26:27]
	v_fma_f64 v[107:108], v[97:98], v[39:40], v[15:16]
	v_fma_f64 v[22:23], v[37:38], v[39:40], v[22:23]
	s_clause 0x1
	global_load_b128 v[13:16], v[11:12], off offset:8224
	global_load_b128 v[17:20], v[11:12], off offset:8240
	s_wait_loadcnt 0xd
	v_cvt_f64_f32_e32 v[39:40], v43
	v_cvt_f64_f32_e32 v[43:44], v44
	;; [unrolled: 1-line block ×4, first 2 shown]
	s_wait_loadcnt 0xc
	v_cvt_f64_f32_e32 v[111:112], v47
	v_cvt_f64_f32_e32 v[47:48], v48
	;; [unrolled: 1-line block ×4, first 2 shown]
	v_fma_f64 v[89:90], -v[89:90], v[41:42], v[101:102]
	v_fma_f64 v[87:88], v[87:88], v[41:42], v[103:104]
	v_fma_f64 v[93:94], -v[93:94], v[41:42], v[24:25]
	v_fma_f64 v[91:92], v[91:92], v[41:42], v[105:106]
	;; [unrolled: 2-line block ×4, first 2 shown]
	global_load_b128 v[22:25], v[99:100], off offset:16
	s_wait_loadcnt 0xb
	v_cvt_f64_f32_e32 v[101:102], v55
	v_cvt_f64_f32_e32 v[55:56], v56
	;; [unrolled: 1-line block ×4, first 2 shown]
	s_wait_loadcnt 0xa
	v_cvt_f64_f32_e32 v[105:106], v59
	v_cvt_f64_f32_e32 v[59:60], v60
	;; [unrolled: 1-line block ×4, first 2 shown]
	v_fma_f64 v[41:42], v[39:40], v[51:52], v[89:90]
	v_fma_f64 v[87:88], v[43:44], v[51:52], v[87:88]
	;; [unrolled: 1-line block ×8, first 2 shown]
	s_clause 0x1
	global_load_b128 v[26:29], v[11:12], off offset:8256
	global_load_b128 v[35:38], v[11:12], off offset:8272
	v_fma_f64 v[43:44], -v[43:44], v[53:54], v[41:42]
	v_fma_f64 v[87:88], v[39:40], v[53:54], v[87:88]
	v_fma_f64 v[45:46], -v[45:46], v[53:54], v[89:90]
	v_fma_f64 v[89:90], v[109:110], v[53:54], v[91:92]
	;; [unrolled: 2-line block ×4, first 2 shown]
	global_load_b128 v[39:42], v[99:100], off offset:32
	s_wait_loadcnt 0xb
	v_cvt_f64_f32_e32 v[109:110], v69
	v_cvt_f64_f32_e32 v[69:70], v70
	s_wait_loadcnt 0xa
	v_cvt_f64_f32_e32 v[111:112], v71
	v_cvt_f64_f32_e32 v[71:72], v72
	;; [unrolled: 1-line block ×4, first 2 shown]
	v_fma_f64 v[53:54], v[101:102], v[63:64], v[43:44]
	v_fma_f64 v[87:88], v[55:56], v[63:64], v[87:88]
	;; [unrolled: 1-line block ×8, first 2 shown]
	s_clause 0x1
	global_load_b128 v[43:46], v[11:12], off offset:8288
	global_load_b128 v[47:50], v[11:12], off offset:8304
	v_cvt_f64_f32_e32 v[63:64], v67
	v_cvt_f64_f32_e32 v[67:68], v68
	v_fma_f64 v[115:116], -v[55:56], v[65:66], v[53:54]
	v_fma_f64 v[87:88], v[101:102], v[65:66], v[87:88]
	v_fma_f64 v[93:94], -v[57:58], v[65:66], v[93:94]
	v_fma_f64 v[89:90], v[103:104], v[65:66], v[89:90]
	;; [unrolled: 2-line block ×4, first 2 shown]
	global_load_b128 v[51:54], v[99:100], off offset:48
	global_load_b128 v[55:58], v[11:12], off offset:16384
	v_lshlrev_b32_e32 v107, 2, v10
	s_wait_loadcnt 0xc
	v_cvt_f64_f32_e32 v[101:102], v81
	v_cvt_f64_f32_e32 v[81:82], v82
	s_wait_loadcnt 0xb
	v_cvt_f64_f32_e32 v[103:104], v83
	v_cvt_f64_f32_e32 v[83:84], v84
	;; [unrolled: 1-line block ×4, first 2 shown]
	v_ashrrev_i32_e32 v108, 31, v107
	v_subrev_nc_u32_e32 v10, s12, v123
	v_fma_f64 v[95:96], v[63:64], v[75:76], v[115:116]
	v_fma_f64 v[87:88], v[67:68], v[75:76], v[87:88]
	;; [unrolled: 1-line block ×8, first 2 shown]
	global_load_b128 v[59:62], v[11:12], off offset:16400
	v_cvt_f64_f32_e32 v[75:76], v79
	v_cvt_f64_f32_e32 v[79:80], v80
	v_fma_f64 v[67:68], -v[67:68], v[77:78], v[95:96]
	v_fma_f64 v[87:88], v[63:64], v[77:78], v[87:88]
	v_fma_f64 v[69:70], -v[69:70], v[77:78], v[93:94]
	v_fma_f64 v[89:90], v[109:110], v[77:78], v[89:90]
	;; [unrolled: 2-line block ×4, first 2 shown]
	v_lshlrev_b64_e32 v[63:64], 4, v[107:108]
	s_delay_alu instid0(VALU_DEP_1) | instskip(SKIP_1) | instid1(VALU_DEP_2)
	v_add_co_u32 v93, vcc_lo, s4, v63
	s_wait_alu 0xfffd
	v_add_co_ci_u32_e64 v94, null, s5, v64, vcc_lo
	global_load_b128 v[63:66], v[93:94], off
	s_wait_loadcnt 0xc
	v_fma_f64 v[95:96], v[75:76], v[30:31], v[67:68]
	v_fma_f64 v[87:88], v[79:80], v[30:31], v[87:88]
	;; [unrolled: 1-line block ×8, first 2 shown]
	s_clause 0x1
	global_load_b128 v[67:70], v[11:12], off offset:16416
	global_load_b128 v[71:74], v[11:12], off offset:16432
	s_wait_loadcnt 0xd
	v_cvt_f64_f32_e32 v[77:78], v13
	v_cvt_f64_f32_e32 v[109:110], v14
	;; [unrolled: 1-line block ×4, first 2 shown]
	s_wait_loadcnt 0xc
	v_cvt_f64_f32_e32 v[115:116], v17
	v_cvt_f64_f32_e32 v[117:118], v18
	;; [unrolled: 1-line block ×4, first 2 shown]
	global_load_b128 v[13:16], v[93:94], off offset:16
	v_fma_f64 v[17:18], -v[79:80], v[32:33], v[95:96]
	v_fma_f64 v[19:20], v[75:76], v[32:33], v[87:88]
	v_fma_f64 v[75:76], -v[81:82], v[32:33], v[97:98]
	v_fma_f64 v[79:80], v[101:102], v[32:33], v[89:90]
	;; [unrolled: 2-line block ×4, first 2 shown]
	s_wait_loadcnt 0xc
	v_fma_f64 v[87:88], v[77:78], v[22:23], v[17:18]
	v_fma_f64 v[89:90], v[109:110], v[22:23], v[19:20]
	;; [unrolled: 1-line block ×8, first 2 shown]
	s_clause 0x1
	global_load_b128 v[17:20], v[11:12], off offset:16448
	global_load_b128 v[30:33], v[11:12], off offset:16464
	s_wait_loadcnt 0xd
	v_cvt_f64_f32_e32 v[91:92], v26
	v_cvt_f64_f32_e32 v[95:96], v27
	;; [unrolled: 1-line block ×4, first 2 shown]
	s_wait_loadcnt 0xc
	v_cvt_f64_f32_e32 v[101:102], v35
	v_cvt_f64_f32_e32 v[103:104], v36
	v_cvt_f64_f32_e32 v[105:106], v37
	v_cvt_f64_f32_e32 v[107:108], v38
	v_fma_f64 v[26:27], -v[109:110], v[24:25], v[87:88]
	v_fma_f64 v[28:29], v[77:78], v[24:25], v[89:90]
	v_fma_f64 v[35:36], -v[113:114], v[24:25], v[75:76]
	v_fma_f64 v[37:38], v[111:112], v[24:25], v[79:80]
	;; [unrolled: 2-line block ×4, first 2 shown]
	global_load_b128 v[22:25], v[93:94], off offset:32
	s_wait_loadcnt 0xc
	v_fma_f64 v[83:84], v[91:92], v[39:40], v[26:27]
	v_fma_f64 v[85:86], v[95:96], v[39:40], v[28:29]
	;; [unrolled: 1-line block ×8, first 2 shown]
	s_clause 0x1
	global_load_b128 v[26:29], v[11:12], off offset:16480
	global_load_b128 v[35:38], v[11:12], off offset:16496
	s_wait_loadcnt 0xd
	v_cvt_f64_f32_e32 v[81:82], v43
	v_cvt_f64_f32_e32 v[109:110], v44
	;; [unrolled: 1-line block ×4, first 2 shown]
	s_wait_loadcnt 0xc
	v_cvt_f64_f32_e32 v[115:116], v47
	v_cvt_f64_f32_e32 v[117:118], v48
	;; [unrolled: 1-line block ×4, first 2 shown]
	v_fma_f64 v[43:44], -v[95:96], v[41:42], v[83:84]
	v_fma_f64 v[45:46], v[91:92], v[41:42], v[85:86]
	v_fma_f64 v[47:48], -v[99:100], v[41:42], v[87:88]
	v_fma_f64 v[49:50], v[97:98], v[41:42], v[89:90]
	v_fma_f64 v[75:76], -v[103:104], v[41:42], v[75:76]
	v_fma_f64 v[77:78], v[101:102], v[41:42], v[77:78]
	v_fma_f64 v[79:80], -v[107:108], v[41:42], v[79:80]
	v_fma_f64 v[83:84], v[105:106], v[41:42], v[39:40]
	global_load_b128 v[39:42], v[93:94], off offset:48
	s_wait_loadcnt 0xb
	v_cvt_f64_f32_e32 v[93:94], v56
	v_cvt_f64_f32_e32 v[95:96], v57
	;; [unrolled: 1-line block ×3, first 2 shown]
	v_fma_f64 v[85:86], v[81:82], v[51:52], v[43:44]
	v_fma_f64 v[87:88], v[109:110], v[51:52], v[45:46]
	;; [unrolled: 1-line block ×8, first 2 shown]
	s_clause 0x1
	global_load_b128 v[43:46], v[11:12], off offset:24576
	global_load_b128 v[47:50], v[11:12], off offset:24592
	v_cvt_f64_f32_e32 v[83:84], v55
	v_lshlrev_b32_e32 v55, 2, v10
	s_delay_alu instid0(VALU_DEP_1)
	v_ashrrev_i32_e32 v56, 31, v55
	s_wait_loadcnt 0xc
	v_cvt_f64_f32_e32 v[99:100], v59
	v_cvt_f64_f32_e32 v[101:102], v60
	;; [unrolled: 1-line block ×4, first 2 shown]
	v_fma_f64 v[57:58], -v[109:110], v[53:54], v[85:86]
	v_fma_f64 v[59:60], v[81:82], v[53:54], v[87:88]
	v_fma_f64 v[61:62], -v[113:114], v[53:54], v[89:90]
	v_fma_f64 v[81:82], v[111:112], v[53:54], v[91:92]
	;; [unrolled: 2-line block ×4, first 2 shown]
	v_lshlrev_b64_e32 v[51:52], 4, v[55:56]
	s_delay_alu instid0(VALU_DEP_1) | instskip(SKIP_1) | instid1(VALU_DEP_2)
	v_add_co_u32 v87, vcc_lo, s4, v51
	s_wait_alu 0xfffd
	v_add_co_ci_u32_e64 v88, null, s5, v52, vcc_lo
	v_cmp_ge_i32_e32 vcc_lo, v9, v34
	global_load_b128 v[51:54], v[87:88], off
	s_wait_alu 0xfffe
	s_or_b32 s7, vcc_lo, s7
	s_wait_loadcnt 0xc
	v_fma_f64 v[89:90], v[83:84], v[63:64], v[57:58]
	v_fma_f64 v[91:92], v[93:94], v[63:64], v[59:60]
	;; [unrolled: 1-line block ×8, first 2 shown]
	s_clause 0x1
	global_load_b128 v[55:58], v[11:12], off offset:24608
	global_load_b128 v[59:62], v[11:12], off offset:24624
	s_wait_loadcnt 0xd
	v_cvt_f64_f32_e32 v[85:86], v67
	v_cvt_f64_f32_e32 v[109:110], v68
	;; [unrolled: 1-line block ×4, first 2 shown]
	s_wait_loadcnt 0xc
	v_cvt_f64_f32_e32 v[115:116], v71
	v_cvt_f64_f32_e32 v[117:118], v72
	;; [unrolled: 1-line block ×4, first 2 shown]
	v_fma_f64 v[67:68], -v[93:94], v[65:66], v[89:90]
	v_fma_f64 v[69:70], v[83:84], v[65:66], v[91:92]
	v_fma_f64 v[71:72], -v[97:98], v[65:66], v[107:108]
	v_fma_f64 v[73:74], v[95:96], v[65:66], v[81:82]
	;; [unrolled: 2-line block ×4, first 2 shown]
	global_load_b128 v[63:66], v[87:88], off offset:16
	s_wait_loadcnt 0xc
	v_fma_f64 v[83:84], v[85:86], v[13:14], v[67:68]
	v_fma_f64 v[89:90], v[109:110], v[13:14], v[69:70]
	;; [unrolled: 1-line block ×8, first 2 shown]
	s_clause 0x1
	global_load_b128 v[67:70], v[11:12], off offset:24640
	global_load_b128 v[71:74], v[11:12], off offset:24656
	s_wait_loadcnt 0xd
	v_cvt_f64_f32_e32 v[81:82], v17
	v_cvt_f64_f32_e32 v[95:96], v18
	;; [unrolled: 1-line block ×4, first 2 shown]
	s_wait_loadcnt 0xc
	v_cvt_f64_f32_e32 v[101:102], v30
	v_cvt_f64_f32_e32 v[103:104], v31
	;; [unrolled: 1-line block ×4, first 2 shown]
	v_fma_f64 v[17:18], -v[109:110], v[15:16], v[83:84]
	v_fma_f64 v[19:20], v[85:86], v[15:16], v[89:90]
	v_fma_f64 v[30:31], -v[113:114], v[15:16], v[91:92]
	v_fma_f64 v[32:33], v[111:112], v[15:16], v[93:94]
	;; [unrolled: 2-line block ×4, first 2 shown]
	global_load_b128 v[13:16], v[87:88], off offset:32
	s_wait_loadcnt 0xc
	v_fma_f64 v[85:86], v[81:82], v[22:23], v[17:18]
	v_fma_f64 v[89:90], v[95:96], v[22:23], v[19:20]
	;; [unrolled: 1-line block ×8, first 2 shown]
	s_clause 0x1
	global_load_b128 v[17:20], v[11:12], off offset:24672
	global_load_b128 v[30:33], v[11:12], off offset:24688
	v_add_co_u32 v11, s2, 0x8000, v11
	s_wait_alu 0xf1ff
	v_add_co_ci_u32_e64 v12, null, 0, v12, s2
	s_wait_loadcnt 0xd
	v_cvt_f64_f32_e32 v[83:84], v26
	v_cvt_f64_f32_e32 v[26:27], v27
	;; [unrolled: 1-line block ×4, first 2 shown]
	s_wait_loadcnt 0xc
	v_cvt_f64_f32_e32 v[111:112], v35
	v_cvt_f64_f32_e32 v[113:114], v36
	v_cvt_f64_f32_e32 v[115:116], v37
	v_cvt_f64_f32_e32 v[117:118], v38
	global_load_b128 v[35:38], v[87:88], off offset:48
	v_fma_f64 v[85:86], -v[95:96], v[24:25], v[85:86]
	v_fma_f64 v[81:82], v[81:82], v[24:25], v[89:90]
	v_fma_f64 v[89:90], -v[99:100], v[24:25], v[91:92]
	v_fma_f64 v[91:92], v[97:98], v[24:25], v[93:94]
	v_fma_f64 v[75:76], -v[103:104], v[24:25], v[75:76]
	v_fma_f64 v[77:78], v[101:102], v[24:25], v[77:78]
	v_fma_f64 v[79:80], -v[107:108], v[24:25], v[79:80]
	v_fma_f64 v[22:23], v[105:106], v[24:25], v[22:23]
	s_wait_loadcnt 0xc
	v_fma_f64 v[24:25], v[83:84], v[39:40], v[85:86]
	v_fma_f64 v[81:82], v[26:27], v[39:40], v[81:82]
	v_fma_f64 v[85:86], v[109:110], v[39:40], v[89:90]
	v_fma_f64 v[87:88], v[28:29], v[39:40], v[91:92]
	v_fma_f64 v[75:76], v[111:112], v[39:40], v[75:76]
	v_fma_f64 v[77:78], v[113:114], v[39:40], v[77:78]
	v_fma_f64 v[79:80], v[115:116], v[39:40], v[79:80]
	v_fma_f64 v[22:23], v[117:118], v[39:40], v[22:23]
	s_wait_loadcnt 0xb
	v_cvt_f64_f32_e32 v[39:40], v43
	v_cvt_f64_f32_e32 v[43:44], v44
	v_cvt_f64_f32_e32 v[89:90], v45
	v_cvt_f64_f32_e32 v[45:46], v46
	s_wait_loadcnt 0xa
	v_cvt_f64_f32_e32 v[91:92], v47
	v_cvt_f64_f32_e32 v[47:48], v48
	v_cvt_f64_f32_e32 v[93:94], v49
	v_cvt_f64_f32_e32 v[49:50], v50
	v_fma_f64 v[24:25], -v[26:27], v[41:42], v[24:25]
	v_fma_f64 v[26:27], v[83:84], v[41:42], v[81:82]
	v_fma_f64 v[28:29], -v[28:29], v[41:42], v[85:86]
	v_fma_f64 v[81:82], v[109:110], v[41:42], v[87:88]
	v_fma_f64 v[75:76], -v[113:114], v[41:42], v[75:76]
	v_fma_f64 v[77:78], v[111:112], v[41:42], v[77:78]
	v_fma_f64 v[79:80], -v[117:118], v[41:42], v[79:80]
	v_fma_f64 v[22:23], v[115:116], v[41:42], v[22:23]
	s_wait_loadcnt 0x9
	v_fma_f64 v[24:25], v[39:40], v[51:52], v[24:25]
	v_fma_f64 v[26:27], v[43:44], v[51:52], v[26:27]
	v_fma_f64 v[28:29], v[89:90], v[51:52], v[28:29]
	v_fma_f64 v[41:42], v[45:46], v[51:52], v[81:82]
	v_fma_f64 v[75:76], v[91:92], v[51:52], v[75:76]
	v_fma_f64 v[77:78], v[47:48], v[51:52], v[77:78]
	v_fma_f64 v[79:80], v[93:94], v[51:52], v[79:80]
	v_fma_f64 v[22:23], v[49:50], v[51:52], v[22:23]
	s_wait_loadcnt 0x8
	v_cvt_f64_f32_e32 v[51:52], v55
	v_cvt_f64_f32_e32 v[55:56], v56
	v_cvt_f64_f32_e32 v[81:82], v57
	v_cvt_f64_f32_e32 v[57:58], v58
	s_wait_loadcnt 0x7
	v_cvt_f64_f32_e32 v[83:84], v59
	v_cvt_f64_f32_e32 v[59:60], v60
	v_cvt_f64_f32_e32 v[85:86], v61
	v_cvt_f64_f32_e32 v[61:62], v62
	;; [unrolled: 27-line block ×4, first 2 shown]
	v_fma_f64 v[19:20], -v[49:50], v[15:16], v[24:25]
	v_fma_f64 v[24:25], v[47:48], v[15:16], v[26:27]
	v_fma_f64 v[26:27], -v[63:64], v[15:16], v[28:29]
	v_fma_f64 v[28:29], v[53:54], v[15:16], v[39:40]
	;; [unrolled: 2-line block ×4, first 2 shown]
	s_wait_loadcnt 0x0
	v_fma_f64 v[15:16], v[22:23], v[35:36], v[19:20]
	v_fma_f64 v[24:25], v[17:18], v[35:36], v[24:25]
	;; [unrolled: 1-line block ×8, first 2 shown]
	v_fma_f64 v[19:20], -v[17:18], v[37:38], v[15:16]
	v_fma_f64 v[13:14], v[22:23], v[37:38], v[24:25]
	v_fma_f64 v[24:25], -v[55:56], v[37:38], v[26:27]
	v_fma_f64 v[17:18], v[51:52], v[37:38], v[28:29]
	;; [unrolled: 2-line block ×4, first 2 shown]
	s_wait_alu 0xfffe
	s_and_not1_b32 exec_lo, exec_lo, s7
	s_cbranch_execnz .LBB169_31
; %bb.32:
	s_or_b32 exec_lo, exec_lo, s7
.LBB169_33:
	s_wait_alu 0xfffe
	s_or_b32 exec_lo, exec_lo, s6
.LBB169_34:
	s_wait_alu 0xfffe
	s_or_b32 exec_lo, exec_lo, s3
.LBB169_35:
	v_mbcnt_lo_u32_b32 v42, -1, 0
	s_delay_alu instid0(VALU_DEP_1) | instskip(NEXT) | instid1(VALU_DEP_1)
	v_or_b32_e32 v9, 32, v42
	v_cmp_gt_i32_e32 vcc_lo, 32, v9
	s_wait_alu 0xfffd
	v_cndmask_b32_e32 v9, v42, v9, vcc_lo
	s_delay_alu instid0(VALU_DEP_1)
	v_lshlrev_b32_e32 v41, 2, v9
	ds_bpermute_b32 v11, v41, v13
	ds_bpermute_b32 v12, v41, v14
	;; [unrolled: 1-line block ×6, first 2 shown]
	s_wait_dscnt 0x4
	v_add_f64_e32 v[11:12], v[13:14], v[11:12]
	s_wait_dscnt 0x2
	v_add_f64_e32 v[13:14], v[24:25], v[30:31]
	;; [unrolled: 2-line block ×3, first 2 shown]
	v_xor_b32_e32 v26, 16, v42
	s_delay_alu instid0(VALU_DEP_1)
	v_cmp_gt_i32_e32 vcc_lo, 32, v26
	s_wait_alu 0xfffd
	v_cndmask_b32_e32 v26, v42, v26, vcc_lo
	ds_bpermute_b32 v9, v41, v19
	ds_bpermute_b32 v10, v41, v20
	;; [unrolled: 1-line block ×10, first 2 shown]
	s_wait_dscnt 0x8
	v_add_f64_e32 v[9:10], v[19:20], v[9:10]
	s_wait_dscnt 0x6
	v_add_f64_e32 v[17:18], v[17:18], v[32:33]
	;; [unrolled: 2-line block ×5, first 2 shown]
	v_lshlrev_b32_e32 v41, 2, v26
	ds_bpermute_b32 v28, v41, v11
	ds_bpermute_b32 v29, v41, v12
	ds_bpermute_b32 v30, v41, v13
	ds_bpermute_b32 v31, v41, v14
	ds_bpermute_b32 v36, v41, v24
	ds_bpermute_b32 v37, v41, v25
	s_wait_dscnt 0x4
	v_add_f64_e32 v[11:12], v[11:12], v[28:29]
	s_wait_dscnt 0x2
	v_add_f64_e32 v[13:14], v[13:14], v[30:31]
	ds_bpermute_b32 v26, v41, v9
	ds_bpermute_b32 v27, v41, v10
	;; [unrolled: 1-line block ×10, first 2 shown]
	s_wait_dscnt 0xa
	v_add_f64_e32 v[24:25], v[24:25], v[36:37]
	s_wait_dscnt 0x8
	v_add_f64_e32 v[9:10], v[9:10], v[26:27]
	v_xor_b32_e32 v26, 8, v42
	s_wait_dscnt 0x6
	v_add_f64_e32 v[17:18], v[17:18], v[32:33]
	s_wait_dscnt 0x4
	v_add_f64_e32 v[19:20], v[19:20], v[34:35]
	;; [unrolled: 2-line block ×3, first 2 shown]
	v_cmp_gt_i32_e32 vcc_lo, 32, v26
	s_wait_dscnt 0x0
	v_add_f64_e32 v[22:23], v[22:23], v[40:41]
	s_wait_alu 0xfffd
	v_cndmask_b32_e32 v26, v42, v26, vcc_lo
	s_delay_alu instid0(VALU_DEP_1)
	v_lshlrev_b32_e32 v41, 2, v26
	ds_bpermute_b32 v28, v41, v11
	ds_bpermute_b32 v29, v41, v12
	;; [unrolled: 1-line block ×16, first 2 shown]
	s_wait_dscnt 0xe
	v_add_f64_e32 v[11:12], v[11:12], v[28:29]
	s_wait_dscnt 0xc
	v_add_f64_e32 v[13:14], v[13:14], v[30:31]
	;; [unrolled: 2-line block ×4, first 2 shown]
	v_xor_b32_e32 v26, 4, v42
	s_wait_dscnt 0x6
	v_add_f64_e32 v[17:18], v[17:18], v[32:33]
	s_wait_dscnt 0x4
	v_add_f64_e32 v[19:20], v[19:20], v[34:35]
	;; [unrolled: 2-line block ×3, first 2 shown]
	v_cmp_gt_i32_e32 vcc_lo, 32, v26
	s_wait_dscnt 0x0
	v_add_f64_e32 v[22:23], v[22:23], v[40:41]
	s_wait_alu 0xfffd
	v_cndmask_b32_e32 v26, v42, v26, vcc_lo
	s_delay_alu instid0(VALU_DEP_1)
	v_lshlrev_b32_e32 v41, 2, v26
	ds_bpermute_b32 v28, v41, v11
	ds_bpermute_b32 v29, v41, v12
	;; [unrolled: 1-line block ×16, first 2 shown]
	s_wait_dscnt 0xe
	v_add_f64_e32 v[11:12], v[11:12], v[28:29]
	s_wait_dscnt 0xc
	v_add_f64_e32 v[13:14], v[13:14], v[30:31]
	;; [unrolled: 2-line block ×3, first 2 shown]
	v_add_f64_e32 v[26:27], v[24:25], v[36:37]
	s_wait_dscnt 0x6
	v_add_f64_e32 v[17:18], v[17:18], v[32:33]
	v_xor_b32_e32 v24, 2, v42
	s_wait_dscnt 0x4
	v_add_f64_e32 v[19:20], v[19:20], v[34:35]
	s_wait_dscnt 0x2
	v_add_f64_e32 v[15:16], v[15:16], v[38:39]
	s_wait_dscnt 0x0
	v_add_f64_e32 v[22:23], v[22:23], v[40:41]
	v_cmp_gt_i32_e32 vcc_lo, 32, v24
	s_wait_alu 0xfffd
	v_cndmask_b32_e32 v24, v42, v24, vcc_lo
	s_delay_alu instid0(VALU_DEP_1)
	v_lshlrev_b32_e32 v41, 2, v24
	ds_bpermute_b32 v28, v41, v11
	ds_bpermute_b32 v29, v41, v12
	;; [unrolled: 1-line block ×16, first 2 shown]
	s_wait_dscnt 0xe
	v_add_f64_e32 v[28:29], v[11:12], v[28:29]
	s_wait_dscnt 0xc
	v_add_f64_e32 v[11:12], v[13:14], v[30:31]
	;; [unrolled: 2-line block ×8, first 2 shown]
	v_xor_b32_e32 v22, 1, v42
	s_delay_alu instid0(VALU_DEP_1) | instskip(SKIP_3) | instid1(VALU_DEP_2)
	v_cmp_gt_i32_e32 vcc_lo, 32, v22
	s_wait_alu 0xfffd
	v_cndmask_b32_e32 v22, v42, v22, vcc_lo
	v_cmp_eq_u32_e32 vcc_lo, 63, v0
	v_lshlrev_b32_e32 v35, 2, v22
	ds_bpermute_b32 v40, v35, v28
	ds_bpermute_b32 v41, v35, v29
	;; [unrolled: 1-line block ×16, first 2 shown]
	s_and_b32 exec_lo, exec_lo, vcc_lo
	s_cbranch_execz .LBB169_8
; %bb.36:
	s_wait_dscnt 0xe
	v_add_f64_e32 v[28:29], v[28:29], v[40:41]
	s_wait_dscnt 0x8
	v_add_f64_e32 v[24:25], v[24:25], v[38:39]
	;; [unrolled: 2-line block ×4, first 2 shown]
	v_add_f64_e32 v[9:10], v[9:10], v[22:23]
	v_add_f64_e32 v[11:12], v[11:12], v[26:27]
	;; [unrolled: 1-line block ×4, first 2 shown]
	v_cmp_eq_f64_e32 vcc_lo, 0, v[1:2]
	v_cmp_eq_f64_e64 s2, 0, v[3:4]
	s_load_b64 s[0:1], s[0:1], 0x60
	v_lshlrev_b32_e32 v21, 2, v21
	v_mul_f64_e64 v[13:14], v[28:29], -v[7:8]
	v_mul_f64_e32 v[15:16], v[5:6], v[28:29]
	v_mul_f64_e64 v[28:29], v[24:25], -v[7:8]
	v_mul_f64_e32 v[24:25], v[5:6], v[24:25]
	;; [unrolled: 2-line block ×4, first 2 shown]
	s_and_b32 s2, vcc_lo, s2
	v_fma_f64 v[17:18], v[5:6], v[9:10], v[13:14]
	v_fma_f64 v[19:20], v[7:8], v[9:10], v[15:16]
	;; [unrolled: 1-line block ×8, first 2 shown]
	s_wait_alu 0xfffe
	s_and_saveexec_b32 s3, s2
	s_wait_alu 0xfffe
	s_xor_b32 s2, exec_lo, s3
	s_cbranch_execz .LBB169_38
; %bb.37:
	v_ashrrev_i32_e32 v22, 31, v21
	s_delay_alu instid0(VALU_DEP_1) | instskip(SKIP_1) | instid1(VALU_DEP_1)
	v_lshlrev_b64_e32 v[0:1], 4, v[21:22]
                                        ; implicit-def: $vgpr21
	s_wait_kmcnt 0x0
	v_add_co_u32 v0, vcc_lo, s0, v0
	s_wait_alu 0xfffd
	s_delay_alu instid0(VALU_DEP_2)
	v_add_co_ci_u32_e64 v1, null, s1, v1, vcc_lo
	s_clause 0x3
	global_store_b128 v[0:1], v[17:20], off
	global_store_b128 v[0:1], v[13:16], off offset:16
	global_store_b128 v[0:1], v[9:12], off offset:32
	;; [unrolled: 1-line block ×3, first 2 shown]
                                        ; implicit-def: $vgpr3_vgpr4
                                        ; implicit-def: $vgpr17_vgpr18
                                        ; implicit-def: $vgpr13_vgpr14
                                        ; implicit-def: $vgpr9_vgpr10
                                        ; implicit-def: $vgpr5_vgpr6
.LBB169_38:
	s_wait_alu 0xfffe
	s_and_not1_saveexec_b32 s2, s2
	s_cbranch_execz .LBB169_8
; %bb.39:
	v_ashrrev_i32_e32 v22, 31, v21
	s_delay_alu instid0(VALU_DEP_1) | instskip(SKIP_1) | instid1(VALU_DEP_1)
	v_lshlrev_b64_e32 v[21:22], 4, v[21:22]
	s_wait_kmcnt 0x0
	v_add_co_u32 v37, vcc_lo, s0, v21
	s_wait_alu 0xfffd
	s_delay_alu instid0(VALU_DEP_2)
	v_add_co_ci_u32_e64 v38, null, s1, v22, vcc_lo
	s_clause 0x3
	global_load_b128 v[21:24], v[37:38], off
	global_load_b128 v[25:28], v[37:38], off offset:16
	global_load_b128 v[29:32], v[37:38], off offset:32
	;; [unrolled: 1-line block ×3, first 2 shown]
	s_wait_loadcnt 0x3
	v_fma_f64 v[17:18], v[1:2], v[21:22], v[17:18]
	v_fma_f64 v[19:20], v[3:4], v[21:22], v[19:20]
	s_wait_loadcnt 0x2
	v_fma_f64 v[13:14], v[1:2], v[25:26], v[13:14]
	v_fma_f64 v[15:16], v[3:4], v[25:26], v[15:16]
	;; [unrolled: 3-line block ×4, first 2 shown]
	v_fma_f64 v[5:6], -v[3:4], v[23:24], v[17:18]
	v_fma_f64 v[7:8], v[1:2], v[23:24], v[19:20]
	v_fma_f64 v[9:10], -v[3:4], v[27:28], v[13:14]
	v_fma_f64 v[11:12], v[1:2], v[27:28], v[15:16]
	;; [unrolled: 2-line block ×4, first 2 shown]
	s_clause 0x3
	global_store_b128 v[37:38], v[5:8], off
	global_store_b128 v[37:38], v[9:12], off offset:16
	global_store_b128 v[37:38], v[13:16], off offset:32
	;; [unrolled: 1-line block ×3, first 2 shown]
	s_nop 0
	s_sendmsg sendmsg(MSG_DEALLOC_VGPRS)
	s_endpgm
	.section	.rodata,"a",@progbits
	.p2align	6, 0x0
	.amdhsa_kernel _ZN9rocsparseL18bsrxmvn_4x4_kernelILj128ELj64E21rocsparse_complex_numIdEiiS1_IfES2_S2_EEvT3_20rocsparse_direction_NS_24const_host_device_scalarIT1_EES4_PKS4_PKT2_SD_SA_PKT4_PKT5_S8_PT6_21rocsparse_index_base_b
		.amdhsa_group_segment_fixed_size 0
		.amdhsa_private_segment_fixed_size 0
		.amdhsa_kernarg_size 112
		.amdhsa_user_sgpr_count 2
		.amdhsa_user_sgpr_dispatch_ptr 0
		.amdhsa_user_sgpr_queue_ptr 0
		.amdhsa_user_sgpr_kernarg_segment_ptr 1
		.amdhsa_user_sgpr_dispatch_id 0
		.amdhsa_user_sgpr_private_segment_size 0
		.amdhsa_wavefront_size32 1
		.amdhsa_uses_dynamic_stack 0
		.amdhsa_enable_private_segment 0
		.amdhsa_system_sgpr_workgroup_id_x 1
		.amdhsa_system_sgpr_workgroup_id_y 0
		.amdhsa_system_sgpr_workgroup_id_z 0
		.amdhsa_system_sgpr_workgroup_info 0
		.amdhsa_system_vgpr_workitem_id 0
		.amdhsa_next_free_vgpr 129
		.amdhsa_next_free_sgpr 14
		.amdhsa_reserve_vcc 1
		.amdhsa_float_round_mode_32 0
		.amdhsa_float_round_mode_16_64 0
		.amdhsa_float_denorm_mode_32 3
		.amdhsa_float_denorm_mode_16_64 3
		.amdhsa_fp16_overflow 0
		.amdhsa_workgroup_processor_mode 1
		.amdhsa_memory_ordered 1
		.amdhsa_forward_progress 1
		.amdhsa_inst_pref_size 99
		.amdhsa_round_robin_scheduling 0
		.amdhsa_exception_fp_ieee_invalid_op 0
		.amdhsa_exception_fp_denorm_src 0
		.amdhsa_exception_fp_ieee_div_zero 0
		.amdhsa_exception_fp_ieee_overflow 0
		.amdhsa_exception_fp_ieee_underflow 0
		.amdhsa_exception_fp_ieee_inexact 0
		.amdhsa_exception_int_div_zero 0
	.end_amdhsa_kernel
	.section	.text._ZN9rocsparseL18bsrxmvn_4x4_kernelILj128ELj64E21rocsparse_complex_numIdEiiS1_IfES2_S2_EEvT3_20rocsparse_direction_NS_24const_host_device_scalarIT1_EES4_PKS4_PKT2_SD_SA_PKT4_PKT5_S8_PT6_21rocsparse_index_base_b,"axG",@progbits,_ZN9rocsparseL18bsrxmvn_4x4_kernelILj128ELj64E21rocsparse_complex_numIdEiiS1_IfES2_S2_EEvT3_20rocsparse_direction_NS_24const_host_device_scalarIT1_EES4_PKS4_PKT2_SD_SA_PKT4_PKT5_S8_PT6_21rocsparse_index_base_b,comdat
.Lfunc_end169:
	.size	_ZN9rocsparseL18bsrxmvn_4x4_kernelILj128ELj64E21rocsparse_complex_numIdEiiS1_IfES2_S2_EEvT3_20rocsparse_direction_NS_24const_host_device_scalarIT1_EES4_PKS4_PKT2_SD_SA_PKT4_PKT5_S8_PT6_21rocsparse_index_base_b, .Lfunc_end169-_ZN9rocsparseL18bsrxmvn_4x4_kernelILj128ELj64E21rocsparse_complex_numIdEiiS1_IfES2_S2_EEvT3_20rocsparse_direction_NS_24const_host_device_scalarIT1_EES4_PKS4_PKT2_SD_SA_PKT4_PKT5_S8_PT6_21rocsparse_index_base_b
                                        ; -- End function
	.set _ZN9rocsparseL18bsrxmvn_4x4_kernelILj128ELj64E21rocsparse_complex_numIdEiiS1_IfES2_S2_EEvT3_20rocsparse_direction_NS_24const_host_device_scalarIT1_EES4_PKS4_PKT2_SD_SA_PKT4_PKT5_S8_PT6_21rocsparse_index_base_b.num_vgpr, 129
	.set _ZN9rocsparseL18bsrxmvn_4x4_kernelILj128ELj64E21rocsparse_complex_numIdEiiS1_IfES2_S2_EEvT3_20rocsparse_direction_NS_24const_host_device_scalarIT1_EES4_PKS4_PKT2_SD_SA_PKT4_PKT5_S8_PT6_21rocsparse_index_base_b.num_agpr, 0
	.set _ZN9rocsparseL18bsrxmvn_4x4_kernelILj128ELj64E21rocsparse_complex_numIdEiiS1_IfES2_S2_EEvT3_20rocsparse_direction_NS_24const_host_device_scalarIT1_EES4_PKS4_PKT2_SD_SA_PKT4_PKT5_S8_PT6_21rocsparse_index_base_b.numbered_sgpr, 14
	.set _ZN9rocsparseL18bsrxmvn_4x4_kernelILj128ELj64E21rocsparse_complex_numIdEiiS1_IfES2_S2_EEvT3_20rocsparse_direction_NS_24const_host_device_scalarIT1_EES4_PKS4_PKT2_SD_SA_PKT4_PKT5_S8_PT6_21rocsparse_index_base_b.num_named_barrier, 0
	.set _ZN9rocsparseL18bsrxmvn_4x4_kernelILj128ELj64E21rocsparse_complex_numIdEiiS1_IfES2_S2_EEvT3_20rocsparse_direction_NS_24const_host_device_scalarIT1_EES4_PKS4_PKT2_SD_SA_PKT4_PKT5_S8_PT6_21rocsparse_index_base_b.private_seg_size, 0
	.set _ZN9rocsparseL18bsrxmvn_4x4_kernelILj128ELj64E21rocsparse_complex_numIdEiiS1_IfES2_S2_EEvT3_20rocsparse_direction_NS_24const_host_device_scalarIT1_EES4_PKS4_PKT2_SD_SA_PKT4_PKT5_S8_PT6_21rocsparse_index_base_b.uses_vcc, 1
	.set _ZN9rocsparseL18bsrxmvn_4x4_kernelILj128ELj64E21rocsparse_complex_numIdEiiS1_IfES2_S2_EEvT3_20rocsparse_direction_NS_24const_host_device_scalarIT1_EES4_PKS4_PKT2_SD_SA_PKT4_PKT5_S8_PT6_21rocsparse_index_base_b.uses_flat_scratch, 0
	.set _ZN9rocsparseL18bsrxmvn_4x4_kernelILj128ELj64E21rocsparse_complex_numIdEiiS1_IfES2_S2_EEvT3_20rocsparse_direction_NS_24const_host_device_scalarIT1_EES4_PKS4_PKT2_SD_SA_PKT4_PKT5_S8_PT6_21rocsparse_index_base_b.has_dyn_sized_stack, 0
	.set _ZN9rocsparseL18bsrxmvn_4x4_kernelILj128ELj64E21rocsparse_complex_numIdEiiS1_IfES2_S2_EEvT3_20rocsparse_direction_NS_24const_host_device_scalarIT1_EES4_PKS4_PKT2_SD_SA_PKT4_PKT5_S8_PT6_21rocsparse_index_base_b.has_recursion, 0
	.set _ZN9rocsparseL18bsrxmvn_4x4_kernelILj128ELj64E21rocsparse_complex_numIdEiiS1_IfES2_S2_EEvT3_20rocsparse_direction_NS_24const_host_device_scalarIT1_EES4_PKS4_PKT2_SD_SA_PKT4_PKT5_S8_PT6_21rocsparse_index_base_b.has_indirect_call, 0
	.section	.AMDGPU.csdata,"",@progbits
; Kernel info:
; codeLenInByte = 12560
; TotalNumSgprs: 16
; NumVgprs: 129
; ScratchSize: 0
; MemoryBound: 0
; FloatMode: 240
; IeeeMode: 1
; LDSByteSize: 0 bytes/workgroup (compile time only)
; SGPRBlocks: 0
; VGPRBlocks: 16
; NumSGPRsForWavesPerEU: 16
; NumVGPRsForWavesPerEU: 129
; Occupancy: 10
; WaveLimiterHint : 1
; COMPUTE_PGM_RSRC2:SCRATCH_EN: 0
; COMPUTE_PGM_RSRC2:USER_SGPR: 2
; COMPUTE_PGM_RSRC2:TRAP_HANDLER: 0
; COMPUTE_PGM_RSRC2:TGID_X_EN: 1
; COMPUTE_PGM_RSRC2:TGID_Y_EN: 0
; COMPUTE_PGM_RSRC2:TGID_Z_EN: 0
; COMPUTE_PGM_RSRC2:TIDIG_COMP_CNT: 0
	.section	.text._ZN9rocsparseL18bsrxmvn_4x4_kernelILj128ELj4E21rocsparse_complex_numIdEliS1_IfES2_S2_EEvT3_20rocsparse_direction_NS_24const_host_device_scalarIT1_EES4_PKS4_PKT2_SD_SA_PKT4_PKT5_S8_PT6_21rocsparse_index_base_b,"axG",@progbits,_ZN9rocsparseL18bsrxmvn_4x4_kernelILj128ELj4E21rocsparse_complex_numIdEliS1_IfES2_S2_EEvT3_20rocsparse_direction_NS_24const_host_device_scalarIT1_EES4_PKS4_PKT2_SD_SA_PKT4_PKT5_S8_PT6_21rocsparse_index_base_b,comdat
	.globl	_ZN9rocsparseL18bsrxmvn_4x4_kernelILj128ELj4E21rocsparse_complex_numIdEliS1_IfES2_S2_EEvT3_20rocsparse_direction_NS_24const_host_device_scalarIT1_EES4_PKS4_PKT2_SD_SA_PKT4_PKT5_S8_PT6_21rocsparse_index_base_b ; -- Begin function _ZN9rocsparseL18bsrxmvn_4x4_kernelILj128ELj4E21rocsparse_complex_numIdEliS1_IfES2_S2_EEvT3_20rocsparse_direction_NS_24const_host_device_scalarIT1_EES4_PKS4_PKT2_SD_SA_PKT4_PKT5_S8_PT6_21rocsparse_index_base_b
	.p2align	8
	.type	_ZN9rocsparseL18bsrxmvn_4x4_kernelILj128ELj4E21rocsparse_complex_numIdEliS1_IfES2_S2_EEvT3_20rocsparse_direction_NS_24const_host_device_scalarIT1_EES4_PKS4_PKT2_SD_SA_PKT4_PKT5_S8_PT6_21rocsparse_index_base_b,@function
_ZN9rocsparseL18bsrxmvn_4x4_kernelILj128ELj4E21rocsparse_complex_numIdEliS1_IfES2_S2_EEvT3_20rocsparse_direction_NS_24const_host_device_scalarIT1_EES4_PKS4_PKT2_SD_SA_PKT4_PKT5_S8_PT6_21rocsparse_index_base_b: ; @_ZN9rocsparseL18bsrxmvn_4x4_kernelILj128ELj4E21rocsparse_complex_numIdEliS1_IfES2_S2_EEvT3_20rocsparse_direction_NS_24const_host_device_scalarIT1_EES4_PKS4_PKT2_SD_SA_PKT4_PKT5_S8_PT6_21rocsparse_index_base_b
; %bb.0:
	s_clause 0x1
	s_load_b64 s[12:13], s[0:1], 0x68
	s_load_b64 s[2:3], s[0:1], 0x8
	s_add_nc_u64 s[4:5], s[0:1], 8
	s_load_b64 s[6:7], s[0:1], 0x50
	s_wait_kmcnt 0x0
	s_bitcmp1_b32 s13, 0
	s_cselect_b32 s2, s4, s2
	s_cselect_b32 s3, s5, s3
	s_delay_alu instid0(SALU_CYCLE_1)
	v_dual_mov_b32 v1, s2 :: v_dual_mov_b32 v2, s3
	s_add_nc_u64 s[2:3], s[0:1], 0x50
	s_wait_alu 0xfffe
	s_cselect_b32 s2, s2, s6
	s_cselect_b32 s3, s3, s7
	flat_load_b128 v[5:8], v[1:2]
	s_wait_alu 0xfffe
	v_dual_mov_b32 v1, s2 :: v_dual_mov_b32 v2, s3
	flat_load_b128 v[1:4], v[1:2]
	s_wait_loadcnt_dscnt 0x101
	v_cmp_eq_f64_e32 vcc_lo, 0, v[5:6]
	v_cmp_eq_f64_e64 s2, 0, v[7:8]
	s_and_b32 s4, vcc_lo, s2
	s_mov_b32 s2, -1
	s_and_saveexec_b32 s3, s4
	s_cbranch_execz .LBB170_2
; %bb.1:
	s_wait_loadcnt_dscnt 0x0
	v_cmp_neq_f64_e32 vcc_lo, 1.0, v[1:2]
	v_cmp_neq_f64_e64 s2, 0, v[3:4]
	s_wait_alu 0xfffe
	s_or_b32 s2, vcc_lo, s2
	s_wait_alu 0xfffe
	s_or_not1_b32 s2, s2, exec_lo
.LBB170_2:
	s_wait_alu 0xfffe
	s_or_b32 exec_lo, exec_lo, s3
	s_and_saveexec_b32 s3, s2
	s_cbranch_execz .LBB170_8
; %bb.3:
	s_clause 0x1
	s_load_b64 s[4:5], s[0:1], 0x20
	s_load_b64 s[2:3], s[0:1], 0x0
	v_lshrrev_b32_e32 v9, 2, v0
	s_delay_alu instid0(VALU_DEP_1)
	v_lshl_or_b32 v21, ttmp9, 5, v9
	s_wait_kmcnt 0x0
	s_cmp_lg_u64 s[4:5], 0
	s_cbranch_scc0 .LBB170_9
; %bb.4:
	s_load_b32 s6, s[0:1], 0x18
	s_mov_b32 s7, 0
                                        ; implicit-def: $vgpr9
	s_wait_kmcnt 0x0
	v_cmp_gt_i32_e32 vcc_lo, s6, v21
	s_mov_b32 s6, 0
	s_and_saveexec_b32 s8, vcc_lo
	s_delay_alu instid0(SALU_CYCLE_1)
	s_xor_b32 s8, exec_lo, s8
	s_cbranch_execz .LBB170_6
; %bb.5:
	v_ashrrev_i32_e32 v22, 31, v21
	s_mov_b32 s6, exec_lo
	s_delay_alu instid0(VALU_DEP_1) | instskip(NEXT) | instid1(VALU_DEP_1)
	v_lshlrev_b64_e32 v[9:10], 2, v[21:22]
	v_add_co_u32 v9, vcc_lo, s4, v9
	s_delay_alu instid0(VALU_DEP_1)
	v_add_co_ci_u32_e64 v10, null, s5, v10, vcc_lo
	global_load_b32 v9, v[9:10], off
	s_wait_loadcnt 0x0
	v_subrev_nc_u32_e32 v9, s12, v9
.LBB170_6:
	s_or_b32 exec_lo, exec_lo, s8
	s_delay_alu instid0(SALU_CYCLE_1)
	s_and_b32 vcc_lo, exec_lo, s7
	s_wait_alu 0xfffe
	s_cbranch_vccz .LBB170_10
.LBB170_7:
	v_cmp_gt_i32_e32 vcc_lo, s2, v21
	s_and_not1_b32 s2, s6, exec_lo
	s_and_b32 s4, vcc_lo, exec_lo
	s_wait_alu 0xfffe
	s_or_b32 s6, s2, s4
	s_wait_alu 0xfffe
	s_and_b32 exec_lo, exec_lo, s6
	s_cbranch_execnz .LBB170_11
.LBB170_8:
	s_nop 0
	s_sendmsg sendmsg(MSG_DEALLOC_VGPRS)
	s_endpgm
.LBB170_9:
	s_mov_b32 s6, 0
                                        ; implicit-def: $vgpr9
	s_cbranch_execnz .LBB170_7
.LBB170_10:
	v_mov_b32_e32 v21, v9
	s_and_b32 exec_lo, exec_lo, s6
	s_cbranch_execz .LBB170_8
.LBB170_11:
	s_load_b256 s[4:11], s[0:1], 0x28
	s_delay_alu instid0(VALU_DEP_1) | instskip(SKIP_1) | instid1(VALU_DEP_2)
	v_ashrrev_i32_e32 v22, 31, v21
	v_and_b32_e32 v0, 3, v0
	v_lshlrev_b64_e32 v[9:10], 3, v[21:22]
	s_wait_kmcnt 0x0
	s_delay_alu instid0(VALU_DEP_1) | instskip(SKIP_1) | instid1(VALU_DEP_2)
	v_add_co_u32 v11, vcc_lo, s4, v9
	s_wait_alu 0xfffd
	v_add_co_ci_u32_e64 v12, null, s5, v10, vcc_lo
	v_add_co_u32 v9, vcc_lo, s6, v9
	s_wait_alu 0xfffd
	v_add_co_ci_u32_e64 v10, null, s7, v10, vcc_lo
	;; [unrolled: 3-line block ×3, first 2 shown]
	global_load_b64 v[40:41], v[11:12], off
	s_cmp_eq_u64 s[6:7], 0
	s_load_b64 s[4:5], s[0:1], 0x48
	s_cselect_b32 vcc_lo, -1, 0
	s_cmp_eq_u32 s3, 1
	s_wait_alu 0xfffe
	v_dual_cndmask_b32 v10, v10, v14 :: v_dual_cndmask_b32 v9, v9, v13
	global_load_b64 v[9:10], v[9:10], off
	s_wait_loadcnt 0x1
	v_sub_co_u32 v11, vcc_lo, v40, s12
	s_wait_alu 0xfffd
	v_subrev_co_ci_u32_e64 v12, null, 0, v41, vcc_lo
	s_delay_alu instid0(VALU_DEP_2) | instskip(SKIP_1) | instid1(VALU_DEP_2)
	v_add_co_u32 v17, vcc_lo, v11, v0
	s_wait_alu 0xfffd
	v_add_co_ci_u32_e64 v18, null, 0, v12, vcc_lo
	s_wait_loadcnt 0x0
	v_sub_co_u32 v19, vcc_lo, v9, s12
	s_wait_alu 0xfffd
	v_subrev_co_ci_u32_e64 v20, null, 0, v10, vcc_lo
	v_lshlrev_b64_e32 v[9:10], 7, v[17:18]
	s_delay_alu instid0(VALU_DEP_2) | instskip(NEXT) | instid1(VALU_DEP_2)
	v_cmp_lt_i64_e64 s2, v[17:18], v[19:20]
	v_add_co_u32 v22, vcc_lo, s10, v9
	s_wait_alu 0xfffd
	s_delay_alu instid0(VALU_DEP_3)
	v_add_co_ci_u32_e64 v23, null, s11, v10, vcc_lo
	s_cbranch_scc1 .LBB170_23
; %bb.12:
	v_mov_b32_e32 v24, 0
	v_mov_b32_e32 v28, 0
	;; [unrolled: 1-line block ×3, first 2 shown]
	v_dual_mov_b32 v32, 0 :: v_dual_mov_b32 v25, 0
	v_dual_mov_b32 v30, 0 :: v_dual_mov_b32 v29, 0
	v_dual_mov_b32 v38, 0 :: v_dual_mov_b32 v35, 0
	v_dual_mov_b32 v36, 0 :: v_dual_mov_b32 v33, 0
	v_dual_mov_b32 v26, 0 :: v_dual_mov_b32 v31, 0
	v_mov_b32_e32 v39, 0
	v_mov_b32_e32 v37, 0
	;; [unrolled: 1-line block ×3, first 2 shown]
	s_and_saveexec_b32 s6, s2
	s_cbranch_execz .LBB170_22
; %bb.13:
	v_or_b32_e32 v9, 4, v0
	v_not_b32_e32 v13, v40
	v_not_b32_e32 v11, v41
	v_mov_b32_e32 v38, 0
	v_mov_b32_e32 v30, 0
	v_sub_co_u32 v9, s3, v9, s12
	s_wait_alu 0xf1ff
	v_sub_co_ci_u32_e64 v10, null, 0, 0, s3
	v_sub_co_u32 v14, s3, s12, v0
	s_delay_alu instid0(VALU_DEP_3) | instskip(SKIP_1) | instid1(VALU_DEP_3)
	v_add_co_u32 v9, vcc_lo, v9, v40
	s_wait_alu 0xfffd
	v_add_co_ci_u32_e64 v10, null, v10, v41, vcc_lo
	s_wait_alu 0xf1ff
	v_sub_co_ci_u32_e64 v15, null, 0, 0, s3
	v_add_co_u32 v13, s3, v14, v13
	s_delay_alu instid0(VALU_DEP_3)
	v_cmp_gt_i64_e32 vcc_lo, v[9:10], v[19:20]
	v_mov_b32_e32 v26, 0
	s_wait_alu 0xf1ff
	v_add_co_ci_u32_e64 v11, null, v15, v11, s3
	v_mov_b32_e32 v32, 0
	s_wait_alu 0xfffd
	v_dual_mov_b32 v36, 0 :: v_dual_cndmask_b32 v9, v19, v9
	v_dual_cndmask_b32 v10, v20, v10 :: v_dual_mov_b32 v33, 0
	v_dual_mov_b32 v39, 0 :: v_dual_mov_b32 v28, 0
	s_delay_alu instid0(VALU_DEP_3)
	v_add_co_u32 v9, vcc_lo, v13, v9
	v_dual_mov_b32 v34, 0 :: v_dual_mov_b32 v31, 0
	v_mov_b32_e32 v24, 0
	v_dual_mov_b32 v12, 0 :: v_dual_mov_b32 v27, 0
	v_mov_b32_e32 v37, 0
	v_mov_b32_e32 v35, 0
	s_wait_alu 0xfffd
	v_add_co_ci_u32_e64 v10, null, v11, v10, vcc_lo
	v_and_b32_e32 v11, 12, v9
	v_mov_b32_e32 v29, 0
	v_mov_b32_e32 v25, 0
	v_dual_mov_b32 v45, v23 :: v_dual_mov_b32 v44, v22
	v_dual_mov_b32 v43, v18 :: v_dual_mov_b32 v42, v17
	s_mov_b32 s7, exec_lo
	v_cmpx_ne_u64_e32 12, v[11:12]
	s_cbranch_execz .LBB170_17
; %bb.14:
	v_lshrrev_b32_e32 v13, 2, v9
	v_lshlrev_b64_e32 v[11:12], 2, v[17:18]
	v_dual_mov_b32 v43, v18 :: v_dual_mov_b32 v30, 0
	v_dual_mov_b32 v31, 0 :: v_dual_mov_b32 v28, 0
	s_delay_alu instid0(VALU_DEP_4) | instskip(SKIP_2) | instid1(VALU_DEP_3)
	v_dual_mov_b32 v24, 0 :: v_dual_add_nc_u32 v13, 1, v13
	v_dual_mov_b32 v29, 0 :: v_dual_mov_b32 v38, 0
	v_add_co_u32 v11, vcc_lo, s8, v11
	v_dual_mov_b32 v34, 0 :: v_dual_and_b32 v13, 3, v13
	v_dual_mov_b32 v39, 0 :: v_dual_mov_b32 v36, 0
	v_dual_mov_b32 v35, 0 :: v_dual_mov_b32 v32, 0
	s_delay_alu instid0(VALU_DEP_3)
	v_sub_co_u32 v13, s3, 0, v13
	v_dual_mov_b32 v37, 0 :: v_dual_mov_b32 v26, 0
	v_mov_b32_e32 v45, v23
	v_dual_mov_b32 v25, 0 :: v_dual_mov_b32 v42, v17
	s_wait_alu 0xfffd
	v_add_co_ci_u32_e64 v12, null, s9, v12, vcc_lo
	s_wait_alu 0xf1ff
	v_sub_co_ci_u32_e64 v14, null, 0, 0, s3
	v_dual_mov_b32 v33, 0 :: v_dual_mov_b32 v44, v22
	v_mov_b32_e32 v27, 0
	s_mov_b32 s10, 0
.LBB170_15:                             ; =>This Inner Loop Header: Depth=1
	global_load_b32 v15, v[11:12], off
	s_clause 0x7
	global_load_b128 v[46:49], v[44:45], off
	global_load_b128 v[50:53], v[44:45], off offset:32
	global_load_b128 v[54:57], v[44:45], off offset:64
	;; [unrolled: 1-line block ×7, first 2 shown]
	v_add_co_u32 v11, s3, v11, 16
	s_wait_alu 0xf1ff
	v_add_co_ci_u32_e64 v12, null, 0, v12, s3
	s_wait_loadcnt 0x8
	v_subrev_nc_u32_e32 v15, s12, v15
	s_wait_loadcnt 0x6
	v_cvt_f64_f32_e32 v[94:95], v50
	v_cvt_f64_f32_e32 v[50:51], v51
	s_wait_loadcnt 0x5
	v_cvt_f64_f32_e32 v[96:97], v54
	v_lshlrev_b32_e32 v15, 2, v15
	v_cvt_f64_f32_e32 v[54:55], v55
	s_wait_loadcnt 0x3
	v_cvt_f64_f32_e32 v[98:99], v62
	v_cvt_f64_f32_e32 v[62:63], v63
	;; [unrolled: 1-line block ×3, first 2 shown]
	v_ashrrev_i32_e32 v16, 31, v15
	v_cvt_f64_f32_e32 v[52:53], v53
	v_cvt_f64_f32_e32 v[102:103], v56
	;; [unrolled: 1-line block ×4, first 2 shown]
	v_lshlrev_b64_e32 v[15:16], 4, v[15:16]
	v_cvt_f64_f32_e32 v[64:65], v65
	s_wait_kmcnt 0x0
	s_delay_alu instid0(VALU_DEP_2) | instskip(SKIP_1) | instid1(VALU_DEP_3)
	v_add_co_u32 v15, vcc_lo, s4, v15
	s_wait_alu 0xfffd
	v_add_co_ci_u32_e64 v16, null, s5, v16, vcc_lo
	v_add_co_u32 v44, vcc_lo, 0x200, v44
	s_wait_alu 0xfffd
	v_add_co_ci_u32_e64 v45, null, 0, v45, vcc_lo
	s_clause 0x3
	global_load_b128 v[78:81], v[15:16], off
	global_load_b128 v[82:85], v[15:16], off offset:16
	global_load_b128 v[86:89], v[15:16], off offset:32
	global_load_b128 v[90:93], v[15:16], off offset:48
	v_cvt_f64_f32_e32 v[15:16], v46
	v_cvt_f64_f32_e32 v[46:47], v47
	v_add_co_u32 v13, vcc_lo, v13, 1
	s_wait_alu 0xfffd
	v_add_co_ci_u32_e64 v14, null, 0, v14, vcc_lo
	v_add_co_u32 v42, vcc_lo, v42, 4
	s_wait_alu 0xfffd
	v_add_co_ci_u32_e64 v43, null, 0, v43, vcc_lo
	s_delay_alu instid0(VALU_DEP_3)
	v_cmp_eq_u64_e32 vcc_lo, 0, v[13:14]
	s_wait_alu 0xfffe
	s_or_b32 s10, vcc_lo, s10
	s_wait_loadcnt 0x3
	v_fma_f64 v[30:31], v[15:16], v[78:79], v[30:31]
	v_fma_f64 v[24:25], v[46:47], v[78:79], v[24:25]
	;; [unrolled: 1-line block ×8, first 2 shown]
	v_cvt_f64_f32_e32 v[78:79], v48
	v_cvt_f64_f32_e32 v[48:49], v49
	v_fma_f64 v[30:31], -v[46:47], v[80:81], v[30:31]
	v_fma_f64 v[15:16], v[15:16], v[80:81], v[24:25]
	v_fma_f64 v[24:25], -v[50:51], v[80:81], v[38:39]
	v_fma_f64 v[28:29], v[94:95], v[80:81], v[28:29]
	;; [unrolled: 2-line block ×4, first 2 shown]
	v_cvt_f64_f32_e32 v[38:39], v66
	v_cvt_f64_f32_e32 v[46:47], v67
	;; [unrolled: 1-line block ×10, first 2 shown]
	s_wait_loadcnt 0x2
	v_fma_f64 v[30:31], v[78:79], v[82:83], v[30:31]
	v_fma_f64 v[15:16], v[48:49], v[82:83], v[15:16]
	;; [unrolled: 1-line block ×8, first 2 shown]
	v_fma_f64 v[30:31], -v[48:49], v[84:85], v[30:31]
	v_fma_f64 v[15:16], v[78:79], v[84:85], v[15:16]
	v_fma_f64 v[24:25], -v[52:53], v[84:85], v[24:25]
	v_fma_f64 v[28:29], v[100:101], v[84:85], v[28:29]
	;; [unrolled: 2-line block ×4, first 2 shown]
	v_cvt_f64_f32_e32 v[48:49], v68
	v_cvt_f64_f32_e32 v[52:53], v69
	;; [unrolled: 1-line block ×6, first 2 shown]
	s_wait_loadcnt 0x1
	v_fma_f64 v[30:31], v[38:39], v[86:87], v[30:31]
	v_fma_f64 v[15:16], v[46:47], v[86:87], v[15:16]
	;; [unrolled: 1-line block ×8, first 2 shown]
	v_fma_f64 v[30:31], -v[46:47], v[88:89], v[30:31]
	v_fma_f64 v[15:16], v[38:39], v[88:89], v[15:16]
	v_fma_f64 v[24:25], -v[54:55], v[88:89], v[24:25]
	v_fma_f64 v[28:29], v[50:51], v[88:89], v[28:29]
	;; [unrolled: 2-line block ×4, first 2 shown]
	s_wait_loadcnt 0x0
	v_fma_f64 v[30:31], v[48:49], v[90:91], v[30:31]
	v_fma_f64 v[15:16], v[52:53], v[90:91], v[15:16]
	;; [unrolled: 1-line block ×8, first 2 shown]
	v_fma_f64 v[30:31], -v[52:53], v[92:93], v[30:31]
	v_fma_f64 v[24:25], v[48:49], v[92:93], v[15:16]
	v_fma_f64 v[38:39], -v[60:61], v[92:93], v[38:39]
	v_fma_f64 v[28:29], v[56:57], v[92:93], v[28:29]
	;; [unrolled: 2-line block ×4, first 2 shown]
	s_wait_alu 0xfffe
	s_and_not1_b32 exec_lo, exec_lo, s10
	s_cbranch_execnz .LBB170_15
; %bb.16:
	s_or_b32 exec_lo, exec_lo, s10
.LBB170_17:
	s_wait_alu 0xfffe
	s_or_b32 exec_lo, exec_lo, s7
	s_delay_alu instid0(SALU_CYCLE_1)
	s_mov_b32 s7, exec_lo
	v_cmpx_lt_u64_e32 11, v[9:10]
	s_cbranch_execz .LBB170_21
; %bb.18:
	v_lshlrev_b64_e32 v[9:10], 2, v[42:43]
	s_mov_b32 s10, 0
	s_delay_alu instid0(VALU_DEP_1) | instskip(SKIP_1) | instid1(VALU_DEP_2)
	v_add_co_u32 v9, vcc_lo, s8, v9
	s_wait_alu 0xfffd
	v_add_co_ci_u32_e64 v10, null, s9, v10, vcc_lo
	s_delay_alu instid0(VALU_DEP_2) | instskip(SKIP_1) | instid1(VALU_DEP_2)
	v_add_co_u32 v46, vcc_lo, v9, 32
	s_wait_alu 0xfffd
	v_add_co_ci_u32_e64 v47, null, 0, v10, vcc_lo
.LBB170_19:                             ; =>This Inner Loop Header: Depth=1
	global_load_b32 v48, v[46:47], off offset:-32
	s_clause 0x1
	global_load_b128 v[13:16], v[44:45], off
	global_load_b128 v[9:12], v[44:45], off offset:32
	global_load_b32 v105, v[46:47], off offset:-16
	s_clause 0x1
	global_load_b128 v[49:52], v[44:45], off offset:64
	global_load_b128 v[53:56], v[44:45], off offset:96
	s_clause 0x1
	global_load_b32 v133, v[46:47], off
	global_load_b32 v134, v[46:47], off offset:16
	v_add_co_u32 v46, s3, v46, 64
	s_wait_alu 0xf1ff
	v_add_co_ci_u32_e64 v47, null, 0, v47, s3
	s_wait_loadcnt 0x7
	v_subrev_nc_u32_e32 v48, s12, v48
	s_wait_loadcnt 0x6
	v_cvt_f64_f32_e32 v[109:110], v13
	v_cvt_f64_f32_e32 v[13:14], v14
	s_wait_loadcnt 0x4
	v_subrev_nc_u32_e32 v105, s12, v105
	v_cvt_f64_f32_e32 v[111:112], v9
	v_lshlrev_b32_e32 v57, 2, v48
	v_cvt_f64_f32_e32 v[9:10], v10
	s_wait_loadcnt 0x3
	v_cvt_f64_f32_e32 v[48:49], v49
	v_lshlrev_b32_e32 v105, 2, v105
	v_cvt_f64_f32_e32 v[113:114], v50
	v_ashrrev_i32_e32 v58, 31, v57
	s_wait_loadcnt 0x2
	v_cvt_f64_f32_e32 v[115:116], v53
	v_cvt_f64_f32_e32 v[53:54], v54
	v_ashrrev_i32_e32 v106, 31, v105
	v_cvt_f64_f32_e32 v[119:120], v16
	v_lshlrev_b64_e32 v[57:58], 4, v[57:58]
	v_cvt_f64_f32_e32 v[121:122], v11
	v_cvt_f64_f32_e32 v[123:124], v12
	v_lshlrev_b64_e32 v[105:106], 4, v[105:106]
	v_cvt_f64_f32_e32 v[50:51], v51
	v_cvt_f64_f32_e32 v[125:126], v52
	s_wait_kmcnt 0x0
	v_add_co_u32 v85, vcc_lo, s4, v57
	s_wait_alu 0xfffd
	v_add_co_ci_u32_e64 v86, null, s5, v58, vcc_lo
	v_add_co_u32 v117, vcc_lo, s4, v105
	s_wait_alu 0xfffd
	v_add_co_ci_u32_e64 v118, null, s5, v106, vcc_lo
	s_clause 0x1
	global_load_b128 v[57:60], v[85:86], off
	global_load_b128 v[61:64], v[85:86], off offset:16
	s_clause 0x3
	global_load_b128 v[65:68], v[44:45], off offset:16
	global_load_b128 v[69:72], v[44:45], off offset:48
	;; [unrolled: 1-line block ×4, first 2 shown]
	s_clause 0x1
	global_load_b128 v[81:84], v[85:86], off offset:32
	global_load_b128 v[85:88], v[85:86], off offset:48
	s_clause 0x3
	global_load_b128 v[89:92], v[44:45], off offset:512
	global_load_b128 v[93:96], v[44:45], off offset:544
	;; [unrolled: 1-line block ×4, first 2 shown]
	v_cvt_f64_f32_e32 v[127:128], v55
	v_cvt_f64_f32_e32 v[55:56], v56
	global_load_b128 v[105:108], v[117:118], off
	s_wait_loadcnt 0xc
	v_fma_f64 v[30:31], v[109:110], v[57:58], v[30:31]
	v_fma_f64 v[24:25], v[13:14], v[57:58], v[24:25]
	;; [unrolled: 1-line block ×8, first 2 shown]
	v_cvt_f64_f32_e32 v[57:58], v15
	s_wait_loadcnt 0x8
	v_cvt_f64_f32_e32 v[129:130], v73
	v_cvt_f64_f32_e32 v[73:74], v74
	s_wait_loadcnt 0x7
	v_cvt_f64_f32_e32 v[131:132], v77
	v_cvt_f64_f32_e32 v[77:78], v78
	v_fma_f64 v[13:14], -v[13:14], v[59:60], v[30:31]
	v_fma_f64 v[15:16], v[109:110], v[59:60], v[24:25]
	v_fma_f64 v[24:25], -v[9:10], v[59:60], v[38:39]
	v_fma_f64 v[28:29], v[111:112], v[59:60], v[28:29]
	;; [unrolled: 2-line block ×4, first 2 shown]
	global_load_b128 v[9:12], v[117:118], off offset:16
	v_cvt_f64_f32_e32 v[113:114], v65
	v_cvt_f64_f32_e32 v[65:66], v66
	;; [unrolled: 1-line block ×4, first 2 shown]
	v_fma_f64 v[36:37], v[57:58], v[61:62], v[13:14]
	v_fma_f64 v[38:39], v[119:120], v[61:62], v[15:16]
	;; [unrolled: 1-line block ×8, first 2 shown]
	s_clause 0x3
	global_load_b128 v[13:16], v[44:45], off offset:528
	global_load_b128 v[24:27], v[44:45], off offset:560
	;; [unrolled: 1-line block ×4, first 2 shown]
	v_fma_f64 v[119:120], -v[119:120], v[63:64], v[36:37]
	v_fma_f64 v[57:58], v[57:58], v[63:64], v[38:39]
	v_fma_f64 v[48:49], -v[123:124], v[63:64], v[48:49]
	v_fma_f64 v[52:53], v[121:122], v[63:64], v[52:53]
	;; [unrolled: 2-line block ×4, first 2 shown]
	global_load_b128 v[36:39], v[117:118], off offset:32
	v_cvt_f64_f32_e32 v[109:110], v68
	v_cvt_f64_f32_e32 v[111:112], v71
	;; [unrolled: 1-line block ×5, first 2 shown]
	s_wait_loadcnt 0xa
	v_cvt_f64_f32_e32 v[123:124], v89
	v_cvt_f64_f32_e32 v[89:90], v90
	s_wait_loadcnt 0x9
	v_cvt_f64_f32_e32 v[125:126], v93
	v_cvt_f64_f32_e32 v[93:94], v94
	;; [unrolled: 3-line block ×3, first 2 shown]
	v_fma_f64 v[63:64], v[113:114], v[81:82], v[119:120]
	v_fma_f64 v[56:57], v[65:66], v[81:82], v[57:58]
	;; [unrolled: 1-line block ×8, first 2 shown]
	v_cvt_f64_f32_e32 v[81:82], v67
	v_cvt_f64_f32_e32 v[119:120], v75
	;; [unrolled: 1-line block ×3, first 2 shown]
	v_fma_f64 v[62:63], -v[65:66], v[83:84], v[63:64]
	v_fma_f64 v[56:57], v[113:114], v[83:84], v[56:57]
	v_fma_f64 v[64:65], -v[69:70], v[83:84], v[48:49]
	v_fma_f64 v[52:53], v[115:116], v[83:84], v[52:53]
	;; [unrolled: 2-line block ×4, first 2 shown]
	global_load_b128 v[48:51], v[117:118], off offset:48
	v_subrev_nc_u32_e32 v70, s12, v133
	s_wait_loadcnt 0x8
	v_cvt_f64_f32_e32 v[129:130], v101
	v_cvt_f64_f32_e32 v[101:102], v102
	s_delay_alu instid0(VALU_DEP_3)
	v_lshlrev_b32_e32 v70, 2, v70
	v_fma_f64 v[68:69], v[81:82], v[85:86], v[62:63]
	v_fma_f64 v[73:74], v[109:110], v[85:86], v[56:57]
	;; [unrolled: 1-line block ×8, first 2 shown]
	s_clause 0x3
	global_load_b128 v[52:55], v[44:45], off offset:1024
	global_load_b128 v[56:59], v[44:45], off offset:1056
	global_load_b128 v[60:63], v[44:45], off offset:1088
	global_load_b128 v[64:67], v[44:45], off offset:1120
	v_fma_f64 v[109:110], -v[109:110], v[87:88], v[68:69]
	v_fma_f64 v[73:74], v[81:82], v[87:88], v[73:74]
	v_fma_f64 v[77:78], -v[71:72], v[87:88], v[77:78]
	v_fma_f64 v[81:82], v[111:112], v[87:88], v[83:84]
	;; [unrolled: 2-line block ×4, first 2 shown]
	v_ashrrev_i32_e32 v71, 31, v70
	v_cvt_f64_f32_e32 v[113:114], v95
	v_cvt_f64_f32_e32 v[95:96], v96
	;; [unrolled: 1-line block ×4, first 2 shown]
	v_lshlrev_b64_e32 v[68:69], 4, v[70:71]
	v_cvt_f64_f32_e32 v[117:118], v103
	v_cvt_f64_f32_e32 v[103:104], v104
	s_delay_alu instid0(VALU_DEP_3) | instskip(SKIP_1) | instid1(VALU_DEP_4)
	v_add_co_u32 v111, vcc_lo, s4, v68
	s_wait_alu 0xfffd
	v_add_co_ci_u32_e64 v112, null, s5, v69, vcc_lo
	global_load_b128 v[68:71], v[111:112], off
	s_wait_loadcnt 0xc
	v_fma_f64 v[87:88], v[123:124], v[105:106], v[109:110]
	v_fma_f64 v[72:73], v[89:90], v[105:106], v[73:74]
	;; [unrolled: 1-line block ×8, first 2 shown]
	v_cvt_f64_f32_e32 v[105:106], v91
	v_cvt_f64_f32_e32 v[109:110], v92
	v_fma_f64 v[87:88], -v[89:90], v[107:108], v[87:88]
	v_fma_f64 v[89:90], v[123:124], v[107:108], v[72:73]
	v_fma_f64 v[76:77], -v[93:94], v[107:108], v[77:78]
	v_fma_f64 v[81:82], v[125:126], v[107:108], v[81:82]
	;; [unrolled: 2-line block ×4, first 2 shown]
	global_load_b128 v[72:75], v[111:112], off offset:16
	s_wait_loadcnt 0xc
	v_fma_f64 v[93:94], v[105:106], v[9:10], v[87:88]
	v_fma_f64 v[97:98], v[109:110], v[9:10], v[89:90]
	;; [unrolled: 1-line block ×8, first 2 shown]
	s_clause 0x3
	global_load_b128 v[76:79], v[44:45], off offset:1040
	global_load_b128 v[80:83], v[44:45], off offset:1072
	;; [unrolled: 1-line block ×4, first 2 shown]
	s_wait_loadcnt 0xf
	v_cvt_f64_f32_e32 v[125:126], v13
	v_cvt_f64_f32_e32 v[13:14], v14
	s_wait_loadcnt 0xe
	v_cvt_f64_f32_e32 v[127:128], v24
	v_cvt_f64_f32_e32 v[24:25], v25
	;; [unrolled: 3-line block ×4, first 2 shown]
	v_fma_f64 v[92:93], -v[109:110], v[11:12], v[93:94]
	v_fma_f64 v[97:98], v[105:106], v[11:12], v[97:98]
	v_fma_f64 v[94:95], -v[95:96], v[11:12], v[101:102]
	v_fma_f64 v[101:102], v[113:114], v[11:12], v[107:108]
	;; [unrolled: 2-line block ×4, first 2 shown]
	global_load_b128 v[9:12], v[111:112], off offset:32
	v_cvt_f64_f32_e32 v[109:110], v16
	v_cvt_f64_f32_e32 v[113:114], v26
	;; [unrolled: 1-line block ×7, first 2 shown]
	s_wait_loadcnt 0xc
	v_fma_f64 v[92:93], v[125:126], v[36:37], v[92:93]
	v_fma_f64 v[96:97], v[13:14], v[36:37], v[97:98]
	;; [unrolled: 1-line block ×8, first 2 shown]
	v_cvt_f64_f32_e32 v[107:108], v15
	v_fma_f64 v[26:27], -v[13:14], v[38:39], v[92:93]
	v_fma_f64 v[30:31], v[125:126], v[38:39], v[96:97]
	v_fma_f64 v[24:25], -v[24:25], v[38:39], v[94:95]
	v_fma_f64 v[34:35], v[127:128], v[38:39], v[101:102]
	;; [unrolled: 2-line block ×4, first 2 shown]
	global_load_b128 v[13:16], v[111:112], off offset:48
	v_subrev_nc_u32_e32 v106, s12, v134
	s_delay_alu instid0(VALU_DEP_1)
	v_lshlrev_b32_e32 v106, 2, v106
	s_wait_loadcnt 0xc
	v_fma_f64 v[94:95], v[107:108], v[48:49], v[26:27]
	v_fma_f64 v[96:97], v[109:110], v[48:49], v[30:31]
	;; [unrolled: 1-line block ×8, first 2 shown]
	s_clause 0x3
	global_load_b128 v[24:27], v[44:45], off offset:1536
	global_load_b128 v[28:31], v[44:45], off offset:1568
	;; [unrolled: 1-line block ×4, first 2 shown]
	s_wait_loadcnt 0xf
	v_cvt_f64_f32_e32 v[111:112], v52
	v_cvt_f64_f32_e32 v[52:53], v53
	s_wait_loadcnt 0xe
	v_cvt_f64_f32_e32 v[125:126], v56
	v_cvt_f64_f32_e32 v[56:57], v57
	;; [unrolled: 3-line block ×4, first 2 shown]
	v_cvt_f64_f32_e32 v[131:132], v67
	v_fma_f64 v[94:95], -v[109:110], v[50:51], v[94:95]
	v_fma_f64 v[96:97], v[107:108], v[50:51], v[96:97]
	v_fma_f64 v[98:99], -v[115:116], v[50:51], v[98:99]
	v_fma_f64 v[100:101], v[113:114], v[50:51], v[100:101]
	;; [unrolled: 2-line block ×4, first 2 shown]
	v_ashrrev_i32_e32 v107, 31, v106
	v_cvt_f64_f32_e32 v[113:114], v55
	v_cvt_f64_f32_e32 v[115:116], v58
	;; [unrolled: 1-line block ×4, first 2 shown]
	v_lshlrev_b64_e32 v[48:49], 4, v[106:107]
	v_cvt_f64_f32_e32 v[121:122], v63
	v_cvt_f64_f32_e32 v[123:124], v66
	s_delay_alu instid0(VALU_DEP_3) | instskip(SKIP_1) | instid1(VALU_DEP_4)
	v_add_co_u32 v106, vcc_lo, s4, v48
	s_wait_alu 0xfffd
	v_add_co_ci_u32_e64 v107, null, s5, v49, vcc_lo
	v_add_co_u32 v42, vcc_lo, v42, 16
	s_wait_alu 0xfffd
	v_add_co_ci_u32_e64 v43, null, 0, v43, vcc_lo
	global_load_b128 v[48:51], v[106:107], off
	s_wait_loadcnt 0xc
	v_fma_f64 v[94:95], v[111:112], v[68:69], v[94:95]
	v_fma_f64 v[96:97], v[52:53], v[68:69], v[96:97]
	;; [unrolled: 1-line block ×8, first 2 shown]
	v_cvt_f64_f32_e32 v[108:109], v54
	v_fma_f64 v[58:59], -v[52:53], v[70:71], v[94:95]
	v_fma_f64 v[62:63], v[111:112], v[70:71], v[96:97]
	v_fma_f64 v[56:57], -v[56:57], v[70:71], v[98:99]
	v_fma_f64 v[66:67], v[125:126], v[70:71], v[100:101]
	;; [unrolled: 2-line block ×4, first 2 shown]
	global_load_b128 v[52:55], v[106:107], off offset:16
	s_wait_loadcnt 0xc
	v_fma_f64 v[94:95], v[108:109], v[72:73], v[58:59]
	v_fma_f64 v[96:97], v[113:114], v[72:73], v[62:63]
	;; [unrolled: 1-line block ×8, first 2 shown]
	s_clause 0x3
	global_load_b128 v[56:59], v[44:45], off offset:1552
	global_load_b128 v[60:63], v[44:45], off offset:1584
	;; [unrolled: 1-line block ×4, first 2 shown]
	v_add_co_u32 v44, vcc_lo, 0x800, v44
	s_wait_alu 0xfffd
	v_add_co_ci_u32_e64 v45, null, 0, v45, vcc_lo
	v_cmp_ge_i64_e32 vcc_lo, v[42:43], v[19:20]
	s_wait_loadcnt 0xf
	v_cvt_f64_f32_e32 v[110:111], v76
	v_cvt_f64_f32_e32 v[76:77], v77
	s_wait_loadcnt 0xe
	v_cvt_f64_f32_e32 v[125:126], v80
	v_cvt_f64_f32_e32 v[80:81], v81
	;; [unrolled: 3-line block ×4, first 2 shown]
	s_wait_alu 0xfffe
	s_or_b32 s10, vcc_lo, s10
	v_fma_f64 v[94:95], -v[113:114], v[74:75], v[94:95]
	v_fma_f64 v[96:97], v[108:109], v[74:75], v[96:97]
	v_fma_f64 v[98:99], -v[117:118], v[74:75], v[98:99]
	v_fma_f64 v[100:101], v[115:116], v[74:75], v[100:101]
	;; [unrolled: 2-line block ×4, first 2 shown]
	global_load_b128 v[72:75], v[106:107], off offset:32
	v_cvt_f64_f32_e32 v[112:113], v82
	v_cvt_f64_f32_e32 v[82:83], v83
	;; [unrolled: 1-line block ×6, first 2 shown]
	s_wait_loadcnt 0xc
	v_fma_f64 v[94:95], v[110:111], v[9:10], v[94:95]
	v_fma_f64 v[96:97], v[76:77], v[9:10], v[96:97]
	;; [unrolled: 1-line block ×8, first 2 shown]
	v_cvt_f64_f32_e32 v[108:109], v78
	v_cvt_f64_f32_e32 v[78:79], v79
	v_fma_f64 v[76:77], -v[76:77], v[11:12], v[94:95]
	v_fma_f64 v[94:95], v[110:111], v[11:12], v[96:97]
	v_fma_f64 v[80:81], -v[80:81], v[11:12], v[98:99]
	v_fma_f64 v[96:97], v[125:126], v[11:12], v[100:101]
	;; [unrolled: 2-line block ×4, first 2 shown]
	global_load_b128 v[9:12], v[106:107], off offset:48
	s_wait_loadcnt 0xc
	v_fma_f64 v[76:77], v[108:109], v[13:14], v[76:77]
	v_fma_f64 v[94:95], v[78:79], v[13:14], v[94:95]
	;; [unrolled: 1-line block ×8, first 2 shown]
	s_wait_loadcnt 0xb
	v_cvt_f64_f32_e32 v[98:99], v24
	v_cvt_f64_f32_e32 v[24:25], v25
	s_wait_loadcnt 0xa
	v_cvt_f64_f32_e32 v[100:101], v28
	v_cvt_f64_f32_e32 v[28:29], v29
	;; [unrolled: 3-line block ×4, first 2 shown]
	v_fma_f64 v[76:77], -v[78:79], v[15:16], v[76:77]
	v_fma_f64 v[78:79], v[108:109], v[15:16], v[94:95]
	v_fma_f64 v[80:81], -v[82:83], v[15:16], v[80:81]
	v_fma_f64 v[82:83], v[112:113], v[15:16], v[96:97]
	;; [unrolled: 2-line block ×4, first 2 shown]
	v_cvt_f64_f32_e32 v[90:91], v34
	v_cvt_f64_f32_e32 v[34:35], v35
	;; [unrolled: 1-line block ×4, first 2 shown]
	s_wait_loadcnt 0x7
	v_fma_f64 v[15:16], v[98:99], v[48:49], v[76:77]
	v_fma_f64 v[76:77], v[24:25], v[48:49], v[78:79]
	;; [unrolled: 1-line block ×8, first 2 shown]
	v_cvt_f64_f32_e32 v[48:49], v26
	v_cvt_f64_f32_e32 v[26:27], v27
	;; [unrolled: 1-line block ×4, first 2 shown]
	v_fma_f64 v[15:16], -v[24:25], v[50:51], v[15:16]
	v_fma_f64 v[24:25], v[98:99], v[50:51], v[76:77]
	v_fma_f64 v[28:29], -v[28:29], v[50:51], v[78:79]
	v_fma_f64 v[76:77], v[100:101], v[50:51], v[80:81]
	;; [unrolled: 2-line block ×4, first 2 shown]
	s_wait_loadcnt 0x6
	v_fma_f64 v[15:16], v[48:49], v[52:53], v[15:16]
	v_fma_f64 v[24:25], v[26:27], v[52:53], v[24:25]
	;; [unrolled: 1-line block ×8, first 2 shown]
	s_wait_loadcnt 0x5
	v_cvt_f64_f32_e32 v[52:53], v56
	v_cvt_f64_f32_e32 v[56:57], v57
	s_wait_loadcnt 0x4
	v_cvt_f64_f32_e32 v[78:79], v60
	v_cvt_f64_f32_e32 v[60:61], v61
	;; [unrolled: 3-line block ×4, first 2 shown]
	v_fma_f64 v[15:16], -v[26:27], v[54:55], v[15:16]
	v_fma_f64 v[24:25], v[48:49], v[54:55], v[24:25]
	v_fma_f64 v[26:27], -v[30:31], v[54:55], v[28:29]
	v_fma_f64 v[28:29], v[88:89], v[54:55], v[50:51]
	;; [unrolled: 2-line block ×4, first 2 shown]
	v_cvt_f64_f32_e32 v[36:37], v58
	v_cvt_f64_f32_e32 v[38:39], v59
	v_cvt_f64_f32_e32 v[48:49], v62
	v_cvt_f64_f32_e32 v[50:51], v63
	v_cvt_f64_f32_e32 v[54:55], v66
	v_cvt_f64_f32_e32 v[58:59], v67
	v_cvt_f64_f32_e32 v[62:63], v70
	v_cvt_f64_f32_e32 v[66:67], v71
	s_wait_loadcnt 0x1
	v_fma_f64 v[15:16], v[52:53], v[72:73], v[15:16]
	v_fma_f64 v[24:25], v[56:57], v[72:73], v[24:25]
	;; [unrolled: 1-line block ×8, first 2 shown]
	v_fma_f64 v[15:16], -v[56:57], v[74:75], v[15:16]
	v_fma_f64 v[24:25], v[52:53], v[74:75], v[24:25]
	v_fma_f64 v[26:27], -v[60:61], v[74:75], v[26:27]
	v_fma_f64 v[28:29], v[78:79], v[74:75], v[28:29]
	;; [unrolled: 2-line block ×4, first 2 shown]
	s_wait_loadcnt 0x0
	v_fma_f64 v[15:16], v[36:37], v[9:10], v[15:16]
	v_fma_f64 v[24:25], v[38:39], v[9:10], v[24:25]
	;; [unrolled: 1-line block ×8, first 2 shown]
	v_fma_f64 v[30:31], -v[38:39], v[11:12], v[15:16]
	v_fma_f64 v[24:25], v[36:37], v[11:12], v[24:25]
	v_fma_f64 v[38:39], -v[50:51], v[11:12], v[26:27]
	v_fma_f64 v[28:29], v[48:49], v[11:12], v[28:29]
	;; [unrolled: 2-line block ×4, first 2 shown]
	s_wait_alu 0xfffe
	s_and_not1_b32 exec_lo, exec_lo, s10
	s_cbranch_execnz .LBB170_19
; %bb.20:
	s_or_b32 exec_lo, exec_lo, s10
.LBB170_21:
	s_wait_alu 0xfffe
	s_or_b32 exec_lo, exec_lo, s7
.LBB170_22:
	s_wait_alu 0xfffe
	s_or_b32 exec_lo, exec_lo, s6
	s_cbranch_execz .LBB170_24
	s_branch .LBB170_35
.LBB170_23:
                                        ; implicit-def: $vgpr24_vgpr25
                                        ; implicit-def: $vgpr30_vgpr31
                                        ; implicit-def: $vgpr28_vgpr29
                                        ; implicit-def: $vgpr38_vgpr39
                                        ; implicit-def: $vgpr34_vgpr35
                                        ; implicit-def: $vgpr36_vgpr37
                                        ; implicit-def: $vgpr32_vgpr33
                                        ; implicit-def: $vgpr26_vgpr27
.LBB170_24:
	v_mov_b32_e32 v24, 0
	v_mov_b32_e32 v28, 0
	v_mov_b32_e32 v34, 0
	v_dual_mov_b32 v32, 0 :: v_dual_mov_b32 v25, 0
	v_dual_mov_b32 v30, 0 :: v_dual_mov_b32 v29, 0
	;; [unrolled: 1-line block ×5, first 2 shown]
	v_mov_b32_e32 v39, 0
	v_mov_b32_e32 v37, 0
	;; [unrolled: 1-line block ×3, first 2 shown]
	s_and_saveexec_b32 s3, s2
	s_cbranch_execz .LBB170_34
; %bb.25:
	v_or_b32_e32 v9, 4, v0
	v_not_b32_e32 v13, v40
	v_not_b32_e32 v11, v41
	v_mov_b32_e32 v34, 0
	v_mov_b32_e32 v28, 0
	v_sub_co_u32 v9, s2, v9, s12
	s_wait_alu 0xf1ff
	v_sub_co_ci_u32_e64 v10, null, 0, 0, s2
	v_sub_co_u32 v14, s2, s12, v0
	s_delay_alu instid0(VALU_DEP_3) | instskip(SKIP_1) | instid1(VALU_DEP_3)
	v_add_co_u32 v9, vcc_lo, v9, v40
	s_wait_alu 0xfffd
	v_add_co_ci_u32_e64 v10, null, v10, v41, vcc_lo
	s_wait_alu 0xf1ff
	v_sub_co_ci_u32_e64 v15, null, 0, 0, s2
	v_add_co_u32 v13, s2, v14, v13
	s_delay_alu instid0(VALU_DEP_3)
	v_cmp_gt_i64_e32 vcc_lo, v[9:10], v[19:20]
	v_mov_b32_e32 v12, 0
	s_wait_alu 0xf1ff
	v_add_co_ci_u32_e64 v11, null, v15, v11, s2
	v_mov_b32_e32 v26, 0
	s_wait_alu 0xfffd
	v_dual_mov_b32 v32, 0 :: v_dual_cndmask_b32 v9, v19, v9
	v_dual_cndmask_b32 v10, v20, v10 :: v_dual_mov_b32 v27, 0
	v_dual_mov_b32 v35, 0 :: v_dual_mov_b32 v38, 0
	s_delay_alu instid0(VALU_DEP_3)
	v_add_co_u32 v9, vcc_lo, v13, v9
	v_dual_mov_b32 v36, 0 :: v_dual_mov_b32 v29, 0
	v_mov_b32_e32 v30, 0
	v_dual_mov_b32 v24, 0 :: v_dual_mov_b32 v33, 0
	v_mov_b32_e32 v37, 0
	s_wait_alu 0xfffd
	v_add_co_ci_u32_e64 v10, null, v11, v10, vcc_lo
	v_and_b32_e32 v11, 12, v9
	v_mov_b32_e32 v39, 0
	v_mov_b32_e32 v31, 0
	;; [unrolled: 1-line block ×3, first 2 shown]
	s_mov_b32 s6, exec_lo
	v_cmpx_ne_u64_e32 12, v[11:12]
	s_cbranch_execz .LBB170_29
; %bb.26:
	v_lshrrev_b32_e32 v13, 2, v9
	v_mov_b32_e32 v28, 0
	v_lshlrev_b64_e32 v[11:12], 2, v[17:18]
	v_dual_mov_b32 v29, 0 :: v_dual_mov_b32 v38, 0
	s_delay_alu instid0(VALU_DEP_4) | instskip(SKIP_1) | instid1(VALU_DEP_4)
	v_dual_mov_b32 v24, 0 :: v_dual_add_nc_u32 v13, 1, v13
	v_dual_mov_b32 v39, 0 :: v_dual_mov_b32 v36, 0
	v_add_co_u32 v11, vcc_lo, s8, v11
	s_delay_alu instid0(VALU_DEP_3) | instskip(SKIP_2) | instid1(VALU_DEP_3)
	v_dual_mov_b32 v34, 0 :: v_dual_and_b32 v13, 3, v13
	v_dual_mov_b32 v25, 0 :: v_dual_mov_b32 v30, 0
	v_dual_mov_b32 v35, 0 :: v_dual_mov_b32 v32, 0
	v_sub_co_u32 v13, s2, 0, v13
	v_dual_mov_b32 v37, 0 :: v_dual_mov_b32 v26, 0
	v_mov_b32_e32 v31, 0
	s_wait_alu 0xfffd
	v_add_co_ci_u32_e64 v12, null, s9, v12, vcc_lo
	v_mov_b32_e32 v33, 0
	v_mov_b32_e32 v27, 0
	s_wait_alu 0xf1ff
	v_sub_co_ci_u32_e64 v14, null, 0, 0, s2
	s_mov_b32 s7, 0
.LBB170_27:                             ; =>This Inner Loop Header: Depth=1
	global_load_b32 v15, v[11:12], off
	s_clause 0x1
	global_load_b128 v[40:43], v[22:23], off
	global_load_b128 v[44:47], v[22:23], off offset:16
	v_add_co_u32 v11, s2, v11, 16
	s_wait_alu 0xf1ff
	v_add_co_ci_u32_e64 v12, null, 0, v12, s2
	s_wait_loadcnt 0x2
	v_subrev_nc_u32_e32 v15, s12, v15
	s_wait_loadcnt 0x1
	v_cvt_f64_f32_e32 v[88:89], v42
	v_cvt_f64_f32_e32 v[42:43], v43
	s_wait_loadcnt 0x0
	v_cvt_f64_f32_e32 v[90:91], v44
	v_cvt_f64_f32_e32 v[44:45], v45
	v_lshlrev_b32_e32 v15, 2, v15
	v_cvt_f64_f32_e32 v[92:93], v46
	v_cvt_f64_f32_e32 v[46:47], v47
	s_delay_alu instid0(VALU_DEP_3) | instskip(NEXT) | instid1(VALU_DEP_1)
	v_ashrrev_i32_e32 v16, 31, v15
	v_lshlrev_b64_e32 v[15:16], 4, v[15:16]
	s_wait_kmcnt 0x0
	s_delay_alu instid0(VALU_DEP_1) | instskip(SKIP_1) | instid1(VALU_DEP_2)
	v_add_co_u32 v15, vcc_lo, s4, v15
	s_wait_alu 0xfffd
	v_add_co_ci_u32_e64 v16, null, s5, v16, vcc_lo
	s_clause 0x1
	global_load_b128 v[48:51], v[15:16], off
	global_load_b128 v[52:55], v[15:16], off offset:16
	s_clause 0x3
	global_load_b128 v[56:59], v[22:23], off offset:32
	global_load_b128 v[60:63], v[22:23], off offset:48
	;; [unrolled: 1-line block ×4, first 2 shown]
	s_clause 0x1
	global_load_b128 v[72:75], v[15:16], off offset:32
	global_load_b128 v[76:79], v[15:16], off offset:48
	s_clause 0x1
	global_load_b128 v[80:83], v[22:23], off offset:96
	global_load_b128 v[84:87], v[22:23], off offset:112
	v_cvt_f64_f32_e32 v[15:16], v40
	v_cvt_f64_f32_e32 v[40:41], v41
	v_add_co_u32 v22, vcc_lo, 0x200, v22
	s_wait_alu 0xfffd
	v_add_co_ci_u32_e64 v23, null, 0, v23, vcc_lo
	v_add_co_u32 v13, vcc_lo, v13, 1
	s_wait_alu 0xfffd
	v_add_co_ci_u32_e64 v14, null, 0, v14, vcc_lo
	;; [unrolled: 3-line block ×3, first 2 shown]
	s_delay_alu instid0(VALU_DEP_3)
	v_cmp_eq_u64_e32 vcc_lo, 0, v[13:14]
	s_wait_alu 0xfffe
	s_or_b32 s7, vcc_lo, s7
	s_wait_loadcnt 0x9
	v_fma_f64 v[30:31], v[15:16], v[48:49], v[30:31]
	v_fma_f64 v[24:25], v[40:41], v[48:49], v[24:25]
	;; [unrolled: 1-line block ×8, first 2 shown]
	s_wait_loadcnt 0x7
	v_cvt_f64_f32_e32 v[48:49], v56
	v_cvt_f64_f32_e32 v[56:57], v57
	;; [unrolled: 1-line block ×4, first 2 shown]
	s_wait_loadcnt 0x6
	v_cvt_f64_f32_e32 v[96:97], v60
	v_cvt_f64_f32_e32 v[60:61], v61
	;; [unrolled: 1-line block ×4, first 2 shown]
	v_fma_f64 v[30:31], -v[40:41], v[50:51], v[30:31]
	v_fma_f64 v[15:16], v[15:16], v[50:51], v[24:25]
	v_fma_f64 v[24:25], -v[42:43], v[50:51], v[38:39]
	v_fma_f64 v[28:29], v[88:89], v[50:51], v[28:29]
	;; [unrolled: 2-line block ×4, first 2 shown]
	s_wait_loadcnt 0x5
	v_cvt_f64_f32_e32 v[38:39], v64
	v_cvt_f64_f32_e32 v[40:41], v65
	;; [unrolled: 1-line block ×4, first 2 shown]
	s_wait_loadcnt 0x4
	v_cvt_f64_f32_e32 v[46:47], v68
	v_cvt_f64_f32_e32 v[50:51], v69
	;; [unrolled: 1-line block ×3, first 2 shown]
	s_wait_loadcnt 0x0
	v_cvt_f64_f32_e32 v[66:67], v86
	v_cvt_f64_f32_e32 v[68:69], v87
	v_fma_f64 v[30:31], v[48:49], v[52:53], v[30:31]
	v_fma_f64 v[15:16], v[56:57], v[52:53], v[15:16]
	;; [unrolled: 1-line block ×8, first 2 shown]
	v_cvt_f64_f32_e32 v[52:53], v70
	v_fma_f64 v[30:31], -v[56:57], v[54:55], v[30:31]
	v_fma_f64 v[15:16], v[48:49], v[54:55], v[15:16]
	v_fma_f64 v[24:25], -v[58:59], v[54:55], v[24:25]
	v_fma_f64 v[28:29], v[94:95], v[54:55], v[28:29]
	;; [unrolled: 2-line block ×4, first 2 shown]
	v_cvt_f64_f32_e32 v[48:49], v80
	v_cvt_f64_f32_e32 v[54:55], v81
	;; [unrolled: 1-line block ×6, first 2 shown]
	v_fma_f64 v[30:31], v[38:39], v[72:73], v[30:31]
	v_fma_f64 v[15:16], v[40:41], v[72:73], v[15:16]
	;; [unrolled: 1-line block ×8, first 2 shown]
	v_fma_f64 v[30:31], -v[40:41], v[74:75], v[30:31]
	v_fma_f64 v[15:16], v[38:39], v[74:75], v[15:16]
	v_fma_f64 v[24:25], -v[44:45], v[74:75], v[24:25]
	v_fma_f64 v[28:29], v[42:43], v[74:75], v[28:29]
	;; [unrolled: 2-line block ×4, first 2 shown]
	v_fma_f64 v[30:31], v[48:49], v[76:77], v[30:31]
	v_fma_f64 v[15:16], v[54:55], v[76:77], v[15:16]
	;; [unrolled: 1-line block ×8, first 2 shown]
	v_fma_f64 v[30:31], -v[54:55], v[78:79], v[30:31]
	v_fma_f64 v[24:25], v[48:49], v[78:79], v[15:16]
	v_fma_f64 v[38:39], -v[58:59], v[78:79], v[38:39]
	v_fma_f64 v[28:29], v[56:57], v[78:79], v[28:29]
	v_fma_f64 v[36:37], -v[62:63], v[78:79], v[36:37]
	v_fma_f64 v[34:35], v[60:61], v[78:79], v[34:35]
	v_fma_f64 v[26:27], -v[68:69], v[78:79], v[26:27]
	v_fma_f64 v[32:33], v[66:67], v[78:79], v[32:33]
	s_wait_alu 0xfffe
	s_and_not1_b32 exec_lo, exec_lo, s7
	s_cbranch_execnz .LBB170_27
; %bb.28:
	s_or_b32 exec_lo, exec_lo, s7
.LBB170_29:
	s_wait_alu 0xfffe
	s_or_b32 exec_lo, exec_lo, s6
	s_delay_alu instid0(SALU_CYCLE_1)
	s_mov_b32 s6, exec_lo
	v_cmpx_lt_u64_e32 11, v[9:10]
	s_cbranch_execz .LBB170_33
; %bb.30:
	v_lshlrev_b64_e32 v[9:10], 2, v[17:18]
	s_mov_b32 s7, 0
	s_delay_alu instid0(VALU_DEP_1) | instskip(SKIP_1) | instid1(VALU_DEP_2)
	v_add_co_u32 v9, vcc_lo, s8, v9
	s_wait_alu 0xfffd
	v_add_co_ci_u32_e64 v10, null, s9, v10, vcc_lo
	s_delay_alu instid0(VALU_DEP_2) | instskip(SKIP_1) | instid1(VALU_DEP_2)
	v_add_co_u32 v9, vcc_lo, v9, 32
	s_wait_alu 0xfffd
	v_add_co_ci_u32_e64 v10, null, 0, v10, vcc_lo
.LBB170_31:                             ; =>This Inner Loop Header: Depth=1
	global_load_b32 v15, v[9:10], off offset:-32
	global_load_b128 v[11:14], v[22:23], off
	global_load_b32 v98, v[9:10], off offset:-16
	global_load_b128 v[40:43], v[22:23], off offset:16
	s_clause 0x1
	global_load_b32 v120, v[9:10], off
	global_load_b32 v126, v[9:10], off offset:16
	v_add_co_u32 v9, s2, v9, 64
	s_wait_alu 0xf1ff
	v_add_co_ci_u32_e64 v10, null, 0, v10, s2
	s_wait_loadcnt 0x5
	v_subrev_nc_u32_e32 v15, s12, v15
	s_wait_loadcnt 0x4
	v_cvt_f64_f32_e32 v[92:93], v12
	v_cvt_f64_f32_e32 v[94:95], v13
	;; [unrolled: 1-line block ×3, first 2 shown]
	s_wait_loadcnt 0x2
	v_cvt_f64_f32_e32 v[100:101], v42
	v_lshlrev_b32_e32 v15, 2, v15
	v_cvt_f64_f32_e32 v[42:43], v43
	s_delay_alu instid0(VALU_DEP_2) | instskip(NEXT) | instid1(VALU_DEP_1)
	v_ashrrev_i32_e32 v16, 31, v15
	v_lshlrev_b64_e32 v[15:16], 4, v[15:16]
	s_wait_kmcnt 0x0
	s_delay_alu instid0(VALU_DEP_1) | instskip(SKIP_1) | instid1(VALU_DEP_2)
	v_add_co_u32 v15, vcc_lo, s4, v15
	s_wait_alu 0xfffd
	v_add_co_ci_u32_e64 v16, null, s5, v16, vcc_lo
	s_clause 0x1
	global_load_b128 v[44:47], v[15:16], off
	global_load_b128 v[48:51], v[15:16], off offset:16
	s_clause 0x3
	global_load_b128 v[52:55], v[22:23], off offset:32
	global_load_b128 v[56:59], v[22:23], off offset:48
	;; [unrolled: 1-line block ×5, first 2 shown]
	s_clause 0x1
	global_load_b128 v[72:75], v[22:23], off offset:96
	global_load_b128 v[76:79], v[22:23], off offset:112
	;; [unrolled: 1-line block ×3, first 2 shown]
	s_clause 0x1
	global_load_b128 v[84:87], v[22:23], off offset:512
	global_load_b128 v[88:91], v[22:23], off offset:528
	v_cvt_f64_f32_e32 v[15:16], v11
	v_subrev_nc_u32_e32 v11, s12, v98
	v_cvt_f64_f32_e32 v[98:99], v40
	v_cvt_f64_f32_e32 v[40:41], v41
	s_delay_alu instid0(VALU_DEP_3) | instskip(NEXT) | instid1(VALU_DEP_1)
	v_lshlrev_b32_e32 v11, 2, v11
	v_ashrrev_i32_e32 v12, 31, v11
	s_delay_alu instid0(VALU_DEP_1) | instskip(NEXT) | instid1(VALU_DEP_1)
	v_lshlrev_b64_e32 v[11:12], 4, v[11:12]
	v_add_co_u32 v102, vcc_lo, s4, v11
	s_wait_alu 0xfffd
	s_delay_alu instid0(VALU_DEP_2)
	v_add_co_ci_u32_e64 v103, null, s5, v12, vcc_lo
	global_load_b128 v[11:14], v[102:103], off
	s_wait_loadcnt 0xc
	v_fma_f64 v[104:105], v[15:16], v[44:45], v[30:31]
	v_fma_f64 v[106:107], v[92:93], v[44:45], v[24:25]
	;; [unrolled: 1-line block ×8, first 2 shown]
	s_clause 0x1
	global_load_b128 v[24:27], v[22:23], off offset:544
	global_load_b128 v[28:31], v[22:23], off offset:560
	s_wait_loadcnt 0xc
	v_cvt_f64_f32_e32 v[44:45], v52
	v_cvt_f64_f32_e32 v[52:53], v53
	;; [unrolled: 1-line block ×4, first 2 shown]
	s_wait_loadcnt 0xb
	v_cvt_f64_f32_e32 v[114:115], v56
	v_cvt_f64_f32_e32 v[56:57], v57
	;; [unrolled: 1-line block ×4, first 2 shown]
	s_wait_loadcnt 0x9
	v_cvt_f64_f32_e32 v[118:119], v66
	v_cvt_f64_f32_e32 v[66:67], v67
	v_fma_f64 v[92:93], -v[92:93], v[46:47], v[104:105]
	v_fma_f64 v[15:16], v[15:16], v[46:47], v[106:107]
	v_fma_f64 v[38:39], -v[96:97], v[46:47], v[38:39]
	v_fma_f64 v[94:95], v[94:95], v[46:47], v[108:109]
	;; [unrolled: 2-line block ×4, first 2 shown]
	global_load_b128 v[32:35], v[102:103], off offset:16
	v_cvt_f64_f32_e32 v[106:107], v60
	v_cvt_f64_f32_e32 v[60:61], v61
	;; [unrolled: 1-line block ×6, first 2 shown]
	v_fma_f64 v[92:93], v[44:45], v[48:49], v[92:93]
	v_fma_f64 v[15:16], v[52:53], v[48:49], v[15:16]
	;; [unrolled: 1-line block ×8, first 2 shown]
	s_clause 0x1
	global_load_b128 v[36:39], v[22:23], off offset:576
	global_load_b128 v[40:43], v[22:23], off offset:592
	v_fma_f64 v[48:49], -v[52:53], v[50:51], v[92:93]
	v_fma_f64 v[15:16], v[44:45], v[50:51], v[15:16]
	v_fma_f64 v[52:53], -v[54:55], v[50:51], v[96:97]
	v_fma_f64 v[54:55], v[112:113], v[50:51], v[94:95]
	;; [unrolled: 2-line block ×4, first 2 shown]
	global_load_b128 v[44:47], v[102:103], off offset:32
	s_wait_loadcnt 0xb
	v_cvt_f64_f32_e32 v[100:101], v72
	v_cvt_f64_f32_e32 v[72:73], v73
	;; [unrolled: 1-line block ×4, first 2 shown]
	s_wait_loadcnt 0xa
	v_cvt_f64_f32_e32 v[112:113], v76
	v_cvt_f64_f32_e32 v[76:77], v77
	;; [unrolled: 1-line block ×4, first 2 shown]
	v_subrev_nc_u32_e32 v116, s12, v120
	s_delay_alu instid0(VALU_DEP_1) | instskip(NEXT) | instid1(VALU_DEP_1)
	v_lshlrev_b32_e32 v116, 2, v116
	v_ashrrev_i32_e32 v117, 31, v116
	v_fma_f64 v[94:95], v[106:107], v[68:69], v[48:49]
	v_fma_f64 v[15:16], v[60:61], v[68:69], v[15:16]
	;; [unrolled: 1-line block ×8, first 2 shown]
	s_clause 0x1
	global_load_b128 v[48:51], v[22:23], off offset:608
	global_load_b128 v[52:55], v[22:23], off offset:624
	v_fma_f64 v[60:61], -v[60:61], v[70:71], v[94:95]
	v_fma_f64 v[15:16], v[106:107], v[70:71], v[15:16]
	v_fma_f64 v[62:63], -v[62:63], v[70:71], v[96:97]
	v_fma_f64 v[94:95], v[108:109], v[70:71], v[98:99]
	;; [unrolled: 2-line block ×4, first 2 shown]
	global_load_b128 v[56:59], v[102:103], off offset:48
	s_wait_loadcnt 0xb
	v_cvt_f64_f32_e32 v[106:107], v86
	v_cvt_f64_f32_e32 v[86:87], v87
	s_wait_loadcnt 0xa
	v_cvt_f64_f32_e32 v[108:109], v88
	v_cvt_f64_f32_e32 v[88:89], v89
	;; [unrolled: 1-line block ×4, first 2 shown]
	v_fma_f64 v[70:71], v[100:101], v[80:81], v[60:61]
	v_fma_f64 v[15:16], v[72:73], v[80:81], v[15:16]
	;; [unrolled: 1-line block ×8, first 2 shown]
	s_clause 0x1
	global_load_b128 v[60:63], v[22:23], off offset:1024
	global_load_b128 v[64:67], v[22:23], off offset:1040
	v_cvt_f64_f32_e32 v[80:81], v84
	v_cvt_f64_f32_e32 v[84:85], v85
	v_fma_f64 v[72:73], -v[72:73], v[82:83], v[70:71]
	v_fma_f64 v[15:16], v[100:101], v[82:83], v[15:16]
	v_fma_f64 v[74:75], -v[74:75], v[82:83], v[96:97]
	v_fma_f64 v[94:95], v[104:105], v[82:83], v[94:95]
	;; [unrolled: 2-line block ×4, first 2 shown]
	v_lshlrev_b64_e32 v[68:69], 4, v[116:117]
	s_delay_alu instid0(VALU_DEP_1) | instskip(SKIP_1) | instid1(VALU_DEP_2)
	v_add_co_u32 v96, vcc_lo, s4, v68
	s_wait_alu 0xfffd
	v_add_co_ci_u32_e64 v97, null, s5, v69, vcc_lo
	global_load_b128 v[68:71], v[96:97], off
	s_wait_loadcnt 0xc
	v_fma_f64 v[98:99], v[80:81], v[11:12], v[72:73]
	v_fma_f64 v[15:16], v[84:85], v[11:12], v[15:16]
	v_fma_f64 v[100:101], v[106:107], v[11:12], v[74:75]
	v_fma_f64 v[94:95], v[86:87], v[11:12], v[94:95]
	v_fma_f64 v[102:103], v[108:109], v[11:12], v[76:77]
	v_fma_f64 v[92:93], v[88:89], v[11:12], v[92:93]
	v_fma_f64 v[104:105], v[110:111], v[11:12], v[78:79]
	v_fma_f64 v[11:12], v[90:91], v[11:12], v[82:83]
	s_clause 0x1
	global_load_b128 v[72:75], v[22:23], off offset:1056
	global_load_b128 v[76:79], v[22:23], off offset:1072
	s_wait_loadcnt 0xd
	v_cvt_f64_f32_e32 v[82:83], v24
	v_cvt_f64_f32_e32 v[112:113], v25
	v_cvt_f64_f32_e32 v[114:115], v26
	v_cvt_f64_f32_e32 v[116:117], v27
	s_wait_loadcnt 0xc
	v_cvt_f64_f32_e32 v[118:119], v28
	v_cvt_f64_f32_e32 v[120:121], v29
	v_cvt_f64_f32_e32 v[122:123], v30
	v_cvt_f64_f32_e32 v[124:125], v31
	v_fma_f64 v[24:25], -v[84:85], v[13:14], v[98:99]
	v_fma_f64 v[15:16], v[80:81], v[13:14], v[15:16]
	v_fma_f64 v[26:27], -v[86:87], v[13:14], v[100:101]
	v_fma_f64 v[28:29], v[106:107], v[13:14], v[94:95]
	v_fma_f64 v[30:31], -v[88:89], v[13:14], v[102:103]
	v_fma_f64 v[80:81], v[108:109], v[13:14], v[92:93]
	v_fma_f64 v[84:85], -v[90:91], v[13:14], v[104:105]
	v_fma_f64 v[86:87], v[110:111], v[13:14], v[11:12]
	global_load_b128 v[11:14], v[96:97], off offset:16
	s_wait_loadcnt 0xc
	v_fma_f64 v[88:89], v[82:83], v[32:33], v[24:25]
	v_fma_f64 v[15:16], v[112:113], v[32:33], v[15:16]
	v_fma_f64 v[90:91], v[114:115], v[32:33], v[26:27]
	v_fma_f64 v[92:93], v[116:117], v[32:33], v[28:29]
	v_fma_f64 v[94:95], v[118:119], v[32:33], v[30:31]
	v_fma_f64 v[80:81], v[120:121], v[32:33], v[80:81]
	v_fma_f64 v[84:85], v[122:123], v[32:33], v[84:85]
	v_fma_f64 v[32:33], v[124:125], v[32:33], v[86:87]
	s_clause 0x1
	global_load_b128 v[24:27], v[22:23], off offset:1088
	global_load_b128 v[28:31], v[22:23], off offset:1104
	s_wait_loadcnt 0xd
	v_cvt_f64_f32_e32 v[86:87], v36
	v_cvt_f64_f32_e32 v[98:99], v37
	v_cvt_f64_f32_e32 v[100:101], v38
	v_cvt_f64_f32_e32 v[102:103], v39
	s_wait_loadcnt 0xc
	v_cvt_f64_f32_e32 v[104:105], v40
	v_cvt_f64_f32_e32 v[106:107], v41
	v_cvt_f64_f32_e32 v[108:109], v42
	v_cvt_f64_f32_e32 v[110:111], v43
	v_fma_f64 v[36:37], -v[112:113], v[34:35], v[88:89]
	v_fma_f64 v[15:16], v[82:83], v[34:35], v[15:16]
	v_fma_f64 v[38:39], -v[116:117], v[34:35], v[90:91]
	v_fma_f64 v[40:41], v[114:115], v[34:35], v[92:93]
	v_fma_f64 v[42:43], -v[120:121], v[34:35], v[94:95]
	v_fma_f64 v[80:81], v[118:119], v[34:35], v[80:81]
	v_fma_f64 v[82:83], -v[124:125], v[34:35], v[84:85]
	v_fma_f64 v[84:85], v[122:123], v[34:35], v[32:33]
	global_load_b128 v[32:35], v[96:97], off offset:32
	s_wait_loadcnt 0xc
	v_fma_f64 v[88:89], v[86:87], v[44:45], v[36:37]
	v_fma_f64 v[15:16], v[98:99], v[44:45], v[15:16]
	v_fma_f64 v[90:91], v[100:101], v[44:45], v[38:39]
	v_fma_f64 v[92:93], v[102:103], v[44:45], v[40:41]
	v_fma_f64 v[94:95], v[104:105], v[44:45], v[42:43]
	v_fma_f64 v[80:81], v[106:107], v[44:45], v[80:81]
	v_fma_f64 v[82:83], v[108:109], v[44:45], v[82:83]
	v_fma_f64 v[44:45], v[110:111], v[44:45], v[84:85]
	s_clause 0x1
	global_load_b128 v[36:39], v[22:23], off offset:1120
	global_load_b128 v[40:43], v[22:23], off offset:1136
	s_wait_loadcnt 0xd
	v_cvt_f64_f32_e32 v[84:85], v48
	v_cvt_f64_f32_e32 v[112:113], v49
	v_cvt_f64_f32_e32 v[114:115], v50
	v_cvt_f64_f32_e32 v[116:117], v51
	s_wait_loadcnt 0xc
	v_cvt_f64_f32_e32 v[118:119], v52
	v_cvt_f64_f32_e32 v[120:121], v53
	v_cvt_f64_f32_e32 v[122:123], v54
	v_cvt_f64_f32_e32 v[124:125], v55
	v_fma_f64 v[48:49], -v[98:99], v[46:47], v[88:89]
	v_fma_f64 v[15:16], v[86:87], v[46:47], v[15:16]
	v_fma_f64 v[50:51], -v[102:103], v[46:47], v[90:91]
	v_fma_f64 v[52:53], v[100:101], v[46:47], v[92:93]
	v_fma_f64 v[54:55], -v[106:107], v[46:47], v[94:95]
	v_fma_f64 v[80:81], v[104:105], v[46:47], v[80:81]
	v_fma_f64 v[82:83], -v[110:111], v[46:47], v[82:83]
	v_fma_f64 v[86:87], v[108:109], v[46:47], v[44:45]
	global_load_b128 v[44:47], v[96:97], off offset:48
	s_wait_loadcnt 0xc
	v_fma_f64 v[88:89], v[84:85], v[56:57], v[48:49]
	v_fma_f64 v[15:16], v[112:113], v[56:57], v[15:16]
	;; [unrolled: 1-line block ×8, first 2 shown]
	s_clause 0x1
	global_load_b128 v[48:51], v[22:23], off offset:1536
	global_load_b128 v[52:55], v[22:23], off offset:1552
	s_wait_loadcnt 0xd
	v_cvt_f64_f32_e32 v[86:87], v60
	v_subrev_nc_u32_e32 v60, s12, v126
	v_cvt_f64_f32_e32 v[96:97], v61
	v_cvt_f64_f32_e32 v[98:99], v62
	;; [unrolled: 1-line block ×3, first 2 shown]
	s_wait_loadcnt 0xc
	v_cvt_f64_f32_e32 v[102:103], v64
	v_lshlrev_b32_e32 v60, 2, v60
	v_cvt_f64_f32_e32 v[104:105], v65
	v_cvt_f64_f32_e32 v[106:107], v66
	;; [unrolled: 1-line block ×3, first 2 shown]
	s_delay_alu instid0(VALU_DEP_4)
	v_ashrrev_i32_e32 v61, 31, v60
	v_fma_f64 v[62:63], -v[112:113], v[58:59], v[88:89]
	v_fma_f64 v[15:16], v[84:85], v[58:59], v[15:16]
	v_fma_f64 v[64:65], -v[116:117], v[58:59], v[90:91]
	v_fma_f64 v[66:67], v[114:115], v[58:59], v[92:93]
	;; [unrolled: 2-line block ×4, first 2 shown]
	v_lshlrev_b64_e32 v[56:57], 4, v[60:61]
	s_delay_alu instid0(VALU_DEP_1) | instskip(SKIP_1) | instid1(VALU_DEP_2)
	v_add_co_u32 v90, vcc_lo, s4, v56
	s_wait_alu 0xfffd
	v_add_co_ci_u32_e64 v91, null, s5, v57, vcc_lo
	v_add_co_u32 v17, vcc_lo, v17, 16
	s_wait_alu 0xfffd
	v_add_co_ci_u32_e64 v18, null, 0, v18, vcc_lo
	global_load_b128 v[56:59], v[90:91], off
	s_wait_loadcnt 0xc
	v_fma_f64 v[92:93], v[86:87], v[68:69], v[62:63]
	v_fma_f64 v[15:16], v[96:97], v[68:69], v[15:16]
	;; [unrolled: 1-line block ×8, first 2 shown]
	s_clause 0x1
	global_load_b128 v[60:63], v[22:23], off offset:1568
	global_load_b128 v[64:67], v[22:23], off offset:1584
	s_wait_loadcnt 0xd
	v_cvt_f64_f32_e32 v[88:89], v72
	v_cvt_f64_f32_e32 v[112:113], v73
	;; [unrolled: 1-line block ×4, first 2 shown]
	s_wait_loadcnt 0xc
	v_cvt_f64_f32_e32 v[118:119], v76
	v_cvt_f64_f32_e32 v[120:121], v77
	;; [unrolled: 1-line block ×4, first 2 shown]
	v_fma_f64 v[72:73], -v[96:97], v[70:71], v[92:93]
	v_fma_f64 v[15:16], v[86:87], v[70:71], v[15:16]
	v_fma_f64 v[74:75], -v[100:101], v[70:71], v[94:95]
	v_fma_f64 v[76:77], v[98:99], v[70:71], v[110:111]
	;; [unrolled: 2-line block ×4, first 2 shown]
	global_load_b128 v[68:71], v[90:91], off offset:16
	s_wait_loadcnt 0xc
	v_fma_f64 v[86:87], v[88:89], v[11:12], v[72:73]
	v_fma_f64 v[15:16], v[112:113], v[11:12], v[15:16]
	;; [unrolled: 1-line block ×8, first 2 shown]
	s_clause 0x1
	global_load_b128 v[72:75], v[22:23], off offset:1600
	global_load_b128 v[76:79], v[22:23], off offset:1616
	s_wait_loadcnt 0xd
	v_cvt_f64_f32_e32 v[84:85], v24
	v_cvt_f64_f32_e32 v[98:99], v25
	;; [unrolled: 1-line block ×4, first 2 shown]
	s_wait_loadcnt 0xc
	v_cvt_f64_f32_e32 v[104:105], v28
	v_cvt_f64_f32_e32 v[106:107], v29
	;; [unrolled: 1-line block ×4, first 2 shown]
	v_fma_f64 v[24:25], -v[112:113], v[13:14], v[86:87]
	v_fma_f64 v[15:16], v[88:89], v[13:14], v[15:16]
	v_fma_f64 v[26:27], -v[116:117], v[13:14], v[92:93]
	v_fma_f64 v[28:29], v[114:115], v[13:14], v[94:95]
	v_fma_f64 v[30:31], -v[120:121], v[13:14], v[96:97]
	v_fma_f64 v[80:81], v[118:119], v[13:14], v[80:81]
	v_fma_f64 v[82:83], -v[124:125], v[13:14], v[82:83]
	v_fma_f64 v[86:87], v[122:123], v[13:14], v[11:12]
	global_load_b128 v[11:14], v[90:91], off offset:32
	s_wait_loadcnt 0xc
	v_fma_f64 v[88:89], v[84:85], v[32:33], v[24:25]
	v_fma_f64 v[15:16], v[98:99], v[32:33], v[15:16]
	;; [unrolled: 1-line block ×8, first 2 shown]
	s_clause 0x1
	global_load_b128 v[24:27], v[22:23], off offset:1632
	global_load_b128 v[28:31], v[22:23], off offset:1648
	v_add_co_u32 v22, vcc_lo, 0x800, v22
	s_wait_alu 0xfffd
	v_add_co_ci_u32_e64 v23, null, 0, v23, vcc_lo
	v_cmp_ge_i64_e32 vcc_lo, v[17:18], v[19:20]
	s_wait_alu 0xfffe
	s_or_b32 s7, vcc_lo, s7
	s_wait_loadcnt 0xd
	v_cvt_f64_f32_e32 v[86:87], v36
	v_cvt_f64_f32_e32 v[36:37], v37
	v_cvt_f64_f32_e32 v[112:113], v38
	v_cvt_f64_f32_e32 v[114:115], v39
	s_wait_loadcnt 0xc
	v_cvt_f64_f32_e32 v[116:117], v40
	v_cvt_f64_f32_e32 v[118:119], v41
	;; [unrolled: 1-line block ×4, first 2 shown]
	global_load_b128 v[38:41], v[90:91], off offset:48
	v_fma_f64 v[88:89], -v[98:99], v[34:35], v[88:89]
	v_fma_f64 v[15:16], v[84:85], v[34:35], v[15:16]
	v_fma_f64 v[84:85], -v[102:103], v[34:35], v[92:93]
	v_fma_f64 v[92:93], v[100:101], v[34:35], v[94:95]
	v_fma_f64 v[94:95], -v[106:107], v[34:35], v[96:97]
	v_fma_f64 v[80:81], v[104:105], v[34:35], v[80:81]
	v_fma_f64 v[82:83], -v[110:111], v[34:35], v[82:83]
	v_fma_f64 v[32:33], v[108:109], v[34:35], v[32:33]
	s_wait_loadcnt 0xc
	v_fma_f64 v[34:35], v[86:87], v[44:45], v[88:89]
	v_fma_f64 v[15:16], v[36:37], v[44:45], v[15:16]
	v_fma_f64 v[84:85], v[112:113], v[44:45], v[84:85]
	v_fma_f64 v[88:89], v[114:115], v[44:45], v[92:93]
	v_fma_f64 v[90:91], v[116:117], v[44:45], v[94:95]
	v_fma_f64 v[80:81], v[118:119], v[44:45], v[80:81]
	v_fma_f64 v[82:83], v[120:121], v[44:45], v[82:83]
	v_fma_f64 v[32:33], v[42:43], v[44:45], v[32:33]
	s_wait_loadcnt 0xb
	v_cvt_f64_f32_e32 v[44:45], v48
	v_cvt_f64_f32_e32 v[48:49], v49
	v_cvt_f64_f32_e32 v[92:93], v50
	v_cvt_f64_f32_e32 v[50:51], v51
	s_wait_loadcnt 0xa
	v_cvt_f64_f32_e32 v[94:95], v52
	v_cvt_f64_f32_e32 v[52:53], v53
	v_cvt_f64_f32_e32 v[96:97], v54
	v_cvt_f64_f32_e32 v[54:55], v55
	v_fma_f64 v[34:35], -v[36:37], v[46:47], v[34:35]
	v_fma_f64 v[15:16], v[86:87], v[46:47], v[15:16]
	v_fma_f64 v[36:37], -v[114:115], v[46:47], v[84:85]
	v_fma_f64 v[84:85], v[112:113], v[46:47], v[88:89]
	v_fma_f64 v[86:87], -v[118:119], v[46:47], v[90:91]
	v_fma_f64 v[80:81], v[116:117], v[46:47], v[80:81]
	v_fma_f64 v[42:43], -v[42:43], v[46:47], v[82:83]
	v_fma_f64 v[32:33], v[120:121], v[46:47], v[32:33]
	s_wait_loadcnt 0x9
	v_fma_f64 v[34:35], v[44:45], v[56:57], v[34:35]
	v_fma_f64 v[15:16], v[48:49], v[56:57], v[15:16]
	v_fma_f64 v[36:37], v[92:93], v[56:57], v[36:37]
	v_fma_f64 v[46:47], v[50:51], v[56:57], v[84:85]
	v_fma_f64 v[82:83], v[94:95], v[56:57], v[86:87]
	v_fma_f64 v[80:81], v[52:53], v[56:57], v[80:81]
	v_fma_f64 v[42:43], v[96:97], v[56:57], v[42:43]
	v_fma_f64 v[32:33], v[54:55], v[56:57], v[32:33]
	s_wait_loadcnt 0x8
	v_cvt_f64_f32_e32 v[56:57], v60
	v_cvt_f64_f32_e32 v[60:61], v61
	v_cvt_f64_f32_e32 v[84:85], v62
	v_cvt_f64_f32_e32 v[62:63], v63
	s_wait_loadcnt 0x7
	v_cvt_f64_f32_e32 v[86:87], v64
	v_cvt_f64_f32_e32 v[64:65], v65
	v_cvt_f64_f32_e32 v[88:89], v66
	v_cvt_f64_f32_e32 v[66:67], v67
	;; [unrolled: 27-line block ×4, first 2 shown]
	v_fma_f64 v[28:29], -v[52:53], v[13:14], v[34:35]
	v_fma_f64 v[15:16], v[50:51], v[13:14], v[15:16]
	v_fma_f64 v[30:31], -v[58:59], v[13:14], v[36:37]
	v_fma_f64 v[34:35], v[54:55], v[13:14], v[44:45]
	;; [unrolled: 2-line block ×4, first 2 shown]
	s_wait_loadcnt 0x0
	v_fma_f64 v[13:14], v[32:33], v[38:39], v[28:29]
	v_fma_f64 v[15:16], v[24:25], v[38:39], v[15:16]
	;; [unrolled: 1-line block ×8, first 2 shown]
	v_fma_f64 v[30:31], -v[24:25], v[40:41], v[13:14]
	v_fma_f64 v[24:25], v[32:33], v[40:41], v[15:16]
	v_fma_f64 v[38:39], -v[26:27], v[40:41], v[28:29]
	v_fma_f64 v[28:29], v[56:57], v[40:41], v[34:35]
	;; [unrolled: 2-line block ×4, first 2 shown]
	s_wait_alu 0xfffe
	s_and_not1_b32 exec_lo, exec_lo, s7
	s_cbranch_execnz .LBB170_31
; %bb.32:
	s_or_b32 exec_lo, exec_lo, s7
.LBB170_33:
	s_wait_alu 0xfffe
	s_or_b32 exec_lo, exec_lo, s6
.LBB170_34:
	s_wait_alu 0xfffe
	s_or_b32 exec_lo, exec_lo, s3
.LBB170_35:
	v_mbcnt_lo_u32_b32 v42, -1, 0
	s_delay_alu instid0(VALU_DEP_1) | instskip(NEXT) | instid1(VALU_DEP_1)
	v_xor_b32_e32 v9, 2, v42
	v_cmp_gt_i32_e32 vcc_lo, 32, v9
	s_wait_alu 0xfffd
	v_cndmask_b32_e32 v9, v42, v9, vcc_lo
	s_delay_alu instid0(VALU_DEP_1)
	v_lshlrev_b32_e32 v41, 2, v9
	ds_bpermute_b32 v9, v41, v30
	ds_bpermute_b32 v10, v41, v31
	;; [unrolled: 1-line block ×8, first 2 shown]
	s_wait_dscnt 0x6
	v_add_f64_e32 v[9:10], v[30:31], v[9:10]
	s_wait_dscnt 0x4
	v_add_f64_e32 v[30:31], v[24:25], v[11:12]
	;; [unrolled: 2-line block ×4, first 2 shown]
	v_xor_b32_e32 v22, 1, v42
	s_delay_alu instid0(VALU_DEP_1)
	v_cmp_gt_i32_e32 vcc_lo, 32, v22
	s_wait_alu 0xfffd
	v_cndmask_b32_e32 v22, v42, v22, vcc_lo
	ds_bpermute_b32 v13, v41, v38
	ds_bpermute_b32 v14, v41, v39
	;; [unrolled: 1-line block ×8, first 2 shown]
	v_cmp_eq_u32_e32 vcc_lo, 3, v0
	s_wait_dscnt 0x6
	v_add_f64_e32 v[11:12], v[38:39], v[13:14]
	s_wait_dscnt 0x4
	v_add_f64_e32 v[13:14], v[36:37], v[17:18]
	;; [unrolled: 2-line block ×3, first 2 shown]
	v_lshlrev_b32_e32 v35, 2, v22
	s_wait_dscnt 0x0
	v_add_f64_e32 v[17:18], v[32:33], v[40:41]
	ds_bpermute_b32 v22, v35, v9
	ds_bpermute_b32 v23, v35, v10
	;; [unrolled: 1-line block ×16, first 2 shown]
	s_and_b32 exec_lo, exec_lo, vcc_lo
	s_cbranch_execz .LBB170_8
; %bb.36:
	s_wait_dscnt 0xc
	v_add_f64_e32 v[30:31], v[30:31], v[40:41]
	s_wait_dscnt 0xa
	v_add_f64_e32 v[24:25], v[24:25], v[38:39]
	;; [unrolled: 2-line block ×4, first 2 shown]
	v_add_f64_e32 v[9:10], v[9:10], v[22:23]
	v_add_f64_e32 v[11:12], v[11:12], v[26:27]
	;; [unrolled: 1-line block ×4, first 2 shown]
	v_cmp_eq_f64_e32 vcc_lo, 0, v[1:2]
	v_cmp_eq_f64_e64 s2, 0, v[3:4]
	s_load_b64 s[0:1], s[0:1], 0x60
	v_lshlrev_b32_e32 v21, 2, v21
	v_mul_f64_e64 v[13:14], v[30:31], -v[7:8]
	v_mul_f64_e32 v[15:16], v[5:6], v[30:31]
	v_mul_f64_e64 v[28:29], v[24:25], -v[7:8]
	v_mul_f64_e32 v[24:25], v[5:6], v[24:25]
	;; [unrolled: 2-line block ×4, first 2 shown]
	s_and_b32 s2, vcc_lo, s2
	v_fma_f64 v[17:18], v[5:6], v[9:10], v[13:14]
	v_fma_f64 v[19:20], v[7:8], v[9:10], v[15:16]
	v_fma_f64 v[13:14], v[5:6], v[11:12], v[28:29]
	v_fma_f64 v[15:16], v[7:8], v[11:12], v[24:25]
	v_fma_f64 v[9:10], v[5:6], v[22:23], v[30:31]
	v_fma_f64 v[11:12], v[7:8], v[22:23], v[32:33]
	v_fma_f64 v[5:6], v[5:6], v[26:27], v[34:35]
	v_fma_f64 v[7:8], v[7:8], v[26:27], v[36:37]
	s_wait_alu 0xfffe
	s_and_saveexec_b32 s3, s2
	s_wait_alu 0xfffe
	s_xor_b32 s2, exec_lo, s3
	s_cbranch_execz .LBB170_38
; %bb.37:
	v_ashrrev_i32_e32 v22, 31, v21
	s_delay_alu instid0(VALU_DEP_1) | instskip(SKIP_1) | instid1(VALU_DEP_1)
	v_lshlrev_b64_e32 v[0:1], 4, v[21:22]
                                        ; implicit-def: $vgpr21
	s_wait_kmcnt 0x0
	v_add_co_u32 v0, vcc_lo, s0, v0
	s_wait_alu 0xfffd
	s_delay_alu instid0(VALU_DEP_2)
	v_add_co_ci_u32_e64 v1, null, s1, v1, vcc_lo
	s_clause 0x3
	global_store_b128 v[0:1], v[17:20], off
	global_store_b128 v[0:1], v[13:16], off offset:16
	global_store_b128 v[0:1], v[9:12], off offset:32
	;; [unrolled: 1-line block ×3, first 2 shown]
                                        ; implicit-def: $vgpr3_vgpr4
                                        ; implicit-def: $vgpr17_vgpr18
                                        ; implicit-def: $vgpr13_vgpr14
                                        ; implicit-def: $vgpr9_vgpr10
                                        ; implicit-def: $vgpr5_vgpr6
.LBB170_38:
	s_wait_alu 0xfffe
	s_and_not1_saveexec_b32 s2, s2
	s_cbranch_execz .LBB170_8
; %bb.39:
	v_ashrrev_i32_e32 v22, 31, v21
	s_delay_alu instid0(VALU_DEP_1) | instskip(SKIP_1) | instid1(VALU_DEP_1)
	v_lshlrev_b64_e32 v[21:22], 4, v[21:22]
	s_wait_kmcnt 0x0
	v_add_co_u32 v37, vcc_lo, s0, v21
	s_wait_alu 0xfffd
	s_delay_alu instid0(VALU_DEP_2)
	v_add_co_ci_u32_e64 v38, null, s1, v22, vcc_lo
	s_clause 0x3
	global_load_b128 v[21:24], v[37:38], off
	global_load_b128 v[25:28], v[37:38], off offset:16
	global_load_b128 v[29:32], v[37:38], off offset:32
	global_load_b128 v[33:36], v[37:38], off offset:48
	s_wait_loadcnt 0x3
	v_fma_f64 v[17:18], v[1:2], v[21:22], v[17:18]
	v_fma_f64 v[19:20], v[3:4], v[21:22], v[19:20]
	s_wait_loadcnt 0x2
	v_fma_f64 v[13:14], v[1:2], v[25:26], v[13:14]
	v_fma_f64 v[15:16], v[3:4], v[25:26], v[15:16]
	;; [unrolled: 3-line block ×4, first 2 shown]
	v_fma_f64 v[5:6], -v[3:4], v[23:24], v[17:18]
	v_fma_f64 v[7:8], v[1:2], v[23:24], v[19:20]
	v_fma_f64 v[9:10], -v[3:4], v[27:28], v[13:14]
	v_fma_f64 v[11:12], v[1:2], v[27:28], v[15:16]
	;; [unrolled: 2-line block ×4, first 2 shown]
	s_clause 0x3
	global_store_b128 v[37:38], v[5:8], off
	global_store_b128 v[37:38], v[9:12], off offset:16
	global_store_b128 v[37:38], v[13:16], off offset:32
	;; [unrolled: 1-line block ×3, first 2 shown]
	s_nop 0
	s_sendmsg sendmsg(MSG_DEALLOC_VGPRS)
	s_endpgm
	.section	.rodata,"a",@progbits
	.p2align	6, 0x0
	.amdhsa_kernel _ZN9rocsparseL18bsrxmvn_4x4_kernelILj128ELj4E21rocsparse_complex_numIdEliS1_IfES2_S2_EEvT3_20rocsparse_direction_NS_24const_host_device_scalarIT1_EES4_PKS4_PKT2_SD_SA_PKT4_PKT5_S8_PT6_21rocsparse_index_base_b
		.amdhsa_group_segment_fixed_size 0
		.amdhsa_private_segment_fixed_size 0
		.amdhsa_kernarg_size 112
		.amdhsa_user_sgpr_count 2
		.amdhsa_user_sgpr_dispatch_ptr 0
		.amdhsa_user_sgpr_queue_ptr 0
		.amdhsa_user_sgpr_kernarg_segment_ptr 1
		.amdhsa_user_sgpr_dispatch_id 0
		.amdhsa_user_sgpr_private_segment_size 0
		.amdhsa_wavefront_size32 1
		.amdhsa_uses_dynamic_stack 0
		.amdhsa_enable_private_segment 0
		.amdhsa_system_sgpr_workgroup_id_x 1
		.amdhsa_system_sgpr_workgroup_id_y 0
		.amdhsa_system_sgpr_workgroup_id_z 0
		.amdhsa_system_sgpr_workgroup_info 0
		.amdhsa_system_vgpr_workitem_id 0
		.amdhsa_next_free_vgpr 135
		.amdhsa_next_free_sgpr 14
		.amdhsa_reserve_vcc 1
		.amdhsa_float_round_mode_32 0
		.amdhsa_float_round_mode_16_64 0
		.amdhsa_float_denorm_mode_32 3
		.amdhsa_float_denorm_mode_16_64 3
		.amdhsa_fp16_overflow 0
		.amdhsa_workgroup_processor_mode 1
		.amdhsa_memory_ordered 1
		.amdhsa_forward_progress 1
		.amdhsa_inst_pref_size 95
		.amdhsa_round_robin_scheduling 0
		.amdhsa_exception_fp_ieee_invalid_op 0
		.amdhsa_exception_fp_denorm_src 0
		.amdhsa_exception_fp_ieee_div_zero 0
		.amdhsa_exception_fp_ieee_overflow 0
		.amdhsa_exception_fp_ieee_underflow 0
		.amdhsa_exception_fp_ieee_inexact 0
		.amdhsa_exception_int_div_zero 0
	.end_amdhsa_kernel
	.section	.text._ZN9rocsparseL18bsrxmvn_4x4_kernelILj128ELj4E21rocsparse_complex_numIdEliS1_IfES2_S2_EEvT3_20rocsparse_direction_NS_24const_host_device_scalarIT1_EES4_PKS4_PKT2_SD_SA_PKT4_PKT5_S8_PT6_21rocsparse_index_base_b,"axG",@progbits,_ZN9rocsparseL18bsrxmvn_4x4_kernelILj128ELj4E21rocsparse_complex_numIdEliS1_IfES2_S2_EEvT3_20rocsparse_direction_NS_24const_host_device_scalarIT1_EES4_PKS4_PKT2_SD_SA_PKT4_PKT5_S8_PT6_21rocsparse_index_base_b,comdat
.Lfunc_end170:
	.size	_ZN9rocsparseL18bsrxmvn_4x4_kernelILj128ELj4E21rocsparse_complex_numIdEliS1_IfES2_S2_EEvT3_20rocsparse_direction_NS_24const_host_device_scalarIT1_EES4_PKS4_PKT2_SD_SA_PKT4_PKT5_S8_PT6_21rocsparse_index_base_b, .Lfunc_end170-_ZN9rocsparseL18bsrxmvn_4x4_kernelILj128ELj4E21rocsparse_complex_numIdEliS1_IfES2_S2_EEvT3_20rocsparse_direction_NS_24const_host_device_scalarIT1_EES4_PKS4_PKT2_SD_SA_PKT4_PKT5_S8_PT6_21rocsparse_index_base_b
                                        ; -- End function
	.set _ZN9rocsparseL18bsrxmvn_4x4_kernelILj128ELj4E21rocsparse_complex_numIdEliS1_IfES2_S2_EEvT3_20rocsparse_direction_NS_24const_host_device_scalarIT1_EES4_PKS4_PKT2_SD_SA_PKT4_PKT5_S8_PT6_21rocsparse_index_base_b.num_vgpr, 135
	.set _ZN9rocsparseL18bsrxmvn_4x4_kernelILj128ELj4E21rocsparse_complex_numIdEliS1_IfES2_S2_EEvT3_20rocsparse_direction_NS_24const_host_device_scalarIT1_EES4_PKS4_PKT2_SD_SA_PKT4_PKT5_S8_PT6_21rocsparse_index_base_b.num_agpr, 0
	.set _ZN9rocsparseL18bsrxmvn_4x4_kernelILj128ELj4E21rocsparse_complex_numIdEliS1_IfES2_S2_EEvT3_20rocsparse_direction_NS_24const_host_device_scalarIT1_EES4_PKS4_PKT2_SD_SA_PKT4_PKT5_S8_PT6_21rocsparse_index_base_b.numbered_sgpr, 14
	.set _ZN9rocsparseL18bsrxmvn_4x4_kernelILj128ELj4E21rocsparse_complex_numIdEliS1_IfES2_S2_EEvT3_20rocsparse_direction_NS_24const_host_device_scalarIT1_EES4_PKS4_PKT2_SD_SA_PKT4_PKT5_S8_PT6_21rocsparse_index_base_b.num_named_barrier, 0
	.set _ZN9rocsparseL18bsrxmvn_4x4_kernelILj128ELj4E21rocsparse_complex_numIdEliS1_IfES2_S2_EEvT3_20rocsparse_direction_NS_24const_host_device_scalarIT1_EES4_PKS4_PKT2_SD_SA_PKT4_PKT5_S8_PT6_21rocsparse_index_base_b.private_seg_size, 0
	.set _ZN9rocsparseL18bsrxmvn_4x4_kernelILj128ELj4E21rocsparse_complex_numIdEliS1_IfES2_S2_EEvT3_20rocsparse_direction_NS_24const_host_device_scalarIT1_EES4_PKS4_PKT2_SD_SA_PKT4_PKT5_S8_PT6_21rocsparse_index_base_b.uses_vcc, 1
	.set _ZN9rocsparseL18bsrxmvn_4x4_kernelILj128ELj4E21rocsparse_complex_numIdEliS1_IfES2_S2_EEvT3_20rocsparse_direction_NS_24const_host_device_scalarIT1_EES4_PKS4_PKT2_SD_SA_PKT4_PKT5_S8_PT6_21rocsparse_index_base_b.uses_flat_scratch, 0
	.set _ZN9rocsparseL18bsrxmvn_4x4_kernelILj128ELj4E21rocsparse_complex_numIdEliS1_IfES2_S2_EEvT3_20rocsparse_direction_NS_24const_host_device_scalarIT1_EES4_PKS4_PKT2_SD_SA_PKT4_PKT5_S8_PT6_21rocsparse_index_base_b.has_dyn_sized_stack, 0
	.set _ZN9rocsparseL18bsrxmvn_4x4_kernelILj128ELj4E21rocsparse_complex_numIdEliS1_IfES2_S2_EEvT3_20rocsparse_direction_NS_24const_host_device_scalarIT1_EES4_PKS4_PKT2_SD_SA_PKT4_PKT5_S8_PT6_21rocsparse_index_base_b.has_recursion, 0
	.set _ZN9rocsparseL18bsrxmvn_4x4_kernelILj128ELj4E21rocsparse_complex_numIdEliS1_IfES2_S2_EEvT3_20rocsparse_direction_NS_24const_host_device_scalarIT1_EES4_PKS4_PKT2_SD_SA_PKT4_PKT5_S8_PT6_21rocsparse_index_base_b.has_indirect_call, 0
	.section	.AMDGPU.csdata,"",@progbits
; Kernel info:
; codeLenInByte = 12160
; TotalNumSgprs: 16
; NumVgprs: 135
; ScratchSize: 0
; MemoryBound: 0
; FloatMode: 240
; IeeeMode: 1
; LDSByteSize: 0 bytes/workgroup (compile time only)
; SGPRBlocks: 0
; VGPRBlocks: 16
; NumSGPRsForWavesPerEU: 16
; NumVGPRsForWavesPerEU: 135
; Occupancy: 10
; WaveLimiterHint : 1
; COMPUTE_PGM_RSRC2:SCRATCH_EN: 0
; COMPUTE_PGM_RSRC2:USER_SGPR: 2
; COMPUTE_PGM_RSRC2:TRAP_HANDLER: 0
; COMPUTE_PGM_RSRC2:TGID_X_EN: 1
; COMPUTE_PGM_RSRC2:TGID_Y_EN: 0
; COMPUTE_PGM_RSRC2:TGID_Z_EN: 0
; COMPUTE_PGM_RSRC2:TIDIG_COMP_CNT: 0
	.section	.text._ZN9rocsparseL18bsrxmvn_4x4_kernelILj128ELj8E21rocsparse_complex_numIdEliS1_IfES2_S2_EEvT3_20rocsparse_direction_NS_24const_host_device_scalarIT1_EES4_PKS4_PKT2_SD_SA_PKT4_PKT5_S8_PT6_21rocsparse_index_base_b,"axG",@progbits,_ZN9rocsparseL18bsrxmvn_4x4_kernelILj128ELj8E21rocsparse_complex_numIdEliS1_IfES2_S2_EEvT3_20rocsparse_direction_NS_24const_host_device_scalarIT1_EES4_PKS4_PKT2_SD_SA_PKT4_PKT5_S8_PT6_21rocsparse_index_base_b,comdat
	.globl	_ZN9rocsparseL18bsrxmvn_4x4_kernelILj128ELj8E21rocsparse_complex_numIdEliS1_IfES2_S2_EEvT3_20rocsparse_direction_NS_24const_host_device_scalarIT1_EES4_PKS4_PKT2_SD_SA_PKT4_PKT5_S8_PT6_21rocsparse_index_base_b ; -- Begin function _ZN9rocsparseL18bsrxmvn_4x4_kernelILj128ELj8E21rocsparse_complex_numIdEliS1_IfES2_S2_EEvT3_20rocsparse_direction_NS_24const_host_device_scalarIT1_EES4_PKS4_PKT2_SD_SA_PKT4_PKT5_S8_PT6_21rocsparse_index_base_b
	.p2align	8
	.type	_ZN9rocsparseL18bsrxmvn_4x4_kernelILj128ELj8E21rocsparse_complex_numIdEliS1_IfES2_S2_EEvT3_20rocsparse_direction_NS_24const_host_device_scalarIT1_EES4_PKS4_PKT2_SD_SA_PKT4_PKT5_S8_PT6_21rocsparse_index_base_b,@function
_ZN9rocsparseL18bsrxmvn_4x4_kernelILj128ELj8E21rocsparse_complex_numIdEliS1_IfES2_S2_EEvT3_20rocsparse_direction_NS_24const_host_device_scalarIT1_EES4_PKS4_PKT2_SD_SA_PKT4_PKT5_S8_PT6_21rocsparse_index_base_b: ; @_ZN9rocsparseL18bsrxmvn_4x4_kernelILj128ELj8E21rocsparse_complex_numIdEliS1_IfES2_S2_EEvT3_20rocsparse_direction_NS_24const_host_device_scalarIT1_EES4_PKS4_PKT2_SD_SA_PKT4_PKT5_S8_PT6_21rocsparse_index_base_b
; %bb.0:
	s_clause 0x1
	s_load_b64 s[12:13], s[0:1], 0x68
	s_load_b64 s[2:3], s[0:1], 0x8
	s_add_nc_u64 s[4:5], s[0:1], 8
	s_load_b64 s[6:7], s[0:1], 0x50
	s_wait_kmcnt 0x0
	s_bitcmp1_b32 s13, 0
	s_cselect_b32 s2, s4, s2
	s_cselect_b32 s3, s5, s3
	s_delay_alu instid0(SALU_CYCLE_1)
	v_dual_mov_b32 v1, s2 :: v_dual_mov_b32 v2, s3
	s_add_nc_u64 s[2:3], s[0:1], 0x50
	s_wait_alu 0xfffe
	s_cselect_b32 s2, s2, s6
	s_cselect_b32 s3, s3, s7
	flat_load_b128 v[5:8], v[1:2]
	s_wait_alu 0xfffe
	v_dual_mov_b32 v1, s2 :: v_dual_mov_b32 v2, s3
	flat_load_b128 v[1:4], v[1:2]
	s_wait_loadcnt_dscnt 0x101
	v_cmp_eq_f64_e32 vcc_lo, 0, v[5:6]
	v_cmp_eq_f64_e64 s2, 0, v[7:8]
	s_and_b32 s4, vcc_lo, s2
	s_mov_b32 s2, -1
	s_and_saveexec_b32 s3, s4
	s_cbranch_execz .LBB171_2
; %bb.1:
	s_wait_loadcnt_dscnt 0x0
	v_cmp_neq_f64_e32 vcc_lo, 1.0, v[1:2]
	v_cmp_neq_f64_e64 s2, 0, v[3:4]
	s_wait_alu 0xfffe
	s_or_b32 s2, vcc_lo, s2
	s_wait_alu 0xfffe
	s_or_not1_b32 s2, s2, exec_lo
.LBB171_2:
	s_wait_alu 0xfffe
	s_or_b32 exec_lo, exec_lo, s3
	s_and_saveexec_b32 s3, s2
	s_cbranch_execz .LBB171_8
; %bb.3:
	s_clause 0x1
	s_load_b64 s[4:5], s[0:1], 0x20
	s_load_b64 s[2:3], s[0:1], 0x0
	v_lshrrev_b32_e32 v9, 3, v0
	s_delay_alu instid0(VALU_DEP_1)
	v_lshl_or_b32 v21, ttmp9, 4, v9
	s_wait_kmcnt 0x0
	s_cmp_lg_u64 s[4:5], 0
	s_cbranch_scc0 .LBB171_9
; %bb.4:
	s_load_b32 s6, s[0:1], 0x18
	s_mov_b32 s7, 0
                                        ; implicit-def: $vgpr9
	s_wait_kmcnt 0x0
	v_cmp_gt_i32_e32 vcc_lo, s6, v21
	s_mov_b32 s6, 0
	s_and_saveexec_b32 s8, vcc_lo
	s_delay_alu instid0(SALU_CYCLE_1)
	s_xor_b32 s8, exec_lo, s8
	s_cbranch_execz .LBB171_6
; %bb.5:
	v_ashrrev_i32_e32 v22, 31, v21
	s_mov_b32 s6, exec_lo
	s_delay_alu instid0(VALU_DEP_1) | instskip(NEXT) | instid1(VALU_DEP_1)
	v_lshlrev_b64_e32 v[9:10], 2, v[21:22]
	v_add_co_u32 v9, vcc_lo, s4, v9
	s_delay_alu instid0(VALU_DEP_1)
	v_add_co_ci_u32_e64 v10, null, s5, v10, vcc_lo
	global_load_b32 v9, v[9:10], off
	s_wait_loadcnt 0x0
	v_subrev_nc_u32_e32 v9, s12, v9
.LBB171_6:
	s_or_b32 exec_lo, exec_lo, s8
	s_delay_alu instid0(SALU_CYCLE_1)
	s_and_b32 vcc_lo, exec_lo, s7
	s_wait_alu 0xfffe
	s_cbranch_vccz .LBB171_10
.LBB171_7:
	v_cmp_gt_i32_e32 vcc_lo, s2, v21
	s_and_not1_b32 s2, s6, exec_lo
	s_and_b32 s4, vcc_lo, exec_lo
	s_wait_alu 0xfffe
	s_or_b32 s6, s2, s4
	s_wait_alu 0xfffe
	s_and_b32 exec_lo, exec_lo, s6
	s_cbranch_execnz .LBB171_11
.LBB171_8:
	s_nop 0
	s_sendmsg sendmsg(MSG_DEALLOC_VGPRS)
	s_endpgm
.LBB171_9:
	s_mov_b32 s6, 0
                                        ; implicit-def: $vgpr9
	s_cbranch_execnz .LBB171_7
.LBB171_10:
	v_mov_b32_e32 v21, v9
	s_and_b32 exec_lo, exec_lo, s6
	s_cbranch_execz .LBB171_8
.LBB171_11:
	s_load_b256 s[4:11], s[0:1], 0x28
	s_delay_alu instid0(VALU_DEP_1) | instskip(SKIP_1) | instid1(VALU_DEP_2)
	v_ashrrev_i32_e32 v22, 31, v21
	v_and_b32_e32 v0, 7, v0
	v_lshlrev_b64_e32 v[9:10], 3, v[21:22]
	s_wait_kmcnt 0x0
	s_delay_alu instid0(VALU_DEP_1) | instskip(SKIP_1) | instid1(VALU_DEP_2)
	v_add_co_u32 v11, vcc_lo, s4, v9
	s_wait_alu 0xfffd
	v_add_co_ci_u32_e64 v12, null, s5, v10, vcc_lo
	v_add_co_u32 v9, vcc_lo, s6, v9
	s_wait_alu 0xfffd
	v_add_co_ci_u32_e64 v10, null, s7, v10, vcc_lo
	;; [unrolled: 3-line block ×3, first 2 shown]
	global_load_b64 v[40:41], v[11:12], off
	s_cmp_eq_u64 s[6:7], 0
	s_load_b64 s[4:5], s[0:1], 0x48
	s_cselect_b32 vcc_lo, -1, 0
	s_cmp_eq_u32 s3, 1
	s_wait_alu 0xfffe
	v_dual_cndmask_b32 v10, v10, v14 :: v_dual_cndmask_b32 v9, v9, v13
	global_load_b64 v[9:10], v[9:10], off
	s_wait_loadcnt 0x1
	v_sub_co_u32 v11, vcc_lo, v40, s12
	s_wait_alu 0xfffd
	v_subrev_co_ci_u32_e64 v12, null, 0, v41, vcc_lo
	s_delay_alu instid0(VALU_DEP_2) | instskip(SKIP_1) | instid1(VALU_DEP_2)
	v_add_co_u32 v17, vcc_lo, v11, v0
	s_wait_alu 0xfffd
	v_add_co_ci_u32_e64 v18, null, 0, v12, vcc_lo
	s_wait_loadcnt 0x0
	v_sub_co_u32 v19, vcc_lo, v9, s12
	s_wait_alu 0xfffd
	v_subrev_co_ci_u32_e64 v20, null, 0, v10, vcc_lo
	v_lshlrev_b64_e32 v[9:10], 7, v[17:18]
	s_delay_alu instid0(VALU_DEP_2) | instskip(NEXT) | instid1(VALU_DEP_2)
	v_cmp_lt_i64_e64 s2, v[17:18], v[19:20]
	v_add_co_u32 v22, vcc_lo, s10, v9
	s_wait_alu 0xfffd
	s_delay_alu instid0(VALU_DEP_3)
	v_add_co_ci_u32_e64 v23, null, s11, v10, vcc_lo
	s_cbranch_scc1 .LBB171_23
; %bb.12:
	v_mov_b32_e32 v24, 0
	v_mov_b32_e32 v28, 0
	;; [unrolled: 1-line block ×3, first 2 shown]
	v_dual_mov_b32 v32, 0 :: v_dual_mov_b32 v25, 0
	v_dual_mov_b32 v30, 0 :: v_dual_mov_b32 v29, 0
	;; [unrolled: 1-line block ×5, first 2 shown]
	v_mov_b32_e32 v39, 0
	v_mov_b32_e32 v37, 0
	;; [unrolled: 1-line block ×3, first 2 shown]
	s_and_saveexec_b32 s6, s2
	s_cbranch_execz .LBB171_22
; %bb.13:
	v_or_b32_e32 v9, 8, v0
	v_not_b32_e32 v13, v40
	v_not_b32_e32 v11, v41
	v_mov_b32_e32 v38, 0
	v_mov_b32_e32 v30, 0
	v_sub_co_u32 v9, s3, v9, s12
	s_wait_alu 0xf1ff
	v_sub_co_ci_u32_e64 v10, null, 0, 0, s3
	v_sub_co_u32 v14, s3, s12, v0
	s_delay_alu instid0(VALU_DEP_3) | instskip(SKIP_1) | instid1(VALU_DEP_3)
	v_add_co_u32 v9, vcc_lo, v9, v40
	s_wait_alu 0xfffd
	v_add_co_ci_u32_e64 v10, null, v10, v41, vcc_lo
	s_wait_alu 0xf1ff
	v_sub_co_ci_u32_e64 v15, null, 0, 0, s3
	v_add_co_u32 v13, s3, v14, v13
	s_delay_alu instid0(VALU_DEP_3)
	v_cmp_gt_i64_e32 vcc_lo, v[9:10], v[19:20]
	v_mov_b32_e32 v26, 0
	s_wait_alu 0xf1ff
	v_add_co_ci_u32_e64 v11, null, v15, v11, s3
	v_mov_b32_e32 v32, 0
	s_wait_alu 0xfffd
	v_dual_mov_b32 v36, 0 :: v_dual_cndmask_b32 v9, v19, v9
	v_dual_cndmask_b32 v10, v20, v10 :: v_dual_mov_b32 v33, 0
	v_dual_mov_b32 v39, 0 :: v_dual_mov_b32 v28, 0
	s_delay_alu instid0(VALU_DEP_3)
	v_add_co_u32 v9, vcc_lo, v13, v9
	v_dual_mov_b32 v34, 0 :: v_dual_mov_b32 v31, 0
	v_mov_b32_e32 v24, 0
	v_dual_mov_b32 v12, 0 :: v_dual_mov_b32 v27, 0
	v_mov_b32_e32 v37, 0
	v_mov_b32_e32 v35, 0
	s_wait_alu 0xfffd
	v_add_co_ci_u32_e64 v10, null, v11, v10, vcc_lo
	v_and_b32_e32 v11, 24, v9
	v_mov_b32_e32 v29, 0
	v_mov_b32_e32 v25, 0
	v_dual_mov_b32 v45, v23 :: v_dual_mov_b32 v44, v22
	v_dual_mov_b32 v43, v18 :: v_dual_mov_b32 v42, v17
	s_mov_b32 s7, exec_lo
	v_cmpx_ne_u64_e32 24, v[11:12]
	s_cbranch_execz .LBB171_17
; %bb.14:
	v_lshrrev_b32_e32 v13, 3, v9
	v_lshlrev_b64_e32 v[11:12], 2, v[17:18]
	v_dual_mov_b32 v43, v18 :: v_dual_mov_b32 v30, 0
	v_dual_mov_b32 v31, 0 :: v_dual_mov_b32 v28, 0
	s_delay_alu instid0(VALU_DEP_4) | instskip(SKIP_2) | instid1(VALU_DEP_3)
	v_dual_mov_b32 v24, 0 :: v_dual_add_nc_u32 v13, 1, v13
	v_dual_mov_b32 v29, 0 :: v_dual_mov_b32 v38, 0
	v_add_co_u32 v11, vcc_lo, s8, v11
	v_dual_mov_b32 v34, 0 :: v_dual_and_b32 v13, 3, v13
	v_dual_mov_b32 v39, 0 :: v_dual_mov_b32 v36, 0
	v_dual_mov_b32 v35, 0 :: v_dual_mov_b32 v32, 0
	s_delay_alu instid0(VALU_DEP_3)
	v_sub_co_u32 v13, s3, 0, v13
	v_dual_mov_b32 v37, 0 :: v_dual_mov_b32 v26, 0
	v_mov_b32_e32 v45, v23
	v_dual_mov_b32 v25, 0 :: v_dual_mov_b32 v42, v17
	s_wait_alu 0xfffd
	v_add_co_ci_u32_e64 v12, null, s9, v12, vcc_lo
	s_wait_alu 0xf1ff
	v_sub_co_ci_u32_e64 v14, null, 0, 0, s3
	v_dual_mov_b32 v33, 0 :: v_dual_mov_b32 v44, v22
	v_mov_b32_e32 v27, 0
	s_mov_b32 s10, 0
.LBB171_15:                             ; =>This Inner Loop Header: Depth=1
	global_load_b32 v15, v[11:12], off
	s_clause 0x7
	global_load_b128 v[46:49], v[44:45], off
	global_load_b128 v[50:53], v[44:45], off offset:32
	global_load_b128 v[54:57], v[44:45], off offset:64
	global_load_b128 v[58:61], v[44:45], off offset:48
	global_load_b128 v[62:65], v[44:45], off offset:96
	global_load_b128 v[66:69], v[44:45], off offset:16
	global_load_b128 v[70:73], v[44:45], off offset:112
	global_load_b128 v[74:77], v[44:45], off offset:80
	v_add_co_u32 v11, s3, v11, 32
	s_wait_alu 0xf1ff
	v_add_co_ci_u32_e64 v12, null, 0, v12, s3
	s_wait_loadcnt 0x8
	v_subrev_nc_u32_e32 v15, s12, v15
	s_wait_loadcnt 0x6
	v_cvt_f64_f32_e32 v[94:95], v50
	v_cvt_f64_f32_e32 v[50:51], v51
	s_wait_loadcnt 0x5
	v_cvt_f64_f32_e32 v[96:97], v54
	v_lshlrev_b32_e32 v15, 2, v15
	v_cvt_f64_f32_e32 v[54:55], v55
	s_wait_loadcnt 0x3
	v_cvt_f64_f32_e32 v[98:99], v62
	v_cvt_f64_f32_e32 v[62:63], v63
	;; [unrolled: 1-line block ×3, first 2 shown]
	v_ashrrev_i32_e32 v16, 31, v15
	v_cvt_f64_f32_e32 v[52:53], v53
	v_cvt_f64_f32_e32 v[102:103], v56
	;; [unrolled: 1-line block ×4, first 2 shown]
	v_lshlrev_b64_e32 v[15:16], 4, v[15:16]
	v_cvt_f64_f32_e32 v[64:65], v65
	s_wait_kmcnt 0x0
	s_delay_alu instid0(VALU_DEP_2) | instskip(SKIP_1) | instid1(VALU_DEP_3)
	v_add_co_u32 v15, vcc_lo, s4, v15
	s_wait_alu 0xfffd
	v_add_co_ci_u32_e64 v16, null, s5, v16, vcc_lo
	v_add_co_u32 v44, vcc_lo, 0x400, v44
	s_wait_alu 0xfffd
	v_add_co_ci_u32_e64 v45, null, 0, v45, vcc_lo
	s_clause 0x3
	global_load_b128 v[78:81], v[15:16], off
	global_load_b128 v[82:85], v[15:16], off offset:16
	global_load_b128 v[86:89], v[15:16], off offset:32
	;; [unrolled: 1-line block ×3, first 2 shown]
	v_cvt_f64_f32_e32 v[15:16], v46
	v_cvt_f64_f32_e32 v[46:47], v47
	v_add_co_u32 v13, vcc_lo, v13, 1
	s_wait_alu 0xfffd
	v_add_co_ci_u32_e64 v14, null, 0, v14, vcc_lo
	v_add_co_u32 v42, vcc_lo, v42, 8
	s_wait_alu 0xfffd
	v_add_co_ci_u32_e64 v43, null, 0, v43, vcc_lo
	s_delay_alu instid0(VALU_DEP_3)
	v_cmp_eq_u64_e32 vcc_lo, 0, v[13:14]
	s_wait_alu 0xfffe
	s_or_b32 s10, vcc_lo, s10
	s_wait_loadcnt 0x3
	v_fma_f64 v[30:31], v[15:16], v[78:79], v[30:31]
	v_fma_f64 v[24:25], v[46:47], v[78:79], v[24:25]
	;; [unrolled: 1-line block ×8, first 2 shown]
	v_cvt_f64_f32_e32 v[78:79], v48
	v_cvt_f64_f32_e32 v[48:49], v49
	v_fma_f64 v[30:31], -v[46:47], v[80:81], v[30:31]
	v_fma_f64 v[15:16], v[15:16], v[80:81], v[24:25]
	v_fma_f64 v[24:25], -v[50:51], v[80:81], v[38:39]
	v_fma_f64 v[28:29], v[94:95], v[80:81], v[28:29]
	;; [unrolled: 2-line block ×4, first 2 shown]
	v_cvt_f64_f32_e32 v[38:39], v66
	v_cvt_f64_f32_e32 v[46:47], v67
	v_cvt_f64_f32_e32 v[50:51], v58
	v_cvt_f64_f32_e32 v[54:55], v59
	v_cvt_f64_f32_e32 v[58:59], v74
	v_cvt_f64_f32_e32 v[62:63], v75
	v_cvt_f64_f32_e32 v[66:67], v70
	v_cvt_f64_f32_e32 v[70:71], v71
	v_cvt_f64_f32_e32 v[74:75], v72
	v_cvt_f64_f32_e32 v[72:73], v73
	s_wait_loadcnt 0x2
	v_fma_f64 v[30:31], v[78:79], v[82:83], v[30:31]
	v_fma_f64 v[15:16], v[48:49], v[82:83], v[15:16]
	;; [unrolled: 1-line block ×8, first 2 shown]
	v_fma_f64 v[30:31], -v[48:49], v[84:85], v[30:31]
	v_fma_f64 v[15:16], v[78:79], v[84:85], v[15:16]
	v_fma_f64 v[24:25], -v[52:53], v[84:85], v[24:25]
	v_fma_f64 v[28:29], v[100:101], v[84:85], v[28:29]
	;; [unrolled: 2-line block ×4, first 2 shown]
	v_cvt_f64_f32_e32 v[48:49], v68
	v_cvt_f64_f32_e32 v[52:53], v69
	;; [unrolled: 1-line block ×6, first 2 shown]
	s_wait_loadcnt 0x1
	v_fma_f64 v[30:31], v[38:39], v[86:87], v[30:31]
	v_fma_f64 v[15:16], v[46:47], v[86:87], v[15:16]
	;; [unrolled: 1-line block ×8, first 2 shown]
	v_fma_f64 v[30:31], -v[46:47], v[88:89], v[30:31]
	v_fma_f64 v[15:16], v[38:39], v[88:89], v[15:16]
	v_fma_f64 v[24:25], -v[54:55], v[88:89], v[24:25]
	v_fma_f64 v[28:29], v[50:51], v[88:89], v[28:29]
	;; [unrolled: 2-line block ×4, first 2 shown]
	s_wait_loadcnt 0x0
	v_fma_f64 v[30:31], v[48:49], v[90:91], v[30:31]
	v_fma_f64 v[15:16], v[52:53], v[90:91], v[15:16]
	;; [unrolled: 1-line block ×8, first 2 shown]
	v_fma_f64 v[30:31], -v[52:53], v[92:93], v[30:31]
	v_fma_f64 v[24:25], v[48:49], v[92:93], v[15:16]
	v_fma_f64 v[38:39], -v[60:61], v[92:93], v[38:39]
	v_fma_f64 v[28:29], v[56:57], v[92:93], v[28:29]
	;; [unrolled: 2-line block ×4, first 2 shown]
	s_wait_alu 0xfffe
	s_and_not1_b32 exec_lo, exec_lo, s10
	s_cbranch_execnz .LBB171_15
; %bb.16:
	s_or_b32 exec_lo, exec_lo, s10
.LBB171_17:
	s_wait_alu 0xfffe
	s_or_b32 exec_lo, exec_lo, s7
	s_delay_alu instid0(SALU_CYCLE_1)
	s_mov_b32 s7, exec_lo
	v_cmpx_lt_u64_e32 23, v[9:10]
	s_cbranch_execz .LBB171_21
; %bb.18:
	v_lshlrev_b64_e32 v[9:10], 2, v[42:43]
	s_mov_b32 s10, 0
	s_delay_alu instid0(VALU_DEP_1) | instskip(SKIP_1) | instid1(VALU_DEP_2)
	v_add_co_u32 v9, vcc_lo, s8, v9
	s_wait_alu 0xfffd
	v_add_co_ci_u32_e64 v10, null, s9, v10, vcc_lo
	s_delay_alu instid0(VALU_DEP_2) | instskip(SKIP_1) | instid1(VALU_DEP_2)
	v_add_co_u32 v46, vcc_lo, v9, 64
	s_wait_alu 0xfffd
	v_add_co_ci_u32_e64 v47, null, 0, v10, vcc_lo
.LBB171_19:                             ; =>This Inner Loop Header: Depth=1
	global_load_b32 v48, v[46:47], off offset:-64
	s_clause 0x1
	global_load_b128 v[13:16], v[44:45], off
	global_load_b128 v[9:12], v[44:45], off offset:32
	global_load_b32 v105, v[46:47], off offset:-32
	s_clause 0x1
	global_load_b128 v[49:52], v[44:45], off offset:64
	global_load_b128 v[53:56], v[44:45], off offset:96
	s_clause 0x1
	global_load_b32 v133, v[46:47], off
	global_load_b32 v134, v[46:47], off offset:32
	v_add_co_u32 v46, s3, 0x80, v46
	s_wait_alu 0xf1ff
	v_add_co_ci_u32_e64 v47, null, 0, v47, s3
	s_wait_loadcnt 0x7
	v_subrev_nc_u32_e32 v48, s12, v48
	s_wait_loadcnt 0x6
	v_cvt_f64_f32_e32 v[109:110], v13
	v_cvt_f64_f32_e32 v[13:14], v14
	s_wait_loadcnt 0x4
	v_subrev_nc_u32_e32 v105, s12, v105
	v_cvt_f64_f32_e32 v[111:112], v9
	v_lshlrev_b32_e32 v57, 2, v48
	v_cvt_f64_f32_e32 v[9:10], v10
	s_wait_loadcnt 0x3
	v_cvt_f64_f32_e32 v[48:49], v49
	v_lshlrev_b32_e32 v105, 2, v105
	v_cvt_f64_f32_e32 v[113:114], v50
	v_ashrrev_i32_e32 v58, 31, v57
	s_wait_loadcnt 0x2
	v_cvt_f64_f32_e32 v[115:116], v53
	v_cvt_f64_f32_e32 v[53:54], v54
	v_ashrrev_i32_e32 v106, 31, v105
	v_cvt_f64_f32_e32 v[119:120], v16
	v_lshlrev_b64_e32 v[57:58], 4, v[57:58]
	v_cvt_f64_f32_e32 v[121:122], v11
	v_cvt_f64_f32_e32 v[123:124], v12
	v_lshlrev_b64_e32 v[105:106], 4, v[105:106]
	v_cvt_f64_f32_e32 v[50:51], v51
	v_cvt_f64_f32_e32 v[125:126], v52
	s_wait_kmcnt 0x0
	v_add_co_u32 v85, vcc_lo, s4, v57
	s_wait_alu 0xfffd
	v_add_co_ci_u32_e64 v86, null, s5, v58, vcc_lo
	v_add_co_u32 v117, vcc_lo, s4, v105
	s_wait_alu 0xfffd
	v_add_co_ci_u32_e64 v118, null, s5, v106, vcc_lo
	s_clause 0x1
	global_load_b128 v[57:60], v[85:86], off
	global_load_b128 v[61:64], v[85:86], off offset:16
	s_clause 0x3
	global_load_b128 v[65:68], v[44:45], off offset:16
	global_load_b128 v[69:72], v[44:45], off offset:48
	;; [unrolled: 1-line block ×4, first 2 shown]
	s_clause 0x1
	global_load_b128 v[81:84], v[85:86], off offset:32
	global_load_b128 v[85:88], v[85:86], off offset:48
	s_clause 0x3
	global_load_b128 v[89:92], v[44:45], off offset:1024
	global_load_b128 v[93:96], v[44:45], off offset:1056
	;; [unrolled: 1-line block ×4, first 2 shown]
	v_cvt_f64_f32_e32 v[127:128], v55
	v_cvt_f64_f32_e32 v[55:56], v56
	global_load_b128 v[105:108], v[117:118], off
	s_wait_loadcnt 0xc
	v_fma_f64 v[30:31], v[109:110], v[57:58], v[30:31]
	v_fma_f64 v[24:25], v[13:14], v[57:58], v[24:25]
	;; [unrolled: 1-line block ×8, first 2 shown]
	v_cvt_f64_f32_e32 v[57:58], v15
	s_wait_loadcnt 0x8
	v_cvt_f64_f32_e32 v[129:130], v73
	v_cvt_f64_f32_e32 v[73:74], v74
	s_wait_loadcnt 0x7
	v_cvt_f64_f32_e32 v[131:132], v77
	v_cvt_f64_f32_e32 v[77:78], v78
	v_fma_f64 v[13:14], -v[13:14], v[59:60], v[30:31]
	v_fma_f64 v[15:16], v[109:110], v[59:60], v[24:25]
	v_fma_f64 v[24:25], -v[9:10], v[59:60], v[38:39]
	v_fma_f64 v[28:29], v[111:112], v[59:60], v[28:29]
	;; [unrolled: 2-line block ×4, first 2 shown]
	global_load_b128 v[9:12], v[117:118], off offset:16
	v_cvt_f64_f32_e32 v[113:114], v65
	v_cvt_f64_f32_e32 v[65:66], v66
	;; [unrolled: 1-line block ×4, first 2 shown]
	v_fma_f64 v[36:37], v[57:58], v[61:62], v[13:14]
	v_fma_f64 v[38:39], v[119:120], v[61:62], v[15:16]
	;; [unrolled: 1-line block ×8, first 2 shown]
	s_clause 0x3
	global_load_b128 v[13:16], v[44:45], off offset:1040
	global_load_b128 v[24:27], v[44:45], off offset:1072
	;; [unrolled: 1-line block ×4, first 2 shown]
	v_fma_f64 v[119:120], -v[119:120], v[63:64], v[36:37]
	v_fma_f64 v[57:58], v[57:58], v[63:64], v[38:39]
	v_fma_f64 v[48:49], -v[123:124], v[63:64], v[48:49]
	v_fma_f64 v[52:53], v[121:122], v[63:64], v[52:53]
	;; [unrolled: 2-line block ×4, first 2 shown]
	global_load_b128 v[36:39], v[117:118], off offset:32
	v_cvt_f64_f32_e32 v[109:110], v68
	v_cvt_f64_f32_e32 v[111:112], v71
	;; [unrolled: 1-line block ×5, first 2 shown]
	s_wait_loadcnt 0xa
	v_cvt_f64_f32_e32 v[123:124], v89
	v_cvt_f64_f32_e32 v[89:90], v90
	s_wait_loadcnt 0x9
	v_cvt_f64_f32_e32 v[125:126], v93
	v_cvt_f64_f32_e32 v[93:94], v94
	;; [unrolled: 3-line block ×3, first 2 shown]
	v_fma_f64 v[63:64], v[113:114], v[81:82], v[119:120]
	v_fma_f64 v[56:57], v[65:66], v[81:82], v[57:58]
	;; [unrolled: 1-line block ×8, first 2 shown]
	v_cvt_f64_f32_e32 v[81:82], v67
	v_cvt_f64_f32_e32 v[119:120], v75
	v_cvt_f64_f32_e32 v[75:76], v76
	v_fma_f64 v[62:63], -v[65:66], v[83:84], v[63:64]
	v_fma_f64 v[56:57], v[113:114], v[83:84], v[56:57]
	v_fma_f64 v[64:65], -v[69:70], v[83:84], v[48:49]
	v_fma_f64 v[52:53], v[115:116], v[83:84], v[52:53]
	;; [unrolled: 2-line block ×4, first 2 shown]
	global_load_b128 v[48:51], v[117:118], off offset:48
	v_subrev_nc_u32_e32 v70, s12, v133
	s_wait_loadcnt 0x8
	v_cvt_f64_f32_e32 v[129:130], v101
	v_cvt_f64_f32_e32 v[101:102], v102
	s_delay_alu instid0(VALU_DEP_3)
	v_lshlrev_b32_e32 v70, 2, v70
	v_fma_f64 v[68:69], v[81:82], v[85:86], v[62:63]
	v_fma_f64 v[73:74], v[109:110], v[85:86], v[56:57]
	;; [unrolled: 1-line block ×8, first 2 shown]
	s_clause 0x3
	global_load_b128 v[52:55], v[44:45], off offset:2048
	global_load_b128 v[56:59], v[44:45], off offset:2080
	;; [unrolled: 1-line block ×4, first 2 shown]
	v_fma_f64 v[109:110], -v[109:110], v[87:88], v[68:69]
	v_fma_f64 v[73:74], v[81:82], v[87:88], v[73:74]
	v_fma_f64 v[77:78], -v[71:72], v[87:88], v[77:78]
	v_fma_f64 v[81:82], v[111:112], v[87:88], v[83:84]
	;; [unrolled: 2-line block ×4, first 2 shown]
	v_ashrrev_i32_e32 v71, 31, v70
	v_cvt_f64_f32_e32 v[113:114], v95
	v_cvt_f64_f32_e32 v[95:96], v96
	;; [unrolled: 1-line block ×4, first 2 shown]
	v_lshlrev_b64_e32 v[68:69], 4, v[70:71]
	v_cvt_f64_f32_e32 v[117:118], v103
	v_cvt_f64_f32_e32 v[103:104], v104
	s_delay_alu instid0(VALU_DEP_3) | instskip(SKIP_1) | instid1(VALU_DEP_4)
	v_add_co_u32 v111, vcc_lo, s4, v68
	s_wait_alu 0xfffd
	v_add_co_ci_u32_e64 v112, null, s5, v69, vcc_lo
	global_load_b128 v[68:71], v[111:112], off
	s_wait_loadcnt 0xc
	v_fma_f64 v[87:88], v[123:124], v[105:106], v[109:110]
	v_fma_f64 v[72:73], v[89:90], v[105:106], v[73:74]
	;; [unrolled: 1-line block ×8, first 2 shown]
	v_cvt_f64_f32_e32 v[105:106], v91
	v_cvt_f64_f32_e32 v[109:110], v92
	v_fma_f64 v[87:88], -v[89:90], v[107:108], v[87:88]
	v_fma_f64 v[89:90], v[123:124], v[107:108], v[72:73]
	v_fma_f64 v[76:77], -v[93:94], v[107:108], v[77:78]
	v_fma_f64 v[81:82], v[125:126], v[107:108], v[81:82]
	;; [unrolled: 2-line block ×4, first 2 shown]
	global_load_b128 v[72:75], v[111:112], off offset:16
	s_wait_loadcnt 0xc
	v_fma_f64 v[93:94], v[105:106], v[9:10], v[87:88]
	v_fma_f64 v[97:98], v[109:110], v[9:10], v[89:90]
	;; [unrolled: 1-line block ×8, first 2 shown]
	s_clause 0x3
	global_load_b128 v[76:79], v[44:45], off offset:2064
	global_load_b128 v[80:83], v[44:45], off offset:2096
	;; [unrolled: 1-line block ×4, first 2 shown]
	s_wait_loadcnt 0xf
	v_cvt_f64_f32_e32 v[125:126], v13
	v_cvt_f64_f32_e32 v[13:14], v14
	s_wait_loadcnt 0xe
	v_cvt_f64_f32_e32 v[127:128], v24
	v_cvt_f64_f32_e32 v[24:25], v25
	;; [unrolled: 3-line block ×4, first 2 shown]
	v_fma_f64 v[92:93], -v[109:110], v[11:12], v[93:94]
	v_fma_f64 v[97:98], v[105:106], v[11:12], v[97:98]
	v_fma_f64 v[94:95], -v[95:96], v[11:12], v[101:102]
	v_fma_f64 v[101:102], v[113:114], v[11:12], v[107:108]
	;; [unrolled: 2-line block ×4, first 2 shown]
	global_load_b128 v[9:12], v[111:112], off offset:32
	v_cvt_f64_f32_e32 v[109:110], v16
	v_cvt_f64_f32_e32 v[113:114], v26
	;; [unrolled: 1-line block ×7, first 2 shown]
	s_wait_loadcnt 0xc
	v_fma_f64 v[92:93], v[125:126], v[36:37], v[92:93]
	v_fma_f64 v[96:97], v[13:14], v[36:37], v[97:98]
	v_fma_f64 v[94:95], v[127:128], v[36:37], v[94:95]
	v_fma_f64 v[101:102], v[24:25], v[36:37], v[101:102]
	v_fma_f64 v[98:99], v[129:130], v[36:37], v[99:100]
	v_fma_f64 v[105:106], v[28:29], v[36:37], v[105:106]
	v_fma_f64 v[103:104], v[131:132], v[36:37], v[103:104]
	v_fma_f64 v[36:37], v[32:33], v[36:37], v[107:108]
	v_cvt_f64_f32_e32 v[107:108], v15
	v_fma_f64 v[26:27], -v[13:14], v[38:39], v[92:93]
	v_fma_f64 v[30:31], v[125:126], v[38:39], v[96:97]
	v_fma_f64 v[24:25], -v[24:25], v[38:39], v[94:95]
	v_fma_f64 v[34:35], v[127:128], v[38:39], v[101:102]
	;; [unrolled: 2-line block ×4, first 2 shown]
	global_load_b128 v[13:16], v[111:112], off offset:48
	v_subrev_nc_u32_e32 v106, s12, v134
	s_delay_alu instid0(VALU_DEP_1)
	v_lshlrev_b32_e32 v106, 2, v106
	s_wait_loadcnt 0xc
	v_fma_f64 v[94:95], v[107:108], v[48:49], v[26:27]
	v_fma_f64 v[96:97], v[109:110], v[48:49], v[30:31]
	;; [unrolled: 1-line block ×8, first 2 shown]
	s_clause 0x3
	global_load_b128 v[24:27], v[44:45], off offset:3072
	global_load_b128 v[28:31], v[44:45], off offset:3104
	;; [unrolled: 1-line block ×4, first 2 shown]
	s_wait_loadcnt 0xf
	v_cvt_f64_f32_e32 v[111:112], v52
	v_cvt_f64_f32_e32 v[52:53], v53
	s_wait_loadcnt 0xe
	v_cvt_f64_f32_e32 v[125:126], v56
	v_cvt_f64_f32_e32 v[56:57], v57
	;; [unrolled: 3-line block ×4, first 2 shown]
	v_cvt_f64_f32_e32 v[131:132], v67
	v_fma_f64 v[94:95], -v[109:110], v[50:51], v[94:95]
	v_fma_f64 v[96:97], v[107:108], v[50:51], v[96:97]
	v_fma_f64 v[98:99], -v[115:116], v[50:51], v[98:99]
	v_fma_f64 v[100:101], v[113:114], v[50:51], v[100:101]
	;; [unrolled: 2-line block ×4, first 2 shown]
	v_ashrrev_i32_e32 v107, 31, v106
	v_cvt_f64_f32_e32 v[113:114], v55
	v_cvt_f64_f32_e32 v[115:116], v58
	;; [unrolled: 1-line block ×4, first 2 shown]
	v_lshlrev_b64_e32 v[48:49], 4, v[106:107]
	v_cvt_f64_f32_e32 v[121:122], v63
	v_cvt_f64_f32_e32 v[123:124], v66
	s_delay_alu instid0(VALU_DEP_3) | instskip(SKIP_1) | instid1(VALU_DEP_4)
	v_add_co_u32 v106, vcc_lo, s4, v48
	s_wait_alu 0xfffd
	v_add_co_ci_u32_e64 v107, null, s5, v49, vcc_lo
	v_add_co_u32 v42, vcc_lo, v42, 32
	s_wait_alu 0xfffd
	v_add_co_ci_u32_e64 v43, null, 0, v43, vcc_lo
	global_load_b128 v[48:51], v[106:107], off
	s_wait_loadcnt 0xc
	v_fma_f64 v[94:95], v[111:112], v[68:69], v[94:95]
	v_fma_f64 v[96:97], v[52:53], v[68:69], v[96:97]
	;; [unrolled: 1-line block ×8, first 2 shown]
	v_cvt_f64_f32_e32 v[108:109], v54
	v_fma_f64 v[58:59], -v[52:53], v[70:71], v[94:95]
	v_fma_f64 v[62:63], v[111:112], v[70:71], v[96:97]
	v_fma_f64 v[56:57], -v[56:57], v[70:71], v[98:99]
	v_fma_f64 v[66:67], v[125:126], v[70:71], v[100:101]
	;; [unrolled: 2-line block ×4, first 2 shown]
	global_load_b128 v[52:55], v[106:107], off offset:16
	s_wait_loadcnt 0xc
	v_fma_f64 v[94:95], v[108:109], v[72:73], v[58:59]
	v_fma_f64 v[96:97], v[113:114], v[72:73], v[62:63]
	;; [unrolled: 1-line block ×8, first 2 shown]
	s_clause 0x3
	global_load_b128 v[56:59], v[44:45], off offset:3088
	global_load_b128 v[60:63], v[44:45], off offset:3120
	;; [unrolled: 1-line block ×4, first 2 shown]
	v_add_co_u32 v44, vcc_lo, 0x1000, v44
	s_wait_alu 0xfffd
	v_add_co_ci_u32_e64 v45, null, 0, v45, vcc_lo
	v_cmp_ge_i64_e32 vcc_lo, v[42:43], v[19:20]
	s_wait_loadcnt 0xf
	v_cvt_f64_f32_e32 v[110:111], v76
	v_cvt_f64_f32_e32 v[76:77], v77
	s_wait_loadcnt 0xe
	v_cvt_f64_f32_e32 v[125:126], v80
	v_cvt_f64_f32_e32 v[80:81], v81
	;; [unrolled: 3-line block ×4, first 2 shown]
	s_wait_alu 0xfffe
	s_or_b32 s10, vcc_lo, s10
	v_fma_f64 v[94:95], -v[113:114], v[74:75], v[94:95]
	v_fma_f64 v[96:97], v[108:109], v[74:75], v[96:97]
	v_fma_f64 v[98:99], -v[117:118], v[74:75], v[98:99]
	v_fma_f64 v[100:101], v[115:116], v[74:75], v[100:101]
	;; [unrolled: 2-line block ×4, first 2 shown]
	global_load_b128 v[72:75], v[106:107], off offset:32
	v_cvt_f64_f32_e32 v[112:113], v82
	v_cvt_f64_f32_e32 v[82:83], v83
	;; [unrolled: 1-line block ×6, first 2 shown]
	s_wait_loadcnt 0xc
	v_fma_f64 v[94:95], v[110:111], v[9:10], v[94:95]
	v_fma_f64 v[96:97], v[76:77], v[9:10], v[96:97]
	;; [unrolled: 1-line block ×8, first 2 shown]
	v_cvt_f64_f32_e32 v[108:109], v78
	v_cvt_f64_f32_e32 v[78:79], v79
	v_fma_f64 v[76:77], -v[76:77], v[11:12], v[94:95]
	v_fma_f64 v[94:95], v[110:111], v[11:12], v[96:97]
	v_fma_f64 v[80:81], -v[80:81], v[11:12], v[98:99]
	v_fma_f64 v[96:97], v[125:126], v[11:12], v[100:101]
	;; [unrolled: 2-line block ×4, first 2 shown]
	global_load_b128 v[9:12], v[106:107], off offset:48
	s_wait_loadcnt 0xc
	v_fma_f64 v[76:77], v[108:109], v[13:14], v[76:77]
	v_fma_f64 v[94:95], v[78:79], v[13:14], v[94:95]
	v_fma_f64 v[80:81], v[112:113], v[13:14], v[80:81]
	v_fma_f64 v[96:97], v[82:83], v[13:14], v[96:97]
	v_fma_f64 v[84:85], v[114:115], v[13:14], v[84:85]
	v_fma_f64 v[92:93], v[86:87], v[13:14], v[92:93]
	v_fma_f64 v[88:89], v[116:117], v[13:14], v[88:89]
	v_fma_f64 v[13:14], v[90:91], v[13:14], v[98:99]
	s_wait_loadcnt 0xb
	v_cvt_f64_f32_e32 v[98:99], v24
	v_cvt_f64_f32_e32 v[24:25], v25
	s_wait_loadcnt 0xa
	v_cvt_f64_f32_e32 v[100:101], v28
	v_cvt_f64_f32_e32 v[28:29], v29
	;; [unrolled: 3-line block ×4, first 2 shown]
	v_fma_f64 v[76:77], -v[78:79], v[15:16], v[76:77]
	v_fma_f64 v[78:79], v[108:109], v[15:16], v[94:95]
	v_fma_f64 v[80:81], -v[82:83], v[15:16], v[80:81]
	v_fma_f64 v[82:83], v[112:113], v[15:16], v[96:97]
	;; [unrolled: 2-line block ×4, first 2 shown]
	v_cvt_f64_f32_e32 v[90:91], v34
	v_cvt_f64_f32_e32 v[34:35], v35
	v_cvt_f64_f32_e32 v[92:93], v38
	v_cvt_f64_f32_e32 v[38:39], v39
	s_wait_loadcnt 0x7
	v_fma_f64 v[15:16], v[98:99], v[48:49], v[76:77]
	v_fma_f64 v[76:77], v[24:25], v[48:49], v[78:79]
	v_fma_f64 v[78:79], v[100:101], v[48:49], v[80:81]
	v_fma_f64 v[80:81], v[28:29], v[48:49], v[82:83]
	v_fma_f64 v[82:83], v[102:103], v[48:49], v[84:85]
	v_fma_f64 v[84:85], v[32:33], v[48:49], v[86:87]
	v_fma_f64 v[86:87], v[104:105], v[48:49], v[88:89]
	v_fma_f64 v[13:14], v[36:37], v[48:49], v[13:14]
	v_cvt_f64_f32_e32 v[48:49], v26
	v_cvt_f64_f32_e32 v[26:27], v27
	;; [unrolled: 1-line block ×4, first 2 shown]
	v_fma_f64 v[15:16], -v[24:25], v[50:51], v[15:16]
	v_fma_f64 v[24:25], v[98:99], v[50:51], v[76:77]
	v_fma_f64 v[28:29], -v[28:29], v[50:51], v[78:79]
	v_fma_f64 v[76:77], v[100:101], v[50:51], v[80:81]
	;; [unrolled: 2-line block ×4, first 2 shown]
	s_wait_loadcnt 0x6
	v_fma_f64 v[15:16], v[48:49], v[52:53], v[15:16]
	v_fma_f64 v[24:25], v[26:27], v[52:53], v[24:25]
	;; [unrolled: 1-line block ×8, first 2 shown]
	s_wait_loadcnt 0x5
	v_cvt_f64_f32_e32 v[52:53], v56
	v_cvt_f64_f32_e32 v[56:57], v57
	s_wait_loadcnt 0x4
	v_cvt_f64_f32_e32 v[78:79], v60
	v_cvt_f64_f32_e32 v[60:61], v61
	;; [unrolled: 3-line block ×4, first 2 shown]
	v_fma_f64 v[15:16], -v[26:27], v[54:55], v[15:16]
	v_fma_f64 v[24:25], v[48:49], v[54:55], v[24:25]
	v_fma_f64 v[26:27], -v[30:31], v[54:55], v[28:29]
	v_fma_f64 v[28:29], v[88:89], v[54:55], v[50:51]
	;; [unrolled: 2-line block ×4, first 2 shown]
	v_cvt_f64_f32_e32 v[36:37], v58
	v_cvt_f64_f32_e32 v[38:39], v59
	;; [unrolled: 1-line block ×8, first 2 shown]
	s_wait_loadcnt 0x1
	v_fma_f64 v[15:16], v[52:53], v[72:73], v[15:16]
	v_fma_f64 v[24:25], v[56:57], v[72:73], v[24:25]
	;; [unrolled: 1-line block ×8, first 2 shown]
	v_fma_f64 v[15:16], -v[56:57], v[74:75], v[15:16]
	v_fma_f64 v[24:25], v[52:53], v[74:75], v[24:25]
	v_fma_f64 v[26:27], -v[60:61], v[74:75], v[26:27]
	v_fma_f64 v[28:29], v[78:79], v[74:75], v[28:29]
	;; [unrolled: 2-line block ×4, first 2 shown]
	s_wait_loadcnt 0x0
	v_fma_f64 v[15:16], v[36:37], v[9:10], v[15:16]
	v_fma_f64 v[24:25], v[38:39], v[9:10], v[24:25]
	;; [unrolled: 1-line block ×8, first 2 shown]
	v_fma_f64 v[30:31], -v[38:39], v[11:12], v[15:16]
	v_fma_f64 v[24:25], v[36:37], v[11:12], v[24:25]
	v_fma_f64 v[38:39], -v[50:51], v[11:12], v[26:27]
	v_fma_f64 v[28:29], v[48:49], v[11:12], v[28:29]
	v_fma_f64 v[36:37], -v[58:59], v[11:12], v[52:53]
	v_fma_f64 v[34:35], v[54:55], v[11:12], v[32:33]
	v_fma_f64 v[26:27], -v[66:67], v[11:12], v[56:57]
	v_fma_f64 v[32:33], v[62:63], v[11:12], v[9:10]
	s_wait_alu 0xfffe
	s_and_not1_b32 exec_lo, exec_lo, s10
	s_cbranch_execnz .LBB171_19
; %bb.20:
	s_or_b32 exec_lo, exec_lo, s10
.LBB171_21:
	s_wait_alu 0xfffe
	s_or_b32 exec_lo, exec_lo, s7
.LBB171_22:
	s_wait_alu 0xfffe
	s_or_b32 exec_lo, exec_lo, s6
	s_cbranch_execz .LBB171_24
	s_branch .LBB171_35
.LBB171_23:
                                        ; implicit-def: $vgpr24_vgpr25
                                        ; implicit-def: $vgpr30_vgpr31
                                        ; implicit-def: $vgpr28_vgpr29
                                        ; implicit-def: $vgpr38_vgpr39
                                        ; implicit-def: $vgpr34_vgpr35
                                        ; implicit-def: $vgpr36_vgpr37
                                        ; implicit-def: $vgpr32_vgpr33
                                        ; implicit-def: $vgpr26_vgpr27
.LBB171_24:
	v_mov_b32_e32 v24, 0
	v_mov_b32_e32 v28, 0
	;; [unrolled: 1-line block ×3, first 2 shown]
	v_dual_mov_b32 v32, 0 :: v_dual_mov_b32 v25, 0
	v_dual_mov_b32 v30, 0 :: v_dual_mov_b32 v29, 0
	;; [unrolled: 1-line block ×5, first 2 shown]
	v_mov_b32_e32 v39, 0
	v_mov_b32_e32 v37, 0
	;; [unrolled: 1-line block ×3, first 2 shown]
	s_and_saveexec_b32 s3, s2
	s_cbranch_execz .LBB171_34
; %bb.25:
	v_or_b32_e32 v9, 8, v0
	v_not_b32_e32 v13, v40
	v_not_b32_e32 v11, v41
	v_mov_b32_e32 v34, 0
	v_mov_b32_e32 v28, 0
	v_sub_co_u32 v9, s2, v9, s12
	s_wait_alu 0xf1ff
	v_sub_co_ci_u32_e64 v10, null, 0, 0, s2
	v_sub_co_u32 v14, s2, s12, v0
	s_delay_alu instid0(VALU_DEP_3) | instskip(SKIP_1) | instid1(VALU_DEP_3)
	v_add_co_u32 v9, vcc_lo, v9, v40
	s_wait_alu 0xfffd
	v_add_co_ci_u32_e64 v10, null, v10, v41, vcc_lo
	s_wait_alu 0xf1ff
	v_sub_co_ci_u32_e64 v15, null, 0, 0, s2
	v_add_co_u32 v13, s2, v14, v13
	s_delay_alu instid0(VALU_DEP_3)
	v_cmp_gt_i64_e32 vcc_lo, v[9:10], v[19:20]
	v_mov_b32_e32 v12, 0
	s_wait_alu 0xf1ff
	v_add_co_ci_u32_e64 v11, null, v15, v11, s2
	v_mov_b32_e32 v26, 0
	s_wait_alu 0xfffd
	v_dual_mov_b32 v32, 0 :: v_dual_cndmask_b32 v9, v19, v9
	v_dual_cndmask_b32 v10, v20, v10 :: v_dual_mov_b32 v27, 0
	v_dual_mov_b32 v35, 0 :: v_dual_mov_b32 v38, 0
	s_delay_alu instid0(VALU_DEP_3)
	v_add_co_u32 v9, vcc_lo, v13, v9
	v_dual_mov_b32 v36, 0 :: v_dual_mov_b32 v29, 0
	v_mov_b32_e32 v30, 0
	v_dual_mov_b32 v24, 0 :: v_dual_mov_b32 v33, 0
	v_mov_b32_e32 v37, 0
	s_wait_alu 0xfffd
	v_add_co_ci_u32_e64 v10, null, v11, v10, vcc_lo
	v_and_b32_e32 v11, 24, v9
	v_mov_b32_e32 v39, 0
	v_mov_b32_e32 v31, 0
	;; [unrolled: 1-line block ×3, first 2 shown]
	s_mov_b32 s6, exec_lo
	v_cmpx_ne_u64_e32 24, v[11:12]
	s_cbranch_execz .LBB171_29
; %bb.26:
	v_lshrrev_b32_e32 v13, 3, v9
	v_mov_b32_e32 v28, 0
	v_lshlrev_b64_e32 v[11:12], 2, v[17:18]
	v_dual_mov_b32 v29, 0 :: v_dual_mov_b32 v38, 0
	s_delay_alu instid0(VALU_DEP_4) | instskip(SKIP_1) | instid1(VALU_DEP_4)
	v_dual_mov_b32 v24, 0 :: v_dual_add_nc_u32 v13, 1, v13
	v_dual_mov_b32 v39, 0 :: v_dual_mov_b32 v36, 0
	v_add_co_u32 v11, vcc_lo, s8, v11
	s_delay_alu instid0(VALU_DEP_3) | instskip(SKIP_2) | instid1(VALU_DEP_3)
	v_dual_mov_b32 v34, 0 :: v_dual_and_b32 v13, 3, v13
	v_dual_mov_b32 v25, 0 :: v_dual_mov_b32 v30, 0
	v_dual_mov_b32 v35, 0 :: v_dual_mov_b32 v32, 0
	v_sub_co_u32 v13, s2, 0, v13
	v_dual_mov_b32 v37, 0 :: v_dual_mov_b32 v26, 0
	v_mov_b32_e32 v31, 0
	s_wait_alu 0xfffd
	v_add_co_ci_u32_e64 v12, null, s9, v12, vcc_lo
	v_mov_b32_e32 v33, 0
	v_mov_b32_e32 v27, 0
	s_wait_alu 0xf1ff
	v_sub_co_ci_u32_e64 v14, null, 0, 0, s2
	s_mov_b32 s7, 0
.LBB171_27:                             ; =>This Inner Loop Header: Depth=1
	global_load_b32 v15, v[11:12], off
	s_clause 0x1
	global_load_b128 v[40:43], v[22:23], off
	global_load_b128 v[44:47], v[22:23], off offset:16
	v_add_co_u32 v11, s2, v11, 32
	s_wait_alu 0xf1ff
	v_add_co_ci_u32_e64 v12, null, 0, v12, s2
	s_wait_loadcnt 0x2
	v_subrev_nc_u32_e32 v15, s12, v15
	s_wait_loadcnt 0x1
	v_cvt_f64_f32_e32 v[88:89], v42
	v_cvt_f64_f32_e32 v[42:43], v43
	s_wait_loadcnt 0x0
	v_cvt_f64_f32_e32 v[90:91], v44
	v_cvt_f64_f32_e32 v[44:45], v45
	v_lshlrev_b32_e32 v15, 2, v15
	v_cvt_f64_f32_e32 v[92:93], v46
	v_cvt_f64_f32_e32 v[46:47], v47
	s_delay_alu instid0(VALU_DEP_3) | instskip(NEXT) | instid1(VALU_DEP_1)
	v_ashrrev_i32_e32 v16, 31, v15
	v_lshlrev_b64_e32 v[15:16], 4, v[15:16]
	s_wait_kmcnt 0x0
	s_delay_alu instid0(VALU_DEP_1) | instskip(SKIP_1) | instid1(VALU_DEP_2)
	v_add_co_u32 v15, vcc_lo, s4, v15
	s_wait_alu 0xfffd
	v_add_co_ci_u32_e64 v16, null, s5, v16, vcc_lo
	s_clause 0x1
	global_load_b128 v[48:51], v[15:16], off
	global_load_b128 v[52:55], v[15:16], off offset:16
	s_clause 0x3
	global_load_b128 v[56:59], v[22:23], off offset:32
	global_load_b128 v[60:63], v[22:23], off offset:48
	;; [unrolled: 1-line block ×4, first 2 shown]
	s_clause 0x1
	global_load_b128 v[72:75], v[15:16], off offset:32
	global_load_b128 v[76:79], v[15:16], off offset:48
	s_clause 0x1
	global_load_b128 v[80:83], v[22:23], off offset:96
	global_load_b128 v[84:87], v[22:23], off offset:112
	v_cvt_f64_f32_e32 v[15:16], v40
	v_cvt_f64_f32_e32 v[40:41], v41
	v_add_co_u32 v22, vcc_lo, 0x400, v22
	s_wait_alu 0xfffd
	v_add_co_ci_u32_e64 v23, null, 0, v23, vcc_lo
	v_add_co_u32 v13, vcc_lo, v13, 1
	s_wait_alu 0xfffd
	v_add_co_ci_u32_e64 v14, null, 0, v14, vcc_lo
	v_add_co_u32 v17, vcc_lo, v17, 8
	s_wait_alu 0xfffd
	v_add_co_ci_u32_e64 v18, null, 0, v18, vcc_lo
	s_delay_alu instid0(VALU_DEP_3)
	v_cmp_eq_u64_e32 vcc_lo, 0, v[13:14]
	s_wait_alu 0xfffe
	s_or_b32 s7, vcc_lo, s7
	s_wait_loadcnt 0x9
	v_fma_f64 v[30:31], v[15:16], v[48:49], v[30:31]
	v_fma_f64 v[24:25], v[40:41], v[48:49], v[24:25]
	;; [unrolled: 1-line block ×8, first 2 shown]
	s_wait_loadcnt 0x7
	v_cvt_f64_f32_e32 v[48:49], v56
	v_cvt_f64_f32_e32 v[56:57], v57
	;; [unrolled: 1-line block ×4, first 2 shown]
	s_wait_loadcnt 0x6
	v_cvt_f64_f32_e32 v[96:97], v60
	v_cvt_f64_f32_e32 v[60:61], v61
	;; [unrolled: 1-line block ×4, first 2 shown]
	v_fma_f64 v[30:31], -v[40:41], v[50:51], v[30:31]
	v_fma_f64 v[15:16], v[15:16], v[50:51], v[24:25]
	v_fma_f64 v[24:25], -v[42:43], v[50:51], v[38:39]
	v_fma_f64 v[28:29], v[88:89], v[50:51], v[28:29]
	;; [unrolled: 2-line block ×4, first 2 shown]
	s_wait_loadcnt 0x5
	v_cvt_f64_f32_e32 v[38:39], v64
	v_cvt_f64_f32_e32 v[40:41], v65
	;; [unrolled: 1-line block ×4, first 2 shown]
	s_wait_loadcnt 0x4
	v_cvt_f64_f32_e32 v[46:47], v68
	v_cvt_f64_f32_e32 v[50:51], v69
	v_cvt_f64_f32_e32 v[64:65], v71
	s_wait_loadcnt 0x0
	v_cvt_f64_f32_e32 v[66:67], v86
	v_cvt_f64_f32_e32 v[68:69], v87
	v_fma_f64 v[30:31], v[48:49], v[52:53], v[30:31]
	v_fma_f64 v[15:16], v[56:57], v[52:53], v[15:16]
	;; [unrolled: 1-line block ×8, first 2 shown]
	v_cvt_f64_f32_e32 v[52:53], v70
	v_fma_f64 v[30:31], -v[56:57], v[54:55], v[30:31]
	v_fma_f64 v[15:16], v[48:49], v[54:55], v[15:16]
	v_fma_f64 v[24:25], -v[58:59], v[54:55], v[24:25]
	v_fma_f64 v[28:29], v[94:95], v[54:55], v[28:29]
	;; [unrolled: 2-line block ×4, first 2 shown]
	v_cvt_f64_f32_e32 v[48:49], v80
	v_cvt_f64_f32_e32 v[54:55], v81
	;; [unrolled: 1-line block ×6, first 2 shown]
	v_fma_f64 v[30:31], v[38:39], v[72:73], v[30:31]
	v_fma_f64 v[15:16], v[40:41], v[72:73], v[15:16]
	;; [unrolled: 1-line block ×8, first 2 shown]
	v_fma_f64 v[30:31], -v[40:41], v[74:75], v[30:31]
	v_fma_f64 v[15:16], v[38:39], v[74:75], v[15:16]
	v_fma_f64 v[24:25], -v[44:45], v[74:75], v[24:25]
	v_fma_f64 v[28:29], v[42:43], v[74:75], v[28:29]
	;; [unrolled: 2-line block ×4, first 2 shown]
	v_fma_f64 v[30:31], v[48:49], v[76:77], v[30:31]
	v_fma_f64 v[15:16], v[54:55], v[76:77], v[15:16]
	;; [unrolled: 1-line block ×8, first 2 shown]
	v_fma_f64 v[30:31], -v[54:55], v[78:79], v[30:31]
	v_fma_f64 v[24:25], v[48:49], v[78:79], v[15:16]
	v_fma_f64 v[38:39], -v[58:59], v[78:79], v[38:39]
	v_fma_f64 v[28:29], v[56:57], v[78:79], v[28:29]
	;; [unrolled: 2-line block ×4, first 2 shown]
	s_wait_alu 0xfffe
	s_and_not1_b32 exec_lo, exec_lo, s7
	s_cbranch_execnz .LBB171_27
; %bb.28:
	s_or_b32 exec_lo, exec_lo, s7
.LBB171_29:
	s_wait_alu 0xfffe
	s_or_b32 exec_lo, exec_lo, s6
	s_delay_alu instid0(SALU_CYCLE_1)
	s_mov_b32 s6, exec_lo
	v_cmpx_lt_u64_e32 23, v[9:10]
	s_cbranch_execz .LBB171_33
; %bb.30:
	v_lshlrev_b64_e32 v[9:10], 2, v[17:18]
	s_mov_b32 s7, 0
	s_delay_alu instid0(VALU_DEP_1) | instskip(SKIP_1) | instid1(VALU_DEP_2)
	v_add_co_u32 v9, vcc_lo, s8, v9
	s_wait_alu 0xfffd
	v_add_co_ci_u32_e64 v10, null, s9, v10, vcc_lo
	s_delay_alu instid0(VALU_DEP_2) | instskip(SKIP_1) | instid1(VALU_DEP_2)
	v_add_co_u32 v9, vcc_lo, v9, 64
	s_wait_alu 0xfffd
	v_add_co_ci_u32_e64 v10, null, 0, v10, vcc_lo
.LBB171_31:                             ; =>This Inner Loop Header: Depth=1
	global_load_b32 v15, v[9:10], off offset:-64
	global_load_b128 v[11:14], v[22:23], off
	global_load_b32 v98, v[9:10], off offset:-32
	global_load_b128 v[40:43], v[22:23], off offset:16
	s_clause 0x1
	global_load_b32 v120, v[9:10], off
	global_load_b32 v126, v[9:10], off offset:32
	v_add_co_u32 v9, s2, 0x80, v9
	s_wait_alu 0xf1ff
	v_add_co_ci_u32_e64 v10, null, 0, v10, s2
	s_wait_loadcnt 0x5
	v_subrev_nc_u32_e32 v15, s12, v15
	s_wait_loadcnt 0x4
	v_cvt_f64_f32_e32 v[92:93], v12
	v_cvt_f64_f32_e32 v[94:95], v13
	;; [unrolled: 1-line block ×3, first 2 shown]
	s_wait_loadcnt 0x2
	v_cvt_f64_f32_e32 v[100:101], v42
	v_lshlrev_b32_e32 v15, 2, v15
	v_cvt_f64_f32_e32 v[42:43], v43
	s_delay_alu instid0(VALU_DEP_2) | instskip(NEXT) | instid1(VALU_DEP_1)
	v_ashrrev_i32_e32 v16, 31, v15
	v_lshlrev_b64_e32 v[15:16], 4, v[15:16]
	s_wait_kmcnt 0x0
	s_delay_alu instid0(VALU_DEP_1) | instskip(SKIP_1) | instid1(VALU_DEP_2)
	v_add_co_u32 v15, vcc_lo, s4, v15
	s_wait_alu 0xfffd
	v_add_co_ci_u32_e64 v16, null, s5, v16, vcc_lo
	s_clause 0x1
	global_load_b128 v[44:47], v[15:16], off
	global_load_b128 v[48:51], v[15:16], off offset:16
	s_clause 0x3
	global_load_b128 v[52:55], v[22:23], off offset:32
	global_load_b128 v[56:59], v[22:23], off offset:48
	;; [unrolled: 1-line block ×5, first 2 shown]
	s_clause 0x1
	global_load_b128 v[72:75], v[22:23], off offset:96
	global_load_b128 v[76:79], v[22:23], off offset:112
	;; [unrolled: 1-line block ×3, first 2 shown]
	s_clause 0x1
	global_load_b128 v[84:87], v[22:23], off offset:1024
	global_load_b128 v[88:91], v[22:23], off offset:1040
	v_cvt_f64_f32_e32 v[15:16], v11
	v_subrev_nc_u32_e32 v11, s12, v98
	v_cvt_f64_f32_e32 v[98:99], v40
	v_cvt_f64_f32_e32 v[40:41], v41
	s_delay_alu instid0(VALU_DEP_3) | instskip(NEXT) | instid1(VALU_DEP_1)
	v_lshlrev_b32_e32 v11, 2, v11
	v_ashrrev_i32_e32 v12, 31, v11
	s_delay_alu instid0(VALU_DEP_1) | instskip(NEXT) | instid1(VALU_DEP_1)
	v_lshlrev_b64_e32 v[11:12], 4, v[11:12]
	v_add_co_u32 v102, vcc_lo, s4, v11
	s_wait_alu 0xfffd
	s_delay_alu instid0(VALU_DEP_2)
	v_add_co_ci_u32_e64 v103, null, s5, v12, vcc_lo
	global_load_b128 v[11:14], v[102:103], off
	s_wait_loadcnt 0xc
	v_fma_f64 v[104:105], v[15:16], v[44:45], v[30:31]
	v_fma_f64 v[106:107], v[92:93], v[44:45], v[24:25]
	;; [unrolled: 1-line block ×8, first 2 shown]
	s_clause 0x1
	global_load_b128 v[24:27], v[22:23], off offset:1056
	global_load_b128 v[28:31], v[22:23], off offset:1072
	s_wait_loadcnt 0xc
	v_cvt_f64_f32_e32 v[44:45], v52
	v_cvt_f64_f32_e32 v[52:53], v53
	;; [unrolled: 1-line block ×4, first 2 shown]
	s_wait_loadcnt 0xb
	v_cvt_f64_f32_e32 v[114:115], v56
	v_cvt_f64_f32_e32 v[56:57], v57
	;; [unrolled: 1-line block ×4, first 2 shown]
	s_wait_loadcnt 0x9
	v_cvt_f64_f32_e32 v[118:119], v66
	v_cvt_f64_f32_e32 v[66:67], v67
	v_fma_f64 v[92:93], -v[92:93], v[46:47], v[104:105]
	v_fma_f64 v[15:16], v[15:16], v[46:47], v[106:107]
	v_fma_f64 v[38:39], -v[96:97], v[46:47], v[38:39]
	v_fma_f64 v[94:95], v[94:95], v[46:47], v[108:109]
	;; [unrolled: 2-line block ×4, first 2 shown]
	global_load_b128 v[32:35], v[102:103], off offset:16
	v_cvt_f64_f32_e32 v[106:107], v60
	v_cvt_f64_f32_e32 v[60:61], v61
	;; [unrolled: 1-line block ×6, first 2 shown]
	v_fma_f64 v[92:93], v[44:45], v[48:49], v[92:93]
	v_fma_f64 v[15:16], v[52:53], v[48:49], v[15:16]
	;; [unrolled: 1-line block ×8, first 2 shown]
	s_clause 0x1
	global_load_b128 v[36:39], v[22:23], off offset:1088
	global_load_b128 v[40:43], v[22:23], off offset:1104
	v_fma_f64 v[48:49], -v[52:53], v[50:51], v[92:93]
	v_fma_f64 v[15:16], v[44:45], v[50:51], v[15:16]
	v_fma_f64 v[52:53], -v[54:55], v[50:51], v[96:97]
	v_fma_f64 v[54:55], v[112:113], v[50:51], v[94:95]
	;; [unrolled: 2-line block ×4, first 2 shown]
	global_load_b128 v[44:47], v[102:103], off offset:32
	s_wait_loadcnt 0xb
	v_cvt_f64_f32_e32 v[100:101], v72
	v_cvt_f64_f32_e32 v[72:73], v73
	;; [unrolled: 1-line block ×4, first 2 shown]
	s_wait_loadcnt 0xa
	v_cvt_f64_f32_e32 v[112:113], v76
	v_cvt_f64_f32_e32 v[76:77], v77
	;; [unrolled: 1-line block ×4, first 2 shown]
	v_subrev_nc_u32_e32 v116, s12, v120
	s_delay_alu instid0(VALU_DEP_1) | instskip(NEXT) | instid1(VALU_DEP_1)
	v_lshlrev_b32_e32 v116, 2, v116
	v_ashrrev_i32_e32 v117, 31, v116
	v_fma_f64 v[94:95], v[106:107], v[68:69], v[48:49]
	v_fma_f64 v[15:16], v[60:61], v[68:69], v[15:16]
	;; [unrolled: 1-line block ×8, first 2 shown]
	s_clause 0x1
	global_load_b128 v[48:51], v[22:23], off offset:1120
	global_load_b128 v[52:55], v[22:23], off offset:1136
	v_fma_f64 v[60:61], -v[60:61], v[70:71], v[94:95]
	v_fma_f64 v[15:16], v[106:107], v[70:71], v[15:16]
	v_fma_f64 v[62:63], -v[62:63], v[70:71], v[96:97]
	v_fma_f64 v[94:95], v[108:109], v[70:71], v[98:99]
	;; [unrolled: 2-line block ×4, first 2 shown]
	global_load_b128 v[56:59], v[102:103], off offset:48
	s_wait_loadcnt 0xb
	v_cvt_f64_f32_e32 v[106:107], v86
	v_cvt_f64_f32_e32 v[86:87], v87
	s_wait_loadcnt 0xa
	v_cvt_f64_f32_e32 v[108:109], v88
	v_cvt_f64_f32_e32 v[88:89], v89
	;; [unrolled: 1-line block ×4, first 2 shown]
	v_fma_f64 v[70:71], v[100:101], v[80:81], v[60:61]
	v_fma_f64 v[15:16], v[72:73], v[80:81], v[15:16]
	v_fma_f64 v[96:97], v[104:105], v[80:81], v[62:63]
	v_fma_f64 v[94:95], v[74:75], v[80:81], v[94:95]
	v_fma_f64 v[98:99], v[112:113], v[80:81], v[64:65]
	v_fma_f64 v[92:93], v[76:77], v[80:81], v[92:93]
	v_fma_f64 v[102:103], v[114:115], v[80:81], v[66:67]
	v_fma_f64 v[68:69], v[78:79], v[80:81], v[68:69]
	s_clause 0x1
	global_load_b128 v[60:63], v[22:23], off offset:2048
	global_load_b128 v[64:67], v[22:23], off offset:2064
	v_cvt_f64_f32_e32 v[80:81], v84
	v_cvt_f64_f32_e32 v[84:85], v85
	v_fma_f64 v[72:73], -v[72:73], v[82:83], v[70:71]
	v_fma_f64 v[15:16], v[100:101], v[82:83], v[15:16]
	v_fma_f64 v[74:75], -v[74:75], v[82:83], v[96:97]
	v_fma_f64 v[94:95], v[104:105], v[82:83], v[94:95]
	;; [unrolled: 2-line block ×4, first 2 shown]
	v_lshlrev_b64_e32 v[68:69], 4, v[116:117]
	s_delay_alu instid0(VALU_DEP_1) | instskip(SKIP_1) | instid1(VALU_DEP_2)
	v_add_co_u32 v96, vcc_lo, s4, v68
	s_wait_alu 0xfffd
	v_add_co_ci_u32_e64 v97, null, s5, v69, vcc_lo
	global_load_b128 v[68:71], v[96:97], off
	s_wait_loadcnt 0xc
	v_fma_f64 v[98:99], v[80:81], v[11:12], v[72:73]
	v_fma_f64 v[15:16], v[84:85], v[11:12], v[15:16]
	v_fma_f64 v[100:101], v[106:107], v[11:12], v[74:75]
	v_fma_f64 v[94:95], v[86:87], v[11:12], v[94:95]
	v_fma_f64 v[102:103], v[108:109], v[11:12], v[76:77]
	v_fma_f64 v[92:93], v[88:89], v[11:12], v[92:93]
	v_fma_f64 v[104:105], v[110:111], v[11:12], v[78:79]
	v_fma_f64 v[11:12], v[90:91], v[11:12], v[82:83]
	s_clause 0x1
	global_load_b128 v[72:75], v[22:23], off offset:2080
	global_load_b128 v[76:79], v[22:23], off offset:2096
	s_wait_loadcnt 0xd
	v_cvt_f64_f32_e32 v[82:83], v24
	v_cvt_f64_f32_e32 v[112:113], v25
	v_cvt_f64_f32_e32 v[114:115], v26
	v_cvt_f64_f32_e32 v[116:117], v27
	s_wait_loadcnt 0xc
	v_cvt_f64_f32_e32 v[118:119], v28
	v_cvt_f64_f32_e32 v[120:121], v29
	v_cvt_f64_f32_e32 v[122:123], v30
	v_cvt_f64_f32_e32 v[124:125], v31
	v_fma_f64 v[24:25], -v[84:85], v[13:14], v[98:99]
	v_fma_f64 v[15:16], v[80:81], v[13:14], v[15:16]
	v_fma_f64 v[26:27], -v[86:87], v[13:14], v[100:101]
	v_fma_f64 v[28:29], v[106:107], v[13:14], v[94:95]
	v_fma_f64 v[30:31], -v[88:89], v[13:14], v[102:103]
	v_fma_f64 v[80:81], v[108:109], v[13:14], v[92:93]
	v_fma_f64 v[84:85], -v[90:91], v[13:14], v[104:105]
	v_fma_f64 v[86:87], v[110:111], v[13:14], v[11:12]
	global_load_b128 v[11:14], v[96:97], off offset:16
	s_wait_loadcnt 0xc
	v_fma_f64 v[88:89], v[82:83], v[32:33], v[24:25]
	v_fma_f64 v[15:16], v[112:113], v[32:33], v[15:16]
	v_fma_f64 v[90:91], v[114:115], v[32:33], v[26:27]
	v_fma_f64 v[92:93], v[116:117], v[32:33], v[28:29]
	v_fma_f64 v[94:95], v[118:119], v[32:33], v[30:31]
	v_fma_f64 v[80:81], v[120:121], v[32:33], v[80:81]
	v_fma_f64 v[84:85], v[122:123], v[32:33], v[84:85]
	v_fma_f64 v[32:33], v[124:125], v[32:33], v[86:87]
	s_clause 0x1
	global_load_b128 v[24:27], v[22:23], off offset:2112
	global_load_b128 v[28:31], v[22:23], off offset:2128
	s_wait_loadcnt 0xd
	v_cvt_f64_f32_e32 v[86:87], v36
	v_cvt_f64_f32_e32 v[98:99], v37
	v_cvt_f64_f32_e32 v[100:101], v38
	v_cvt_f64_f32_e32 v[102:103], v39
	s_wait_loadcnt 0xc
	v_cvt_f64_f32_e32 v[104:105], v40
	v_cvt_f64_f32_e32 v[106:107], v41
	v_cvt_f64_f32_e32 v[108:109], v42
	v_cvt_f64_f32_e32 v[110:111], v43
	v_fma_f64 v[36:37], -v[112:113], v[34:35], v[88:89]
	v_fma_f64 v[15:16], v[82:83], v[34:35], v[15:16]
	v_fma_f64 v[38:39], -v[116:117], v[34:35], v[90:91]
	v_fma_f64 v[40:41], v[114:115], v[34:35], v[92:93]
	v_fma_f64 v[42:43], -v[120:121], v[34:35], v[94:95]
	v_fma_f64 v[80:81], v[118:119], v[34:35], v[80:81]
	v_fma_f64 v[82:83], -v[124:125], v[34:35], v[84:85]
	v_fma_f64 v[84:85], v[122:123], v[34:35], v[32:33]
	global_load_b128 v[32:35], v[96:97], off offset:32
	;; [unrolled: 31-line block ×3, first 2 shown]
	s_wait_loadcnt 0xc
	v_fma_f64 v[88:89], v[84:85], v[56:57], v[48:49]
	v_fma_f64 v[15:16], v[112:113], v[56:57], v[15:16]
	;; [unrolled: 1-line block ×8, first 2 shown]
	s_clause 0x1
	global_load_b128 v[48:51], v[22:23], off offset:3072
	global_load_b128 v[52:55], v[22:23], off offset:3088
	s_wait_loadcnt 0xd
	v_cvt_f64_f32_e32 v[86:87], v60
	v_subrev_nc_u32_e32 v60, s12, v126
	v_cvt_f64_f32_e32 v[96:97], v61
	v_cvt_f64_f32_e32 v[98:99], v62
	;; [unrolled: 1-line block ×3, first 2 shown]
	s_wait_loadcnt 0xc
	v_cvt_f64_f32_e32 v[102:103], v64
	v_lshlrev_b32_e32 v60, 2, v60
	v_cvt_f64_f32_e32 v[104:105], v65
	v_cvt_f64_f32_e32 v[106:107], v66
	;; [unrolled: 1-line block ×3, first 2 shown]
	s_delay_alu instid0(VALU_DEP_4)
	v_ashrrev_i32_e32 v61, 31, v60
	v_fma_f64 v[62:63], -v[112:113], v[58:59], v[88:89]
	v_fma_f64 v[15:16], v[84:85], v[58:59], v[15:16]
	v_fma_f64 v[64:65], -v[116:117], v[58:59], v[90:91]
	v_fma_f64 v[66:67], v[114:115], v[58:59], v[92:93]
	;; [unrolled: 2-line block ×4, first 2 shown]
	v_lshlrev_b64_e32 v[56:57], 4, v[60:61]
	s_delay_alu instid0(VALU_DEP_1) | instskip(SKIP_1) | instid1(VALU_DEP_2)
	v_add_co_u32 v90, vcc_lo, s4, v56
	s_wait_alu 0xfffd
	v_add_co_ci_u32_e64 v91, null, s5, v57, vcc_lo
	v_add_co_u32 v17, vcc_lo, v17, 32
	s_wait_alu 0xfffd
	v_add_co_ci_u32_e64 v18, null, 0, v18, vcc_lo
	global_load_b128 v[56:59], v[90:91], off
	s_wait_loadcnt 0xc
	v_fma_f64 v[92:93], v[86:87], v[68:69], v[62:63]
	v_fma_f64 v[15:16], v[96:97], v[68:69], v[15:16]
	;; [unrolled: 1-line block ×8, first 2 shown]
	s_clause 0x1
	global_load_b128 v[60:63], v[22:23], off offset:3104
	global_load_b128 v[64:67], v[22:23], off offset:3120
	s_wait_loadcnt 0xd
	v_cvt_f64_f32_e32 v[88:89], v72
	v_cvt_f64_f32_e32 v[112:113], v73
	;; [unrolled: 1-line block ×4, first 2 shown]
	s_wait_loadcnt 0xc
	v_cvt_f64_f32_e32 v[118:119], v76
	v_cvt_f64_f32_e32 v[120:121], v77
	;; [unrolled: 1-line block ×4, first 2 shown]
	v_fma_f64 v[72:73], -v[96:97], v[70:71], v[92:93]
	v_fma_f64 v[15:16], v[86:87], v[70:71], v[15:16]
	v_fma_f64 v[74:75], -v[100:101], v[70:71], v[94:95]
	v_fma_f64 v[76:77], v[98:99], v[70:71], v[110:111]
	;; [unrolled: 2-line block ×4, first 2 shown]
	global_load_b128 v[68:71], v[90:91], off offset:16
	s_wait_loadcnt 0xc
	v_fma_f64 v[86:87], v[88:89], v[11:12], v[72:73]
	v_fma_f64 v[15:16], v[112:113], v[11:12], v[15:16]
	;; [unrolled: 1-line block ×8, first 2 shown]
	s_clause 0x1
	global_load_b128 v[72:75], v[22:23], off offset:3136
	global_load_b128 v[76:79], v[22:23], off offset:3152
	s_wait_loadcnt 0xd
	v_cvt_f64_f32_e32 v[84:85], v24
	v_cvt_f64_f32_e32 v[98:99], v25
	;; [unrolled: 1-line block ×4, first 2 shown]
	s_wait_loadcnt 0xc
	v_cvt_f64_f32_e32 v[104:105], v28
	v_cvt_f64_f32_e32 v[106:107], v29
	;; [unrolled: 1-line block ×4, first 2 shown]
	v_fma_f64 v[24:25], -v[112:113], v[13:14], v[86:87]
	v_fma_f64 v[15:16], v[88:89], v[13:14], v[15:16]
	v_fma_f64 v[26:27], -v[116:117], v[13:14], v[92:93]
	v_fma_f64 v[28:29], v[114:115], v[13:14], v[94:95]
	;; [unrolled: 2-line block ×4, first 2 shown]
	global_load_b128 v[11:14], v[90:91], off offset:32
	s_wait_loadcnt 0xc
	v_fma_f64 v[88:89], v[84:85], v[32:33], v[24:25]
	v_fma_f64 v[15:16], v[98:99], v[32:33], v[15:16]
	;; [unrolled: 1-line block ×8, first 2 shown]
	s_clause 0x1
	global_load_b128 v[24:27], v[22:23], off offset:3168
	global_load_b128 v[28:31], v[22:23], off offset:3184
	v_add_co_u32 v22, vcc_lo, 0x1000, v22
	s_wait_alu 0xfffd
	v_add_co_ci_u32_e64 v23, null, 0, v23, vcc_lo
	v_cmp_ge_i64_e32 vcc_lo, v[17:18], v[19:20]
	s_wait_alu 0xfffe
	s_or_b32 s7, vcc_lo, s7
	s_wait_loadcnt 0xd
	v_cvt_f64_f32_e32 v[86:87], v36
	v_cvt_f64_f32_e32 v[36:37], v37
	;; [unrolled: 1-line block ×4, first 2 shown]
	s_wait_loadcnt 0xc
	v_cvt_f64_f32_e32 v[116:117], v40
	v_cvt_f64_f32_e32 v[118:119], v41
	;; [unrolled: 1-line block ×4, first 2 shown]
	global_load_b128 v[38:41], v[90:91], off offset:48
	v_fma_f64 v[88:89], -v[98:99], v[34:35], v[88:89]
	v_fma_f64 v[15:16], v[84:85], v[34:35], v[15:16]
	v_fma_f64 v[84:85], -v[102:103], v[34:35], v[92:93]
	v_fma_f64 v[92:93], v[100:101], v[34:35], v[94:95]
	v_fma_f64 v[94:95], -v[106:107], v[34:35], v[96:97]
	v_fma_f64 v[80:81], v[104:105], v[34:35], v[80:81]
	v_fma_f64 v[82:83], -v[110:111], v[34:35], v[82:83]
	v_fma_f64 v[32:33], v[108:109], v[34:35], v[32:33]
	s_wait_loadcnt 0xc
	v_fma_f64 v[34:35], v[86:87], v[44:45], v[88:89]
	v_fma_f64 v[15:16], v[36:37], v[44:45], v[15:16]
	v_fma_f64 v[84:85], v[112:113], v[44:45], v[84:85]
	v_fma_f64 v[88:89], v[114:115], v[44:45], v[92:93]
	v_fma_f64 v[90:91], v[116:117], v[44:45], v[94:95]
	v_fma_f64 v[80:81], v[118:119], v[44:45], v[80:81]
	v_fma_f64 v[82:83], v[120:121], v[44:45], v[82:83]
	v_fma_f64 v[32:33], v[42:43], v[44:45], v[32:33]
	s_wait_loadcnt 0xb
	v_cvt_f64_f32_e32 v[44:45], v48
	v_cvt_f64_f32_e32 v[48:49], v49
	v_cvt_f64_f32_e32 v[92:93], v50
	v_cvt_f64_f32_e32 v[50:51], v51
	s_wait_loadcnt 0xa
	v_cvt_f64_f32_e32 v[94:95], v52
	v_cvt_f64_f32_e32 v[52:53], v53
	v_cvt_f64_f32_e32 v[96:97], v54
	v_cvt_f64_f32_e32 v[54:55], v55
	v_fma_f64 v[34:35], -v[36:37], v[46:47], v[34:35]
	v_fma_f64 v[15:16], v[86:87], v[46:47], v[15:16]
	v_fma_f64 v[36:37], -v[114:115], v[46:47], v[84:85]
	v_fma_f64 v[84:85], v[112:113], v[46:47], v[88:89]
	v_fma_f64 v[86:87], -v[118:119], v[46:47], v[90:91]
	v_fma_f64 v[80:81], v[116:117], v[46:47], v[80:81]
	v_fma_f64 v[42:43], -v[42:43], v[46:47], v[82:83]
	v_fma_f64 v[32:33], v[120:121], v[46:47], v[32:33]
	s_wait_loadcnt 0x9
	v_fma_f64 v[34:35], v[44:45], v[56:57], v[34:35]
	v_fma_f64 v[15:16], v[48:49], v[56:57], v[15:16]
	v_fma_f64 v[36:37], v[92:93], v[56:57], v[36:37]
	v_fma_f64 v[46:47], v[50:51], v[56:57], v[84:85]
	v_fma_f64 v[82:83], v[94:95], v[56:57], v[86:87]
	v_fma_f64 v[80:81], v[52:53], v[56:57], v[80:81]
	v_fma_f64 v[42:43], v[96:97], v[56:57], v[42:43]
	v_fma_f64 v[32:33], v[54:55], v[56:57], v[32:33]
	s_wait_loadcnt 0x8
	v_cvt_f64_f32_e32 v[56:57], v60
	v_cvt_f64_f32_e32 v[60:61], v61
	v_cvt_f64_f32_e32 v[84:85], v62
	v_cvt_f64_f32_e32 v[62:63], v63
	s_wait_loadcnt 0x7
	v_cvt_f64_f32_e32 v[86:87], v64
	v_cvt_f64_f32_e32 v[64:65], v65
	v_cvt_f64_f32_e32 v[88:89], v66
	v_cvt_f64_f32_e32 v[66:67], v67
	;; [unrolled: 27-line block ×4, first 2 shown]
	v_fma_f64 v[28:29], -v[52:53], v[13:14], v[34:35]
	v_fma_f64 v[15:16], v[50:51], v[13:14], v[15:16]
	v_fma_f64 v[30:31], -v[58:59], v[13:14], v[36:37]
	v_fma_f64 v[34:35], v[54:55], v[13:14], v[44:45]
	;; [unrolled: 2-line block ×4, first 2 shown]
	s_wait_loadcnt 0x0
	v_fma_f64 v[13:14], v[32:33], v[38:39], v[28:29]
	v_fma_f64 v[15:16], v[24:25], v[38:39], v[15:16]
	;; [unrolled: 1-line block ×8, first 2 shown]
	v_fma_f64 v[30:31], -v[24:25], v[40:41], v[13:14]
	v_fma_f64 v[24:25], v[32:33], v[40:41], v[15:16]
	v_fma_f64 v[38:39], -v[26:27], v[40:41], v[28:29]
	v_fma_f64 v[28:29], v[56:57], v[40:41], v[34:35]
	v_fma_f64 v[36:37], -v[62:63], v[40:41], v[36:37]
	v_fma_f64 v[34:35], v[60:61], v[40:41], v[44:45]
	v_fma_f64 v[26:27], -v[66:67], v[40:41], v[42:43]
	v_fma_f64 v[32:33], v[64:65], v[40:41], v[11:12]
	s_wait_alu 0xfffe
	s_and_not1_b32 exec_lo, exec_lo, s7
	s_cbranch_execnz .LBB171_31
; %bb.32:
	s_or_b32 exec_lo, exec_lo, s7
.LBB171_33:
	s_wait_alu 0xfffe
	s_or_b32 exec_lo, exec_lo, s6
.LBB171_34:
	s_wait_alu 0xfffe
	s_or_b32 exec_lo, exec_lo, s3
.LBB171_35:
	v_mbcnt_lo_u32_b32 v42, -1, 0
	s_delay_alu instid0(VALU_DEP_1) | instskip(NEXT) | instid1(VALU_DEP_1)
	v_xor_b32_e32 v9, 4, v42
	v_cmp_gt_i32_e32 vcc_lo, 32, v9
	s_wait_alu 0xfffd
	v_cndmask_b32_e32 v9, v42, v9, vcc_lo
	s_delay_alu instid0(VALU_DEP_1)
	v_lshlrev_b32_e32 v41, 2, v9
	ds_bpermute_b32 v11, v41, v24
	ds_bpermute_b32 v12, v41, v25
	s_wait_dscnt 0x0
	v_add_f64_e32 v[11:12], v[24:25], v[11:12]
	v_xor_b32_e32 v24, 2, v42
	s_delay_alu instid0(VALU_DEP_1)
	v_cmp_gt_i32_e32 vcc_lo, 32, v24
	s_wait_alu 0xfffd
	v_cndmask_b32_e32 v24, v42, v24, vcc_lo
	ds_bpermute_b32 v9, v41, v30
	ds_bpermute_b32 v10, v41, v31
	;; [unrolled: 1-line block ×14, first 2 shown]
	s_wait_dscnt 0xc
	v_add_f64_e32 v[9:10], v[30:31], v[9:10]
	s_wait_dscnt 0xa
	v_add_f64_e32 v[15:16], v[28:29], v[15:16]
	;; [unrolled: 2-line block ×7, first 2 shown]
	v_lshlrev_b32_e32 v41, 2, v24
	ds_bpermute_b32 v24, v41, v9
	ds_bpermute_b32 v25, v41, v10
	;; [unrolled: 1-line block ×6, first 2 shown]
	s_wait_dscnt 0x4
	v_add_f64_e32 v[9:10], v[9:10], v[24:25]
	s_wait_dscnt 0x2
	v_add_f64_e32 v[24:25], v[15:16], v[32:33]
	;; [unrolled: 2-line block ×3, first 2 shown]
	v_xor_b32_e32 v22, 1, v42
	s_delay_alu instid0(VALU_DEP_1)
	v_cmp_gt_i32_e32 vcc_lo, 32, v22
	s_wait_alu 0xfffd
	v_cndmask_b32_e32 v22, v42, v22, vcc_lo
	ds_bpermute_b32 v28, v41, v11
	ds_bpermute_b32 v29, v41, v12
	;; [unrolled: 1-line block ×10, first 2 shown]
	v_cmp_eq_u32_e32 vcc_lo, 7, v0
	s_wait_dscnt 0x8
	v_add_f64_e32 v[28:29], v[11:12], v[28:29]
	s_wait_dscnt 0x6
	v_add_f64_e32 v[11:12], v[13:14], v[30:31]
	;; [unrolled: 2-line block ×3, first 2 shown]
	v_lshlrev_b32_e32 v35, 2, v22
	s_wait_dscnt 0x2
	v_add_f64_e32 v[19:20], v[19:20], v[36:37]
	s_wait_dscnt 0x0
	v_add_f64_e32 v[17:18], v[26:27], v[40:41]
	ds_bpermute_b32 v22, v35, v9
	ds_bpermute_b32 v23, v35, v10
	;; [unrolled: 1-line block ×16, first 2 shown]
	s_and_b32 exec_lo, exec_lo, vcc_lo
	s_cbranch_execz .LBB171_8
; %bb.36:
	s_wait_dscnt 0x8
	v_add_f64_e32 v[28:29], v[28:29], v[40:41]
	v_add_f64_e32 v[24:25], v[24:25], v[38:39]
	s_wait_dscnt 0x2
	v_add_f64_e32 v[19:20], v[19:20], v[36:37]
	s_wait_dscnt 0x0
	v_add_f64_e32 v[17:18], v[17:18], v[34:35]
	v_add_f64_e32 v[9:10], v[9:10], v[22:23]
	;; [unrolled: 1-line block ×5, first 2 shown]
	v_cmp_eq_f64_e32 vcc_lo, 0, v[1:2]
	v_cmp_eq_f64_e64 s2, 0, v[3:4]
	s_load_b64 s[0:1], s[0:1], 0x60
	v_lshlrev_b32_e32 v21, 2, v21
	v_mul_f64_e64 v[13:14], v[28:29], -v[7:8]
	v_mul_f64_e32 v[15:16], v[5:6], v[28:29]
	v_mul_f64_e64 v[28:29], v[24:25], -v[7:8]
	v_mul_f64_e32 v[24:25], v[5:6], v[24:25]
	;; [unrolled: 2-line block ×4, first 2 shown]
	s_and_b32 s2, vcc_lo, s2
	v_fma_f64 v[17:18], v[5:6], v[9:10], v[13:14]
	v_fma_f64 v[19:20], v[7:8], v[9:10], v[15:16]
	;; [unrolled: 1-line block ×8, first 2 shown]
	s_wait_alu 0xfffe
	s_and_saveexec_b32 s3, s2
	s_wait_alu 0xfffe
	s_xor_b32 s2, exec_lo, s3
	s_cbranch_execz .LBB171_38
; %bb.37:
	v_ashrrev_i32_e32 v22, 31, v21
	s_delay_alu instid0(VALU_DEP_1) | instskip(SKIP_1) | instid1(VALU_DEP_1)
	v_lshlrev_b64_e32 v[0:1], 4, v[21:22]
                                        ; implicit-def: $vgpr21
	s_wait_kmcnt 0x0
	v_add_co_u32 v0, vcc_lo, s0, v0
	s_wait_alu 0xfffd
	s_delay_alu instid0(VALU_DEP_2)
	v_add_co_ci_u32_e64 v1, null, s1, v1, vcc_lo
	s_clause 0x3
	global_store_b128 v[0:1], v[17:20], off
	global_store_b128 v[0:1], v[13:16], off offset:16
	global_store_b128 v[0:1], v[9:12], off offset:32
	;; [unrolled: 1-line block ×3, first 2 shown]
                                        ; implicit-def: $vgpr3_vgpr4
                                        ; implicit-def: $vgpr17_vgpr18
                                        ; implicit-def: $vgpr13_vgpr14
                                        ; implicit-def: $vgpr9_vgpr10
                                        ; implicit-def: $vgpr5_vgpr6
.LBB171_38:
	s_wait_alu 0xfffe
	s_and_not1_saveexec_b32 s2, s2
	s_cbranch_execz .LBB171_8
; %bb.39:
	v_ashrrev_i32_e32 v22, 31, v21
	s_delay_alu instid0(VALU_DEP_1) | instskip(SKIP_1) | instid1(VALU_DEP_1)
	v_lshlrev_b64_e32 v[21:22], 4, v[21:22]
	s_wait_kmcnt 0x0
	v_add_co_u32 v37, vcc_lo, s0, v21
	s_wait_alu 0xfffd
	s_delay_alu instid0(VALU_DEP_2)
	v_add_co_ci_u32_e64 v38, null, s1, v22, vcc_lo
	s_clause 0x3
	global_load_b128 v[21:24], v[37:38], off
	global_load_b128 v[25:28], v[37:38], off offset:16
	global_load_b128 v[29:32], v[37:38], off offset:32
	;; [unrolled: 1-line block ×3, first 2 shown]
	s_wait_loadcnt 0x3
	v_fma_f64 v[17:18], v[1:2], v[21:22], v[17:18]
	v_fma_f64 v[19:20], v[3:4], v[21:22], v[19:20]
	s_wait_loadcnt 0x2
	v_fma_f64 v[13:14], v[1:2], v[25:26], v[13:14]
	v_fma_f64 v[15:16], v[3:4], v[25:26], v[15:16]
	;; [unrolled: 3-line block ×4, first 2 shown]
	v_fma_f64 v[5:6], -v[3:4], v[23:24], v[17:18]
	v_fma_f64 v[7:8], v[1:2], v[23:24], v[19:20]
	v_fma_f64 v[9:10], -v[3:4], v[27:28], v[13:14]
	v_fma_f64 v[11:12], v[1:2], v[27:28], v[15:16]
	;; [unrolled: 2-line block ×4, first 2 shown]
	s_clause 0x3
	global_store_b128 v[37:38], v[5:8], off
	global_store_b128 v[37:38], v[9:12], off offset:16
	global_store_b128 v[37:38], v[13:16], off offset:32
	global_store_b128 v[37:38], v[17:20], off offset:48
	s_nop 0
	s_sendmsg sendmsg(MSG_DEALLOC_VGPRS)
	s_endpgm
	.section	.rodata,"a",@progbits
	.p2align	6, 0x0
	.amdhsa_kernel _ZN9rocsparseL18bsrxmvn_4x4_kernelILj128ELj8E21rocsparse_complex_numIdEliS1_IfES2_S2_EEvT3_20rocsparse_direction_NS_24const_host_device_scalarIT1_EES4_PKS4_PKT2_SD_SA_PKT4_PKT5_S8_PT6_21rocsparse_index_base_b
		.amdhsa_group_segment_fixed_size 0
		.amdhsa_private_segment_fixed_size 0
		.amdhsa_kernarg_size 112
		.amdhsa_user_sgpr_count 2
		.amdhsa_user_sgpr_dispatch_ptr 0
		.amdhsa_user_sgpr_queue_ptr 0
		.amdhsa_user_sgpr_kernarg_segment_ptr 1
		.amdhsa_user_sgpr_dispatch_id 0
		.amdhsa_user_sgpr_private_segment_size 0
		.amdhsa_wavefront_size32 1
		.amdhsa_uses_dynamic_stack 0
		.amdhsa_enable_private_segment 0
		.amdhsa_system_sgpr_workgroup_id_x 1
		.amdhsa_system_sgpr_workgroup_id_y 0
		.amdhsa_system_sgpr_workgroup_id_z 0
		.amdhsa_system_sgpr_workgroup_info 0
		.amdhsa_system_vgpr_workitem_id 0
		.amdhsa_next_free_vgpr 135
		.amdhsa_next_free_sgpr 14
		.amdhsa_reserve_vcc 1
		.amdhsa_float_round_mode_32 0
		.amdhsa_float_round_mode_16_64 0
		.amdhsa_float_denorm_mode_32 3
		.amdhsa_float_denorm_mode_16_64 3
		.amdhsa_fp16_overflow 0
		.amdhsa_workgroup_processor_mode 1
		.amdhsa_memory_ordered 1
		.amdhsa_forward_progress 1
		.amdhsa_inst_pref_size 97
		.amdhsa_round_robin_scheduling 0
		.amdhsa_exception_fp_ieee_invalid_op 0
		.amdhsa_exception_fp_denorm_src 0
		.amdhsa_exception_fp_ieee_div_zero 0
		.amdhsa_exception_fp_ieee_overflow 0
		.amdhsa_exception_fp_ieee_underflow 0
		.amdhsa_exception_fp_ieee_inexact 0
		.amdhsa_exception_int_div_zero 0
	.end_amdhsa_kernel
	.section	.text._ZN9rocsparseL18bsrxmvn_4x4_kernelILj128ELj8E21rocsparse_complex_numIdEliS1_IfES2_S2_EEvT3_20rocsparse_direction_NS_24const_host_device_scalarIT1_EES4_PKS4_PKT2_SD_SA_PKT4_PKT5_S8_PT6_21rocsparse_index_base_b,"axG",@progbits,_ZN9rocsparseL18bsrxmvn_4x4_kernelILj128ELj8E21rocsparse_complex_numIdEliS1_IfES2_S2_EEvT3_20rocsparse_direction_NS_24const_host_device_scalarIT1_EES4_PKS4_PKT2_SD_SA_PKT4_PKT5_S8_PT6_21rocsparse_index_base_b,comdat
.Lfunc_end171:
	.size	_ZN9rocsparseL18bsrxmvn_4x4_kernelILj128ELj8E21rocsparse_complex_numIdEliS1_IfES2_S2_EEvT3_20rocsparse_direction_NS_24const_host_device_scalarIT1_EES4_PKS4_PKT2_SD_SA_PKT4_PKT5_S8_PT6_21rocsparse_index_base_b, .Lfunc_end171-_ZN9rocsparseL18bsrxmvn_4x4_kernelILj128ELj8E21rocsparse_complex_numIdEliS1_IfES2_S2_EEvT3_20rocsparse_direction_NS_24const_host_device_scalarIT1_EES4_PKS4_PKT2_SD_SA_PKT4_PKT5_S8_PT6_21rocsparse_index_base_b
                                        ; -- End function
	.set _ZN9rocsparseL18bsrxmvn_4x4_kernelILj128ELj8E21rocsparse_complex_numIdEliS1_IfES2_S2_EEvT3_20rocsparse_direction_NS_24const_host_device_scalarIT1_EES4_PKS4_PKT2_SD_SA_PKT4_PKT5_S8_PT6_21rocsparse_index_base_b.num_vgpr, 135
	.set _ZN9rocsparseL18bsrxmvn_4x4_kernelILj128ELj8E21rocsparse_complex_numIdEliS1_IfES2_S2_EEvT3_20rocsparse_direction_NS_24const_host_device_scalarIT1_EES4_PKS4_PKT2_SD_SA_PKT4_PKT5_S8_PT6_21rocsparse_index_base_b.num_agpr, 0
	.set _ZN9rocsparseL18bsrxmvn_4x4_kernelILj128ELj8E21rocsparse_complex_numIdEliS1_IfES2_S2_EEvT3_20rocsparse_direction_NS_24const_host_device_scalarIT1_EES4_PKS4_PKT2_SD_SA_PKT4_PKT5_S8_PT6_21rocsparse_index_base_b.numbered_sgpr, 14
	.set _ZN9rocsparseL18bsrxmvn_4x4_kernelILj128ELj8E21rocsparse_complex_numIdEliS1_IfES2_S2_EEvT3_20rocsparse_direction_NS_24const_host_device_scalarIT1_EES4_PKS4_PKT2_SD_SA_PKT4_PKT5_S8_PT6_21rocsparse_index_base_b.num_named_barrier, 0
	.set _ZN9rocsparseL18bsrxmvn_4x4_kernelILj128ELj8E21rocsparse_complex_numIdEliS1_IfES2_S2_EEvT3_20rocsparse_direction_NS_24const_host_device_scalarIT1_EES4_PKS4_PKT2_SD_SA_PKT4_PKT5_S8_PT6_21rocsparse_index_base_b.private_seg_size, 0
	.set _ZN9rocsparseL18bsrxmvn_4x4_kernelILj128ELj8E21rocsparse_complex_numIdEliS1_IfES2_S2_EEvT3_20rocsparse_direction_NS_24const_host_device_scalarIT1_EES4_PKS4_PKT2_SD_SA_PKT4_PKT5_S8_PT6_21rocsparse_index_base_b.uses_vcc, 1
	.set _ZN9rocsparseL18bsrxmvn_4x4_kernelILj128ELj8E21rocsparse_complex_numIdEliS1_IfES2_S2_EEvT3_20rocsparse_direction_NS_24const_host_device_scalarIT1_EES4_PKS4_PKT2_SD_SA_PKT4_PKT5_S8_PT6_21rocsparse_index_base_b.uses_flat_scratch, 0
	.set _ZN9rocsparseL18bsrxmvn_4x4_kernelILj128ELj8E21rocsparse_complex_numIdEliS1_IfES2_S2_EEvT3_20rocsparse_direction_NS_24const_host_device_scalarIT1_EES4_PKS4_PKT2_SD_SA_PKT4_PKT5_S8_PT6_21rocsparse_index_base_b.has_dyn_sized_stack, 0
	.set _ZN9rocsparseL18bsrxmvn_4x4_kernelILj128ELj8E21rocsparse_complex_numIdEliS1_IfES2_S2_EEvT3_20rocsparse_direction_NS_24const_host_device_scalarIT1_EES4_PKS4_PKT2_SD_SA_PKT4_PKT5_S8_PT6_21rocsparse_index_base_b.has_recursion, 0
	.set _ZN9rocsparseL18bsrxmvn_4x4_kernelILj128ELj8E21rocsparse_complex_numIdEliS1_IfES2_S2_EEvT3_20rocsparse_direction_NS_24const_host_device_scalarIT1_EES4_PKS4_PKT2_SD_SA_PKT4_PKT5_S8_PT6_21rocsparse_index_base_b.has_indirect_call, 0
	.section	.AMDGPU.csdata,"",@progbits
; Kernel info:
; codeLenInByte = 12380
; TotalNumSgprs: 16
; NumVgprs: 135
; ScratchSize: 0
; MemoryBound: 0
; FloatMode: 240
; IeeeMode: 1
; LDSByteSize: 0 bytes/workgroup (compile time only)
; SGPRBlocks: 0
; VGPRBlocks: 16
; NumSGPRsForWavesPerEU: 16
; NumVGPRsForWavesPerEU: 135
; Occupancy: 10
; WaveLimiterHint : 1
; COMPUTE_PGM_RSRC2:SCRATCH_EN: 0
; COMPUTE_PGM_RSRC2:USER_SGPR: 2
; COMPUTE_PGM_RSRC2:TRAP_HANDLER: 0
; COMPUTE_PGM_RSRC2:TGID_X_EN: 1
; COMPUTE_PGM_RSRC2:TGID_Y_EN: 0
; COMPUTE_PGM_RSRC2:TGID_Z_EN: 0
; COMPUTE_PGM_RSRC2:TIDIG_COMP_CNT: 0
	.section	.text._ZN9rocsparseL18bsrxmvn_4x4_kernelILj128ELj16E21rocsparse_complex_numIdEliS1_IfES2_S2_EEvT3_20rocsparse_direction_NS_24const_host_device_scalarIT1_EES4_PKS4_PKT2_SD_SA_PKT4_PKT5_S8_PT6_21rocsparse_index_base_b,"axG",@progbits,_ZN9rocsparseL18bsrxmvn_4x4_kernelILj128ELj16E21rocsparse_complex_numIdEliS1_IfES2_S2_EEvT3_20rocsparse_direction_NS_24const_host_device_scalarIT1_EES4_PKS4_PKT2_SD_SA_PKT4_PKT5_S8_PT6_21rocsparse_index_base_b,comdat
	.globl	_ZN9rocsparseL18bsrxmvn_4x4_kernelILj128ELj16E21rocsparse_complex_numIdEliS1_IfES2_S2_EEvT3_20rocsparse_direction_NS_24const_host_device_scalarIT1_EES4_PKS4_PKT2_SD_SA_PKT4_PKT5_S8_PT6_21rocsparse_index_base_b ; -- Begin function _ZN9rocsparseL18bsrxmvn_4x4_kernelILj128ELj16E21rocsparse_complex_numIdEliS1_IfES2_S2_EEvT3_20rocsparse_direction_NS_24const_host_device_scalarIT1_EES4_PKS4_PKT2_SD_SA_PKT4_PKT5_S8_PT6_21rocsparse_index_base_b
	.p2align	8
	.type	_ZN9rocsparseL18bsrxmvn_4x4_kernelILj128ELj16E21rocsparse_complex_numIdEliS1_IfES2_S2_EEvT3_20rocsparse_direction_NS_24const_host_device_scalarIT1_EES4_PKS4_PKT2_SD_SA_PKT4_PKT5_S8_PT6_21rocsparse_index_base_b,@function
_ZN9rocsparseL18bsrxmvn_4x4_kernelILj128ELj16E21rocsparse_complex_numIdEliS1_IfES2_S2_EEvT3_20rocsparse_direction_NS_24const_host_device_scalarIT1_EES4_PKS4_PKT2_SD_SA_PKT4_PKT5_S8_PT6_21rocsparse_index_base_b: ; @_ZN9rocsparseL18bsrxmvn_4x4_kernelILj128ELj16E21rocsparse_complex_numIdEliS1_IfES2_S2_EEvT3_20rocsparse_direction_NS_24const_host_device_scalarIT1_EES4_PKS4_PKT2_SD_SA_PKT4_PKT5_S8_PT6_21rocsparse_index_base_b
; %bb.0:
	s_clause 0x1
	s_load_b64 s[12:13], s[0:1], 0x68
	s_load_b64 s[2:3], s[0:1], 0x8
	s_add_nc_u64 s[4:5], s[0:1], 8
	s_load_b64 s[6:7], s[0:1], 0x50
	s_wait_kmcnt 0x0
	s_bitcmp1_b32 s13, 0
	s_cselect_b32 s2, s4, s2
	s_cselect_b32 s3, s5, s3
	s_delay_alu instid0(SALU_CYCLE_1)
	v_dual_mov_b32 v1, s2 :: v_dual_mov_b32 v2, s3
	s_add_nc_u64 s[2:3], s[0:1], 0x50
	s_wait_alu 0xfffe
	s_cselect_b32 s2, s2, s6
	s_cselect_b32 s3, s3, s7
	flat_load_b128 v[5:8], v[1:2]
	s_wait_alu 0xfffe
	v_dual_mov_b32 v1, s2 :: v_dual_mov_b32 v2, s3
	flat_load_b128 v[1:4], v[1:2]
	s_wait_loadcnt_dscnt 0x101
	v_cmp_eq_f64_e32 vcc_lo, 0, v[5:6]
	v_cmp_eq_f64_e64 s2, 0, v[7:8]
	s_and_b32 s4, vcc_lo, s2
	s_mov_b32 s2, -1
	s_and_saveexec_b32 s3, s4
	s_cbranch_execz .LBB172_2
; %bb.1:
	s_wait_loadcnt_dscnt 0x0
	v_cmp_neq_f64_e32 vcc_lo, 1.0, v[1:2]
	v_cmp_neq_f64_e64 s2, 0, v[3:4]
	s_wait_alu 0xfffe
	s_or_b32 s2, vcc_lo, s2
	s_wait_alu 0xfffe
	s_or_not1_b32 s2, s2, exec_lo
.LBB172_2:
	s_wait_alu 0xfffe
	s_or_b32 exec_lo, exec_lo, s3
	s_and_saveexec_b32 s3, s2
	s_cbranch_execz .LBB172_8
; %bb.3:
	s_clause 0x1
	s_load_b64 s[4:5], s[0:1], 0x20
	s_load_b64 s[2:3], s[0:1], 0x0
	v_lshrrev_b32_e32 v9, 4, v0
	s_delay_alu instid0(VALU_DEP_1)
	v_lshl_or_b32 v21, ttmp9, 3, v9
	s_wait_kmcnt 0x0
	s_cmp_lg_u64 s[4:5], 0
	s_cbranch_scc0 .LBB172_9
; %bb.4:
	s_load_b32 s6, s[0:1], 0x18
	s_mov_b32 s7, 0
                                        ; implicit-def: $vgpr9
	s_wait_kmcnt 0x0
	v_cmp_gt_i32_e32 vcc_lo, s6, v21
	s_mov_b32 s6, 0
	s_and_saveexec_b32 s8, vcc_lo
	s_delay_alu instid0(SALU_CYCLE_1)
	s_xor_b32 s8, exec_lo, s8
	s_cbranch_execz .LBB172_6
; %bb.5:
	v_ashrrev_i32_e32 v22, 31, v21
	s_mov_b32 s6, exec_lo
	s_delay_alu instid0(VALU_DEP_1) | instskip(NEXT) | instid1(VALU_DEP_1)
	v_lshlrev_b64_e32 v[9:10], 2, v[21:22]
	v_add_co_u32 v9, vcc_lo, s4, v9
	s_delay_alu instid0(VALU_DEP_1)
	v_add_co_ci_u32_e64 v10, null, s5, v10, vcc_lo
	global_load_b32 v9, v[9:10], off
	s_wait_loadcnt 0x0
	v_subrev_nc_u32_e32 v9, s12, v9
.LBB172_6:
	s_or_b32 exec_lo, exec_lo, s8
	s_delay_alu instid0(SALU_CYCLE_1)
	s_and_b32 vcc_lo, exec_lo, s7
	s_wait_alu 0xfffe
	s_cbranch_vccz .LBB172_10
.LBB172_7:
	v_cmp_gt_i32_e32 vcc_lo, s2, v21
	s_and_not1_b32 s2, s6, exec_lo
	s_and_b32 s4, vcc_lo, exec_lo
	s_wait_alu 0xfffe
	s_or_b32 s6, s2, s4
	s_wait_alu 0xfffe
	s_and_b32 exec_lo, exec_lo, s6
	s_cbranch_execnz .LBB172_11
.LBB172_8:
	s_nop 0
	s_sendmsg sendmsg(MSG_DEALLOC_VGPRS)
	s_endpgm
.LBB172_9:
	s_mov_b32 s6, 0
                                        ; implicit-def: $vgpr9
	s_cbranch_execnz .LBB172_7
.LBB172_10:
	v_mov_b32_e32 v21, v9
	s_and_b32 exec_lo, exec_lo, s6
	s_cbranch_execz .LBB172_8
.LBB172_11:
	s_load_b256 s[4:11], s[0:1], 0x28
	s_delay_alu instid0(VALU_DEP_1) | instskip(SKIP_1) | instid1(VALU_DEP_2)
	v_ashrrev_i32_e32 v22, 31, v21
	v_and_b32_e32 v0, 15, v0
	v_lshlrev_b64_e32 v[9:10], 3, v[21:22]
	s_wait_kmcnt 0x0
	s_delay_alu instid0(VALU_DEP_1) | instskip(SKIP_1) | instid1(VALU_DEP_2)
	v_add_co_u32 v11, vcc_lo, s4, v9
	s_wait_alu 0xfffd
	v_add_co_ci_u32_e64 v12, null, s5, v10, vcc_lo
	v_add_co_u32 v9, vcc_lo, s6, v9
	s_wait_alu 0xfffd
	v_add_co_ci_u32_e64 v10, null, s7, v10, vcc_lo
	;; [unrolled: 3-line block ×3, first 2 shown]
	global_load_b64 v[40:41], v[11:12], off
	s_cmp_eq_u64 s[6:7], 0
	s_load_b64 s[4:5], s[0:1], 0x48
	s_cselect_b32 vcc_lo, -1, 0
	s_cmp_eq_u32 s3, 1
	s_wait_alu 0xfffe
	v_dual_cndmask_b32 v10, v10, v14 :: v_dual_cndmask_b32 v9, v9, v13
	global_load_b64 v[9:10], v[9:10], off
	s_wait_loadcnt 0x1
	v_sub_co_u32 v11, vcc_lo, v40, s12
	s_wait_alu 0xfffd
	v_subrev_co_ci_u32_e64 v12, null, 0, v41, vcc_lo
	s_delay_alu instid0(VALU_DEP_2) | instskip(SKIP_1) | instid1(VALU_DEP_2)
	v_add_co_u32 v17, vcc_lo, v11, v0
	s_wait_alu 0xfffd
	v_add_co_ci_u32_e64 v18, null, 0, v12, vcc_lo
	s_wait_loadcnt 0x0
	v_sub_co_u32 v19, vcc_lo, v9, s12
	s_wait_alu 0xfffd
	v_subrev_co_ci_u32_e64 v20, null, 0, v10, vcc_lo
	v_lshlrev_b64_e32 v[9:10], 7, v[17:18]
	s_delay_alu instid0(VALU_DEP_2) | instskip(NEXT) | instid1(VALU_DEP_2)
	v_cmp_lt_i64_e64 s2, v[17:18], v[19:20]
	v_add_co_u32 v22, vcc_lo, s10, v9
	s_wait_alu 0xfffd
	s_delay_alu instid0(VALU_DEP_3)
	v_add_co_ci_u32_e64 v23, null, s11, v10, vcc_lo
	s_cbranch_scc1 .LBB172_23
; %bb.12:
	v_mov_b32_e32 v24, 0
	v_mov_b32_e32 v28, 0
	;; [unrolled: 1-line block ×3, first 2 shown]
	v_dual_mov_b32 v32, 0 :: v_dual_mov_b32 v25, 0
	v_dual_mov_b32 v30, 0 :: v_dual_mov_b32 v29, 0
	;; [unrolled: 1-line block ×5, first 2 shown]
	v_mov_b32_e32 v39, 0
	v_mov_b32_e32 v37, 0
	;; [unrolled: 1-line block ×3, first 2 shown]
	s_and_saveexec_b32 s6, s2
	s_cbranch_execz .LBB172_22
; %bb.13:
	v_or_b32_e32 v9, 16, v0
	v_not_b32_e32 v13, v40
	v_not_b32_e32 v11, v41
	v_mov_b32_e32 v38, 0
	v_mov_b32_e32 v30, 0
	v_sub_co_u32 v9, s3, v9, s12
	s_wait_alu 0xf1ff
	v_sub_co_ci_u32_e64 v10, null, 0, 0, s3
	v_sub_co_u32 v14, s3, s12, v0
	s_delay_alu instid0(VALU_DEP_3) | instskip(SKIP_1) | instid1(VALU_DEP_3)
	v_add_co_u32 v9, vcc_lo, v9, v40
	s_wait_alu 0xfffd
	v_add_co_ci_u32_e64 v10, null, v10, v41, vcc_lo
	s_wait_alu 0xf1ff
	v_sub_co_ci_u32_e64 v15, null, 0, 0, s3
	v_add_co_u32 v13, s3, v14, v13
	s_delay_alu instid0(VALU_DEP_3)
	v_cmp_gt_i64_e32 vcc_lo, v[9:10], v[19:20]
	v_mov_b32_e32 v26, 0
	s_wait_alu 0xf1ff
	v_add_co_ci_u32_e64 v11, null, v15, v11, s3
	v_mov_b32_e32 v32, 0
	s_wait_alu 0xfffd
	v_dual_mov_b32 v36, 0 :: v_dual_cndmask_b32 v9, v19, v9
	v_dual_cndmask_b32 v10, v20, v10 :: v_dual_mov_b32 v33, 0
	v_dual_mov_b32 v39, 0 :: v_dual_mov_b32 v28, 0
	s_delay_alu instid0(VALU_DEP_3)
	v_add_co_u32 v9, vcc_lo, v13, v9
	v_dual_mov_b32 v34, 0 :: v_dual_mov_b32 v31, 0
	v_mov_b32_e32 v24, 0
	v_dual_mov_b32 v12, 0 :: v_dual_mov_b32 v27, 0
	v_mov_b32_e32 v37, 0
	v_mov_b32_e32 v35, 0
	s_wait_alu 0xfffd
	v_add_co_ci_u32_e64 v10, null, v11, v10, vcc_lo
	v_and_b32_e32 v11, 48, v9
	v_mov_b32_e32 v29, 0
	v_mov_b32_e32 v25, 0
	v_dual_mov_b32 v45, v23 :: v_dual_mov_b32 v44, v22
	v_dual_mov_b32 v43, v18 :: v_dual_mov_b32 v42, v17
	s_mov_b32 s7, exec_lo
	v_cmpx_ne_u64_e32 48, v[11:12]
	s_cbranch_execz .LBB172_17
; %bb.14:
	v_lshrrev_b32_e32 v13, 4, v9
	v_lshlrev_b64_e32 v[11:12], 2, v[17:18]
	v_dual_mov_b32 v43, v18 :: v_dual_mov_b32 v30, 0
	v_dual_mov_b32 v31, 0 :: v_dual_mov_b32 v28, 0
	s_delay_alu instid0(VALU_DEP_4) | instskip(SKIP_2) | instid1(VALU_DEP_3)
	v_dual_mov_b32 v24, 0 :: v_dual_add_nc_u32 v13, 1, v13
	v_dual_mov_b32 v29, 0 :: v_dual_mov_b32 v38, 0
	v_add_co_u32 v11, vcc_lo, s8, v11
	v_dual_mov_b32 v34, 0 :: v_dual_and_b32 v13, 3, v13
	v_dual_mov_b32 v39, 0 :: v_dual_mov_b32 v36, 0
	v_dual_mov_b32 v35, 0 :: v_dual_mov_b32 v32, 0
	s_delay_alu instid0(VALU_DEP_3)
	v_sub_co_u32 v13, s3, 0, v13
	v_dual_mov_b32 v37, 0 :: v_dual_mov_b32 v26, 0
	v_mov_b32_e32 v45, v23
	v_dual_mov_b32 v25, 0 :: v_dual_mov_b32 v42, v17
	s_wait_alu 0xfffd
	v_add_co_ci_u32_e64 v12, null, s9, v12, vcc_lo
	s_wait_alu 0xf1ff
	v_sub_co_ci_u32_e64 v14, null, 0, 0, s3
	v_dual_mov_b32 v33, 0 :: v_dual_mov_b32 v44, v22
	v_mov_b32_e32 v27, 0
	s_mov_b32 s10, 0
.LBB172_15:                             ; =>This Inner Loop Header: Depth=1
	global_load_b32 v15, v[11:12], off
	s_clause 0x7
	global_load_b128 v[46:49], v[44:45], off
	global_load_b128 v[50:53], v[44:45], off offset:32
	global_load_b128 v[54:57], v[44:45], off offset:64
	global_load_b128 v[58:61], v[44:45], off offset:48
	global_load_b128 v[62:65], v[44:45], off offset:96
	global_load_b128 v[66:69], v[44:45], off offset:16
	global_load_b128 v[70:73], v[44:45], off offset:112
	global_load_b128 v[74:77], v[44:45], off offset:80
	v_add_co_u32 v11, s3, v11, 64
	s_wait_alu 0xf1ff
	v_add_co_ci_u32_e64 v12, null, 0, v12, s3
	s_wait_loadcnt 0x8
	v_subrev_nc_u32_e32 v15, s12, v15
	s_wait_loadcnt 0x6
	v_cvt_f64_f32_e32 v[94:95], v50
	v_cvt_f64_f32_e32 v[50:51], v51
	s_wait_loadcnt 0x5
	v_cvt_f64_f32_e32 v[96:97], v54
	v_lshlrev_b32_e32 v15, 2, v15
	v_cvt_f64_f32_e32 v[54:55], v55
	s_wait_loadcnt 0x3
	v_cvt_f64_f32_e32 v[98:99], v62
	v_cvt_f64_f32_e32 v[62:63], v63
	;; [unrolled: 1-line block ×3, first 2 shown]
	v_ashrrev_i32_e32 v16, 31, v15
	v_cvt_f64_f32_e32 v[52:53], v53
	v_cvt_f64_f32_e32 v[102:103], v56
	;; [unrolled: 1-line block ×4, first 2 shown]
	v_lshlrev_b64_e32 v[15:16], 4, v[15:16]
	v_cvt_f64_f32_e32 v[64:65], v65
	s_wait_kmcnt 0x0
	s_delay_alu instid0(VALU_DEP_2) | instskip(SKIP_1) | instid1(VALU_DEP_3)
	v_add_co_u32 v15, vcc_lo, s4, v15
	s_wait_alu 0xfffd
	v_add_co_ci_u32_e64 v16, null, s5, v16, vcc_lo
	v_add_co_u32 v44, vcc_lo, 0x800, v44
	s_wait_alu 0xfffd
	v_add_co_ci_u32_e64 v45, null, 0, v45, vcc_lo
	s_clause 0x3
	global_load_b128 v[78:81], v[15:16], off
	global_load_b128 v[82:85], v[15:16], off offset:16
	global_load_b128 v[86:89], v[15:16], off offset:32
	;; [unrolled: 1-line block ×3, first 2 shown]
	v_cvt_f64_f32_e32 v[15:16], v46
	v_cvt_f64_f32_e32 v[46:47], v47
	v_add_co_u32 v13, vcc_lo, v13, 1
	s_wait_alu 0xfffd
	v_add_co_ci_u32_e64 v14, null, 0, v14, vcc_lo
	v_add_co_u32 v42, vcc_lo, v42, 16
	s_wait_alu 0xfffd
	v_add_co_ci_u32_e64 v43, null, 0, v43, vcc_lo
	s_delay_alu instid0(VALU_DEP_3)
	v_cmp_eq_u64_e32 vcc_lo, 0, v[13:14]
	s_wait_alu 0xfffe
	s_or_b32 s10, vcc_lo, s10
	s_wait_loadcnt 0x3
	v_fma_f64 v[30:31], v[15:16], v[78:79], v[30:31]
	v_fma_f64 v[24:25], v[46:47], v[78:79], v[24:25]
	;; [unrolled: 1-line block ×8, first 2 shown]
	v_cvt_f64_f32_e32 v[78:79], v48
	v_cvt_f64_f32_e32 v[48:49], v49
	v_fma_f64 v[30:31], -v[46:47], v[80:81], v[30:31]
	v_fma_f64 v[15:16], v[15:16], v[80:81], v[24:25]
	v_fma_f64 v[24:25], -v[50:51], v[80:81], v[38:39]
	v_fma_f64 v[28:29], v[94:95], v[80:81], v[28:29]
	;; [unrolled: 2-line block ×4, first 2 shown]
	v_cvt_f64_f32_e32 v[38:39], v66
	v_cvt_f64_f32_e32 v[46:47], v67
	;; [unrolled: 1-line block ×10, first 2 shown]
	s_wait_loadcnt 0x2
	v_fma_f64 v[30:31], v[78:79], v[82:83], v[30:31]
	v_fma_f64 v[15:16], v[48:49], v[82:83], v[15:16]
	;; [unrolled: 1-line block ×8, first 2 shown]
	v_fma_f64 v[30:31], -v[48:49], v[84:85], v[30:31]
	v_fma_f64 v[15:16], v[78:79], v[84:85], v[15:16]
	v_fma_f64 v[24:25], -v[52:53], v[84:85], v[24:25]
	v_fma_f64 v[28:29], v[100:101], v[84:85], v[28:29]
	;; [unrolled: 2-line block ×4, first 2 shown]
	v_cvt_f64_f32_e32 v[48:49], v68
	v_cvt_f64_f32_e32 v[52:53], v69
	;; [unrolled: 1-line block ×6, first 2 shown]
	s_wait_loadcnt 0x1
	v_fma_f64 v[30:31], v[38:39], v[86:87], v[30:31]
	v_fma_f64 v[15:16], v[46:47], v[86:87], v[15:16]
	v_fma_f64 v[24:25], v[50:51], v[86:87], v[24:25]
	v_fma_f64 v[28:29], v[54:55], v[86:87], v[28:29]
	v_fma_f64 v[36:37], v[58:59], v[86:87], v[36:37]
	v_fma_f64 v[34:35], v[62:63], v[86:87], v[34:35]
	v_fma_f64 v[26:27], v[66:67], v[86:87], v[26:27]
	v_fma_f64 v[32:33], v[70:71], v[86:87], v[32:33]
	v_fma_f64 v[30:31], -v[46:47], v[88:89], v[30:31]
	v_fma_f64 v[15:16], v[38:39], v[88:89], v[15:16]
	v_fma_f64 v[24:25], -v[54:55], v[88:89], v[24:25]
	v_fma_f64 v[28:29], v[50:51], v[88:89], v[28:29]
	;; [unrolled: 2-line block ×4, first 2 shown]
	s_wait_loadcnt 0x0
	v_fma_f64 v[30:31], v[48:49], v[90:91], v[30:31]
	v_fma_f64 v[15:16], v[52:53], v[90:91], v[15:16]
	;; [unrolled: 1-line block ×8, first 2 shown]
	v_fma_f64 v[30:31], -v[52:53], v[92:93], v[30:31]
	v_fma_f64 v[24:25], v[48:49], v[92:93], v[15:16]
	v_fma_f64 v[38:39], -v[60:61], v[92:93], v[38:39]
	v_fma_f64 v[28:29], v[56:57], v[92:93], v[28:29]
	;; [unrolled: 2-line block ×4, first 2 shown]
	s_wait_alu 0xfffe
	s_and_not1_b32 exec_lo, exec_lo, s10
	s_cbranch_execnz .LBB172_15
; %bb.16:
	s_or_b32 exec_lo, exec_lo, s10
.LBB172_17:
	s_wait_alu 0xfffe
	s_or_b32 exec_lo, exec_lo, s7
	s_delay_alu instid0(SALU_CYCLE_1)
	s_mov_b32 s7, exec_lo
	v_cmpx_lt_u64_e32 47, v[9:10]
	s_cbranch_execz .LBB172_21
; %bb.18:
	v_lshlrev_b64_e32 v[9:10], 2, v[42:43]
	s_mov_b32 s10, 0
	s_delay_alu instid0(VALU_DEP_1) | instskip(SKIP_1) | instid1(VALU_DEP_2)
	v_add_co_u32 v9, vcc_lo, s8, v9
	s_wait_alu 0xfffd
	v_add_co_ci_u32_e64 v10, null, s9, v10, vcc_lo
	s_delay_alu instid0(VALU_DEP_2) | instskip(SKIP_1) | instid1(VALU_DEP_2)
	v_add_co_u32 v46, vcc_lo, 0x80, v9
	s_wait_alu 0xfffd
	v_add_co_ci_u32_e64 v47, null, 0, v10, vcc_lo
.LBB172_19:                             ; =>This Inner Loop Header: Depth=1
	global_load_b32 v48, v[46:47], off offset:-128
	s_clause 0x1
	global_load_b128 v[13:16], v[44:45], off
	global_load_b128 v[9:12], v[44:45], off offset:32
	global_load_b32 v105, v[46:47], off offset:-64
	s_clause 0x1
	global_load_b128 v[49:52], v[44:45], off offset:64
	global_load_b128 v[53:56], v[44:45], off offset:96
	s_clause 0x1
	global_load_b32 v133, v[46:47], off
	global_load_b32 v134, v[46:47], off offset:64
	v_add_co_u32 v46, s3, 0x100, v46
	s_wait_alu 0xf1ff
	v_add_co_ci_u32_e64 v47, null, 0, v47, s3
	s_wait_loadcnt 0x7
	v_subrev_nc_u32_e32 v48, s12, v48
	s_wait_loadcnt 0x6
	v_cvt_f64_f32_e32 v[109:110], v13
	v_cvt_f64_f32_e32 v[13:14], v14
	s_wait_loadcnt 0x4
	v_subrev_nc_u32_e32 v105, s12, v105
	v_cvt_f64_f32_e32 v[111:112], v9
	v_lshlrev_b32_e32 v57, 2, v48
	v_cvt_f64_f32_e32 v[9:10], v10
	s_wait_loadcnt 0x3
	v_cvt_f64_f32_e32 v[48:49], v49
	v_lshlrev_b32_e32 v105, 2, v105
	v_cvt_f64_f32_e32 v[113:114], v50
	v_ashrrev_i32_e32 v58, 31, v57
	s_wait_loadcnt 0x2
	v_cvt_f64_f32_e32 v[115:116], v53
	v_cvt_f64_f32_e32 v[53:54], v54
	v_ashrrev_i32_e32 v106, 31, v105
	v_cvt_f64_f32_e32 v[119:120], v16
	v_lshlrev_b64_e32 v[57:58], 4, v[57:58]
	v_cvt_f64_f32_e32 v[121:122], v11
	v_cvt_f64_f32_e32 v[123:124], v12
	v_lshlrev_b64_e32 v[105:106], 4, v[105:106]
	v_cvt_f64_f32_e32 v[50:51], v51
	v_cvt_f64_f32_e32 v[125:126], v52
	s_wait_kmcnt 0x0
	v_add_co_u32 v85, vcc_lo, s4, v57
	s_wait_alu 0xfffd
	v_add_co_ci_u32_e64 v86, null, s5, v58, vcc_lo
	v_add_co_u32 v117, vcc_lo, s4, v105
	s_wait_alu 0xfffd
	v_add_co_ci_u32_e64 v118, null, s5, v106, vcc_lo
	s_clause 0x1
	global_load_b128 v[57:60], v[85:86], off
	global_load_b128 v[61:64], v[85:86], off offset:16
	s_clause 0x3
	global_load_b128 v[65:68], v[44:45], off offset:16
	global_load_b128 v[69:72], v[44:45], off offset:48
	;; [unrolled: 1-line block ×4, first 2 shown]
	s_clause 0x1
	global_load_b128 v[81:84], v[85:86], off offset:32
	global_load_b128 v[85:88], v[85:86], off offset:48
	s_clause 0x3
	global_load_b128 v[89:92], v[44:45], off offset:2048
	global_load_b128 v[93:96], v[44:45], off offset:2080
	;; [unrolled: 1-line block ×4, first 2 shown]
	v_cvt_f64_f32_e32 v[127:128], v55
	v_cvt_f64_f32_e32 v[55:56], v56
	global_load_b128 v[105:108], v[117:118], off
	s_wait_loadcnt 0xc
	v_fma_f64 v[30:31], v[109:110], v[57:58], v[30:31]
	v_fma_f64 v[24:25], v[13:14], v[57:58], v[24:25]
	;; [unrolled: 1-line block ×8, first 2 shown]
	v_cvt_f64_f32_e32 v[57:58], v15
	s_wait_loadcnt 0x8
	v_cvt_f64_f32_e32 v[129:130], v73
	v_cvt_f64_f32_e32 v[73:74], v74
	s_wait_loadcnt 0x7
	v_cvt_f64_f32_e32 v[131:132], v77
	v_cvt_f64_f32_e32 v[77:78], v78
	v_fma_f64 v[13:14], -v[13:14], v[59:60], v[30:31]
	v_fma_f64 v[15:16], v[109:110], v[59:60], v[24:25]
	v_fma_f64 v[24:25], -v[9:10], v[59:60], v[38:39]
	v_fma_f64 v[28:29], v[111:112], v[59:60], v[28:29]
	;; [unrolled: 2-line block ×4, first 2 shown]
	global_load_b128 v[9:12], v[117:118], off offset:16
	v_cvt_f64_f32_e32 v[113:114], v65
	v_cvt_f64_f32_e32 v[65:66], v66
	;; [unrolled: 1-line block ×4, first 2 shown]
	v_fma_f64 v[36:37], v[57:58], v[61:62], v[13:14]
	v_fma_f64 v[38:39], v[119:120], v[61:62], v[15:16]
	v_fma_f64 v[48:49], v[121:122], v[61:62], v[24:25]
	v_fma_f64 v[52:53], v[123:124], v[61:62], v[28:29]
	v_fma_f64 v[59:60], v[50:51], v[61:62], v[30:31]
	v_fma_f64 v[109:110], v[125:126], v[61:62], v[34:35]
	v_fma_f64 v[111:112], v[127:128], v[61:62], v[26:27]
	v_fma_f64 v[61:62], v[55:56], v[61:62], v[32:33]
	s_clause 0x3
	global_load_b128 v[13:16], v[44:45], off offset:2064
	global_load_b128 v[24:27], v[44:45], off offset:2096
	;; [unrolled: 1-line block ×4, first 2 shown]
	v_fma_f64 v[119:120], -v[119:120], v[63:64], v[36:37]
	v_fma_f64 v[57:58], v[57:58], v[63:64], v[38:39]
	v_fma_f64 v[48:49], -v[123:124], v[63:64], v[48:49]
	v_fma_f64 v[52:53], v[121:122], v[63:64], v[52:53]
	;; [unrolled: 2-line block ×4, first 2 shown]
	global_load_b128 v[36:39], v[117:118], off offset:32
	v_cvt_f64_f32_e32 v[109:110], v68
	v_cvt_f64_f32_e32 v[111:112], v71
	;; [unrolled: 1-line block ×5, first 2 shown]
	s_wait_loadcnt 0xa
	v_cvt_f64_f32_e32 v[123:124], v89
	v_cvt_f64_f32_e32 v[89:90], v90
	s_wait_loadcnt 0x9
	v_cvt_f64_f32_e32 v[125:126], v93
	v_cvt_f64_f32_e32 v[93:94], v94
	;; [unrolled: 3-line block ×3, first 2 shown]
	v_fma_f64 v[63:64], v[113:114], v[81:82], v[119:120]
	v_fma_f64 v[56:57], v[65:66], v[81:82], v[57:58]
	;; [unrolled: 1-line block ×8, first 2 shown]
	v_cvt_f64_f32_e32 v[81:82], v67
	v_cvt_f64_f32_e32 v[119:120], v75
	;; [unrolled: 1-line block ×3, first 2 shown]
	v_fma_f64 v[62:63], -v[65:66], v[83:84], v[63:64]
	v_fma_f64 v[56:57], v[113:114], v[83:84], v[56:57]
	v_fma_f64 v[64:65], -v[69:70], v[83:84], v[48:49]
	v_fma_f64 v[52:53], v[115:116], v[83:84], v[52:53]
	;; [unrolled: 2-line block ×4, first 2 shown]
	global_load_b128 v[48:51], v[117:118], off offset:48
	v_subrev_nc_u32_e32 v70, s12, v133
	s_wait_loadcnt 0x8
	v_cvt_f64_f32_e32 v[129:130], v101
	v_cvt_f64_f32_e32 v[101:102], v102
	s_delay_alu instid0(VALU_DEP_3)
	v_lshlrev_b32_e32 v70, 2, v70
	v_fma_f64 v[68:69], v[81:82], v[85:86], v[62:63]
	v_fma_f64 v[73:74], v[109:110], v[85:86], v[56:57]
	;; [unrolled: 1-line block ×8, first 2 shown]
	s_clause 0x3
	global_load_b128 v[52:55], v[44:45], off offset:4096
	global_load_b128 v[56:59], v[44:45], off offset:4128
	global_load_b128 v[60:63], v[44:45], off offset:4160
	global_load_b128 v[64:67], v[44:45], off offset:4192
	v_fma_f64 v[109:110], -v[109:110], v[87:88], v[68:69]
	v_fma_f64 v[73:74], v[81:82], v[87:88], v[73:74]
	v_fma_f64 v[77:78], -v[71:72], v[87:88], v[77:78]
	v_fma_f64 v[81:82], v[111:112], v[87:88], v[83:84]
	;; [unrolled: 2-line block ×4, first 2 shown]
	v_ashrrev_i32_e32 v71, 31, v70
	v_cvt_f64_f32_e32 v[113:114], v95
	v_cvt_f64_f32_e32 v[95:96], v96
	;; [unrolled: 1-line block ×4, first 2 shown]
	v_lshlrev_b64_e32 v[68:69], 4, v[70:71]
	v_cvt_f64_f32_e32 v[117:118], v103
	v_cvt_f64_f32_e32 v[103:104], v104
	s_delay_alu instid0(VALU_DEP_3) | instskip(SKIP_1) | instid1(VALU_DEP_4)
	v_add_co_u32 v111, vcc_lo, s4, v68
	s_wait_alu 0xfffd
	v_add_co_ci_u32_e64 v112, null, s5, v69, vcc_lo
	global_load_b128 v[68:71], v[111:112], off
	s_wait_loadcnt 0xc
	v_fma_f64 v[87:88], v[123:124], v[105:106], v[109:110]
	v_fma_f64 v[72:73], v[89:90], v[105:106], v[73:74]
	;; [unrolled: 1-line block ×8, first 2 shown]
	v_cvt_f64_f32_e32 v[105:106], v91
	v_cvt_f64_f32_e32 v[109:110], v92
	v_fma_f64 v[87:88], -v[89:90], v[107:108], v[87:88]
	v_fma_f64 v[89:90], v[123:124], v[107:108], v[72:73]
	v_fma_f64 v[76:77], -v[93:94], v[107:108], v[77:78]
	v_fma_f64 v[81:82], v[125:126], v[107:108], v[81:82]
	;; [unrolled: 2-line block ×4, first 2 shown]
	global_load_b128 v[72:75], v[111:112], off offset:16
	s_wait_loadcnt 0xc
	v_fma_f64 v[93:94], v[105:106], v[9:10], v[87:88]
	v_fma_f64 v[97:98], v[109:110], v[9:10], v[89:90]
	;; [unrolled: 1-line block ×8, first 2 shown]
	s_clause 0x3
	global_load_b128 v[76:79], v[44:45], off offset:4112
	global_load_b128 v[80:83], v[44:45], off offset:4144
	;; [unrolled: 1-line block ×4, first 2 shown]
	s_wait_loadcnt 0xf
	v_cvt_f64_f32_e32 v[125:126], v13
	v_cvt_f64_f32_e32 v[13:14], v14
	s_wait_loadcnt 0xe
	v_cvt_f64_f32_e32 v[127:128], v24
	v_cvt_f64_f32_e32 v[24:25], v25
	;; [unrolled: 3-line block ×4, first 2 shown]
	v_fma_f64 v[92:93], -v[109:110], v[11:12], v[93:94]
	v_fma_f64 v[97:98], v[105:106], v[11:12], v[97:98]
	v_fma_f64 v[94:95], -v[95:96], v[11:12], v[101:102]
	v_fma_f64 v[101:102], v[113:114], v[11:12], v[107:108]
	;; [unrolled: 2-line block ×4, first 2 shown]
	global_load_b128 v[9:12], v[111:112], off offset:32
	v_cvt_f64_f32_e32 v[109:110], v16
	v_cvt_f64_f32_e32 v[113:114], v26
	;; [unrolled: 1-line block ×7, first 2 shown]
	s_wait_loadcnt 0xc
	v_fma_f64 v[92:93], v[125:126], v[36:37], v[92:93]
	v_fma_f64 v[96:97], v[13:14], v[36:37], v[97:98]
	;; [unrolled: 1-line block ×8, first 2 shown]
	v_cvt_f64_f32_e32 v[107:108], v15
	v_fma_f64 v[26:27], -v[13:14], v[38:39], v[92:93]
	v_fma_f64 v[30:31], v[125:126], v[38:39], v[96:97]
	v_fma_f64 v[24:25], -v[24:25], v[38:39], v[94:95]
	v_fma_f64 v[34:35], v[127:128], v[38:39], v[101:102]
	;; [unrolled: 2-line block ×4, first 2 shown]
	global_load_b128 v[13:16], v[111:112], off offset:48
	v_subrev_nc_u32_e32 v106, s12, v134
	s_delay_alu instid0(VALU_DEP_1)
	v_lshlrev_b32_e32 v106, 2, v106
	s_wait_loadcnt 0xc
	v_fma_f64 v[94:95], v[107:108], v[48:49], v[26:27]
	v_fma_f64 v[96:97], v[109:110], v[48:49], v[30:31]
	;; [unrolled: 1-line block ×8, first 2 shown]
	s_clause 0x3
	global_load_b128 v[24:27], v[44:45], off offset:6144
	global_load_b128 v[28:31], v[44:45], off offset:6176
	;; [unrolled: 1-line block ×4, first 2 shown]
	s_wait_loadcnt 0xf
	v_cvt_f64_f32_e32 v[111:112], v52
	v_cvt_f64_f32_e32 v[52:53], v53
	s_wait_loadcnt 0xe
	v_cvt_f64_f32_e32 v[125:126], v56
	v_cvt_f64_f32_e32 v[56:57], v57
	;; [unrolled: 3-line block ×4, first 2 shown]
	v_cvt_f64_f32_e32 v[131:132], v67
	v_fma_f64 v[94:95], -v[109:110], v[50:51], v[94:95]
	v_fma_f64 v[96:97], v[107:108], v[50:51], v[96:97]
	v_fma_f64 v[98:99], -v[115:116], v[50:51], v[98:99]
	v_fma_f64 v[100:101], v[113:114], v[50:51], v[100:101]
	;; [unrolled: 2-line block ×4, first 2 shown]
	v_ashrrev_i32_e32 v107, 31, v106
	v_cvt_f64_f32_e32 v[113:114], v55
	v_cvt_f64_f32_e32 v[115:116], v58
	;; [unrolled: 1-line block ×4, first 2 shown]
	v_lshlrev_b64_e32 v[48:49], 4, v[106:107]
	v_cvt_f64_f32_e32 v[121:122], v63
	v_cvt_f64_f32_e32 v[123:124], v66
	s_delay_alu instid0(VALU_DEP_3) | instskip(SKIP_1) | instid1(VALU_DEP_4)
	v_add_co_u32 v106, vcc_lo, s4, v48
	s_wait_alu 0xfffd
	v_add_co_ci_u32_e64 v107, null, s5, v49, vcc_lo
	v_add_co_u32 v42, vcc_lo, v42, 64
	s_wait_alu 0xfffd
	v_add_co_ci_u32_e64 v43, null, 0, v43, vcc_lo
	global_load_b128 v[48:51], v[106:107], off
	s_wait_loadcnt 0xc
	v_fma_f64 v[94:95], v[111:112], v[68:69], v[94:95]
	v_fma_f64 v[96:97], v[52:53], v[68:69], v[96:97]
	;; [unrolled: 1-line block ×8, first 2 shown]
	v_cvt_f64_f32_e32 v[108:109], v54
	v_fma_f64 v[58:59], -v[52:53], v[70:71], v[94:95]
	v_fma_f64 v[62:63], v[111:112], v[70:71], v[96:97]
	v_fma_f64 v[56:57], -v[56:57], v[70:71], v[98:99]
	v_fma_f64 v[66:67], v[125:126], v[70:71], v[100:101]
	v_fma_f64 v[60:61], -v[60:61], v[70:71], v[102:103]
	v_fma_f64 v[92:93], v[127:128], v[70:71], v[92:93]
	v_fma_f64 v[64:65], -v[64:65], v[70:71], v[104:105]
	v_fma_f64 v[68:69], v[129:130], v[70:71], v[68:69]
	global_load_b128 v[52:55], v[106:107], off offset:16
	s_wait_loadcnt 0xc
	v_fma_f64 v[94:95], v[108:109], v[72:73], v[58:59]
	v_fma_f64 v[96:97], v[113:114], v[72:73], v[62:63]
	;; [unrolled: 1-line block ×8, first 2 shown]
	s_clause 0x3
	global_load_b128 v[56:59], v[44:45], off offset:6160
	global_load_b128 v[60:63], v[44:45], off offset:6192
	;; [unrolled: 1-line block ×4, first 2 shown]
	v_add_co_u32 v44, vcc_lo, 0x2000, v44
	s_wait_alu 0xfffd
	v_add_co_ci_u32_e64 v45, null, 0, v45, vcc_lo
	v_cmp_ge_i64_e32 vcc_lo, v[42:43], v[19:20]
	s_wait_loadcnt 0xf
	v_cvt_f64_f32_e32 v[110:111], v76
	v_cvt_f64_f32_e32 v[76:77], v77
	s_wait_loadcnt 0xe
	v_cvt_f64_f32_e32 v[125:126], v80
	v_cvt_f64_f32_e32 v[80:81], v81
	;; [unrolled: 3-line block ×4, first 2 shown]
	s_wait_alu 0xfffe
	s_or_b32 s10, vcc_lo, s10
	v_fma_f64 v[94:95], -v[113:114], v[74:75], v[94:95]
	v_fma_f64 v[96:97], v[108:109], v[74:75], v[96:97]
	v_fma_f64 v[98:99], -v[117:118], v[74:75], v[98:99]
	v_fma_f64 v[100:101], v[115:116], v[74:75], v[100:101]
	;; [unrolled: 2-line block ×4, first 2 shown]
	global_load_b128 v[72:75], v[106:107], off offset:32
	v_cvt_f64_f32_e32 v[112:113], v82
	v_cvt_f64_f32_e32 v[82:83], v83
	;; [unrolled: 1-line block ×6, first 2 shown]
	s_wait_loadcnt 0xc
	v_fma_f64 v[94:95], v[110:111], v[9:10], v[94:95]
	v_fma_f64 v[96:97], v[76:77], v[9:10], v[96:97]
	v_fma_f64 v[98:99], v[125:126], v[9:10], v[98:99]
	v_fma_f64 v[100:101], v[80:81], v[9:10], v[100:101]
	v_fma_f64 v[102:103], v[127:128], v[9:10], v[102:103]
	v_fma_f64 v[92:93], v[84:85], v[9:10], v[92:93]
	v_fma_f64 v[104:105], v[129:130], v[9:10], v[104:105]
	v_fma_f64 v[9:10], v[88:89], v[9:10], v[108:109]
	v_cvt_f64_f32_e32 v[108:109], v78
	v_cvt_f64_f32_e32 v[78:79], v79
	v_fma_f64 v[76:77], -v[76:77], v[11:12], v[94:95]
	v_fma_f64 v[94:95], v[110:111], v[11:12], v[96:97]
	v_fma_f64 v[80:81], -v[80:81], v[11:12], v[98:99]
	v_fma_f64 v[96:97], v[125:126], v[11:12], v[100:101]
	;; [unrolled: 2-line block ×4, first 2 shown]
	global_load_b128 v[9:12], v[106:107], off offset:48
	s_wait_loadcnt 0xc
	v_fma_f64 v[76:77], v[108:109], v[13:14], v[76:77]
	v_fma_f64 v[94:95], v[78:79], v[13:14], v[94:95]
	;; [unrolled: 1-line block ×8, first 2 shown]
	s_wait_loadcnt 0xb
	v_cvt_f64_f32_e32 v[98:99], v24
	v_cvt_f64_f32_e32 v[24:25], v25
	s_wait_loadcnt 0xa
	v_cvt_f64_f32_e32 v[100:101], v28
	v_cvt_f64_f32_e32 v[28:29], v29
	;; [unrolled: 3-line block ×4, first 2 shown]
	v_fma_f64 v[76:77], -v[78:79], v[15:16], v[76:77]
	v_fma_f64 v[78:79], v[108:109], v[15:16], v[94:95]
	v_fma_f64 v[80:81], -v[82:83], v[15:16], v[80:81]
	v_fma_f64 v[82:83], v[112:113], v[15:16], v[96:97]
	;; [unrolled: 2-line block ×4, first 2 shown]
	v_cvt_f64_f32_e32 v[90:91], v34
	v_cvt_f64_f32_e32 v[34:35], v35
	;; [unrolled: 1-line block ×4, first 2 shown]
	s_wait_loadcnt 0x7
	v_fma_f64 v[15:16], v[98:99], v[48:49], v[76:77]
	v_fma_f64 v[76:77], v[24:25], v[48:49], v[78:79]
	;; [unrolled: 1-line block ×8, first 2 shown]
	v_cvt_f64_f32_e32 v[48:49], v26
	v_cvt_f64_f32_e32 v[26:27], v27
	;; [unrolled: 1-line block ×4, first 2 shown]
	v_fma_f64 v[15:16], -v[24:25], v[50:51], v[15:16]
	v_fma_f64 v[24:25], v[98:99], v[50:51], v[76:77]
	v_fma_f64 v[28:29], -v[28:29], v[50:51], v[78:79]
	v_fma_f64 v[76:77], v[100:101], v[50:51], v[80:81]
	;; [unrolled: 2-line block ×4, first 2 shown]
	s_wait_loadcnt 0x6
	v_fma_f64 v[15:16], v[48:49], v[52:53], v[15:16]
	v_fma_f64 v[24:25], v[26:27], v[52:53], v[24:25]
	;; [unrolled: 1-line block ×8, first 2 shown]
	s_wait_loadcnt 0x5
	v_cvt_f64_f32_e32 v[52:53], v56
	v_cvt_f64_f32_e32 v[56:57], v57
	s_wait_loadcnt 0x4
	v_cvt_f64_f32_e32 v[78:79], v60
	v_cvt_f64_f32_e32 v[60:61], v61
	;; [unrolled: 3-line block ×4, first 2 shown]
	v_fma_f64 v[15:16], -v[26:27], v[54:55], v[15:16]
	v_fma_f64 v[24:25], v[48:49], v[54:55], v[24:25]
	v_fma_f64 v[26:27], -v[30:31], v[54:55], v[28:29]
	v_fma_f64 v[28:29], v[88:89], v[54:55], v[50:51]
	;; [unrolled: 2-line block ×4, first 2 shown]
	v_cvt_f64_f32_e32 v[36:37], v58
	v_cvt_f64_f32_e32 v[38:39], v59
	;; [unrolled: 1-line block ×8, first 2 shown]
	s_wait_loadcnt 0x1
	v_fma_f64 v[15:16], v[52:53], v[72:73], v[15:16]
	v_fma_f64 v[24:25], v[56:57], v[72:73], v[24:25]
	;; [unrolled: 1-line block ×8, first 2 shown]
	v_fma_f64 v[15:16], -v[56:57], v[74:75], v[15:16]
	v_fma_f64 v[24:25], v[52:53], v[74:75], v[24:25]
	v_fma_f64 v[26:27], -v[60:61], v[74:75], v[26:27]
	v_fma_f64 v[28:29], v[78:79], v[74:75], v[28:29]
	;; [unrolled: 2-line block ×4, first 2 shown]
	s_wait_loadcnt 0x0
	v_fma_f64 v[15:16], v[36:37], v[9:10], v[15:16]
	v_fma_f64 v[24:25], v[38:39], v[9:10], v[24:25]
	v_fma_f64 v[26:27], v[48:49], v[9:10], v[26:27]
	v_fma_f64 v[28:29], v[50:51], v[9:10], v[28:29]
	v_fma_f64 v[52:53], v[54:55], v[9:10], v[30:31]
	v_fma_f64 v[32:33], v[58:59], v[9:10], v[32:33]
	v_fma_f64 v[56:57], v[62:63], v[9:10], v[34:35]
	v_fma_f64 v[9:10], v[66:67], v[9:10], v[13:14]
	v_fma_f64 v[30:31], -v[38:39], v[11:12], v[15:16]
	v_fma_f64 v[24:25], v[36:37], v[11:12], v[24:25]
	v_fma_f64 v[38:39], -v[50:51], v[11:12], v[26:27]
	v_fma_f64 v[28:29], v[48:49], v[11:12], v[28:29]
	;; [unrolled: 2-line block ×4, first 2 shown]
	s_wait_alu 0xfffe
	s_and_not1_b32 exec_lo, exec_lo, s10
	s_cbranch_execnz .LBB172_19
; %bb.20:
	s_or_b32 exec_lo, exec_lo, s10
.LBB172_21:
	s_wait_alu 0xfffe
	s_or_b32 exec_lo, exec_lo, s7
.LBB172_22:
	s_wait_alu 0xfffe
	s_or_b32 exec_lo, exec_lo, s6
	s_cbranch_execz .LBB172_24
	s_branch .LBB172_35
.LBB172_23:
                                        ; implicit-def: $vgpr24_vgpr25
                                        ; implicit-def: $vgpr30_vgpr31
                                        ; implicit-def: $vgpr28_vgpr29
                                        ; implicit-def: $vgpr38_vgpr39
                                        ; implicit-def: $vgpr34_vgpr35
                                        ; implicit-def: $vgpr36_vgpr37
                                        ; implicit-def: $vgpr32_vgpr33
                                        ; implicit-def: $vgpr26_vgpr27
.LBB172_24:
	v_mov_b32_e32 v24, 0
	v_mov_b32_e32 v28, 0
	;; [unrolled: 1-line block ×3, first 2 shown]
	v_dual_mov_b32 v32, 0 :: v_dual_mov_b32 v25, 0
	v_dual_mov_b32 v30, 0 :: v_dual_mov_b32 v29, 0
	;; [unrolled: 1-line block ×5, first 2 shown]
	v_mov_b32_e32 v39, 0
	v_mov_b32_e32 v37, 0
	;; [unrolled: 1-line block ×3, first 2 shown]
	s_and_saveexec_b32 s3, s2
	s_cbranch_execz .LBB172_34
; %bb.25:
	v_or_b32_e32 v9, 16, v0
	v_not_b32_e32 v13, v40
	v_not_b32_e32 v11, v41
	v_mov_b32_e32 v34, 0
	v_mov_b32_e32 v28, 0
	v_sub_co_u32 v9, s2, v9, s12
	s_wait_alu 0xf1ff
	v_sub_co_ci_u32_e64 v10, null, 0, 0, s2
	v_sub_co_u32 v14, s2, s12, v0
	s_delay_alu instid0(VALU_DEP_3) | instskip(SKIP_1) | instid1(VALU_DEP_3)
	v_add_co_u32 v9, vcc_lo, v9, v40
	s_wait_alu 0xfffd
	v_add_co_ci_u32_e64 v10, null, v10, v41, vcc_lo
	s_wait_alu 0xf1ff
	v_sub_co_ci_u32_e64 v15, null, 0, 0, s2
	v_add_co_u32 v13, s2, v14, v13
	s_delay_alu instid0(VALU_DEP_3)
	v_cmp_gt_i64_e32 vcc_lo, v[9:10], v[19:20]
	v_mov_b32_e32 v12, 0
	s_wait_alu 0xf1ff
	v_add_co_ci_u32_e64 v11, null, v15, v11, s2
	v_mov_b32_e32 v26, 0
	s_wait_alu 0xfffd
	v_dual_mov_b32 v32, 0 :: v_dual_cndmask_b32 v9, v19, v9
	v_dual_cndmask_b32 v10, v20, v10 :: v_dual_mov_b32 v27, 0
	v_dual_mov_b32 v35, 0 :: v_dual_mov_b32 v38, 0
	s_delay_alu instid0(VALU_DEP_3)
	v_add_co_u32 v9, vcc_lo, v13, v9
	v_dual_mov_b32 v36, 0 :: v_dual_mov_b32 v29, 0
	v_mov_b32_e32 v30, 0
	v_dual_mov_b32 v24, 0 :: v_dual_mov_b32 v33, 0
	v_mov_b32_e32 v37, 0
	s_wait_alu 0xfffd
	v_add_co_ci_u32_e64 v10, null, v11, v10, vcc_lo
	v_and_b32_e32 v11, 48, v9
	v_mov_b32_e32 v39, 0
	v_mov_b32_e32 v31, 0
	;; [unrolled: 1-line block ×3, first 2 shown]
	s_mov_b32 s6, exec_lo
	v_cmpx_ne_u64_e32 48, v[11:12]
	s_cbranch_execz .LBB172_29
; %bb.26:
	v_lshrrev_b32_e32 v13, 4, v9
	v_mov_b32_e32 v28, 0
	v_lshlrev_b64_e32 v[11:12], 2, v[17:18]
	v_dual_mov_b32 v29, 0 :: v_dual_mov_b32 v38, 0
	s_delay_alu instid0(VALU_DEP_4) | instskip(SKIP_1) | instid1(VALU_DEP_4)
	v_dual_mov_b32 v24, 0 :: v_dual_add_nc_u32 v13, 1, v13
	v_dual_mov_b32 v39, 0 :: v_dual_mov_b32 v36, 0
	v_add_co_u32 v11, vcc_lo, s8, v11
	s_delay_alu instid0(VALU_DEP_3) | instskip(SKIP_2) | instid1(VALU_DEP_3)
	v_dual_mov_b32 v34, 0 :: v_dual_and_b32 v13, 3, v13
	v_dual_mov_b32 v25, 0 :: v_dual_mov_b32 v30, 0
	v_dual_mov_b32 v35, 0 :: v_dual_mov_b32 v32, 0
	v_sub_co_u32 v13, s2, 0, v13
	v_dual_mov_b32 v37, 0 :: v_dual_mov_b32 v26, 0
	v_mov_b32_e32 v31, 0
	s_wait_alu 0xfffd
	v_add_co_ci_u32_e64 v12, null, s9, v12, vcc_lo
	v_mov_b32_e32 v33, 0
	v_mov_b32_e32 v27, 0
	s_wait_alu 0xf1ff
	v_sub_co_ci_u32_e64 v14, null, 0, 0, s2
	s_mov_b32 s7, 0
.LBB172_27:                             ; =>This Inner Loop Header: Depth=1
	global_load_b32 v15, v[11:12], off
	s_clause 0x1
	global_load_b128 v[40:43], v[22:23], off
	global_load_b128 v[44:47], v[22:23], off offset:16
	v_add_co_u32 v11, s2, v11, 64
	s_wait_alu 0xf1ff
	v_add_co_ci_u32_e64 v12, null, 0, v12, s2
	s_wait_loadcnt 0x2
	v_subrev_nc_u32_e32 v15, s12, v15
	s_wait_loadcnt 0x1
	v_cvt_f64_f32_e32 v[88:89], v42
	v_cvt_f64_f32_e32 v[42:43], v43
	s_wait_loadcnt 0x0
	v_cvt_f64_f32_e32 v[90:91], v44
	v_cvt_f64_f32_e32 v[44:45], v45
	v_lshlrev_b32_e32 v15, 2, v15
	v_cvt_f64_f32_e32 v[92:93], v46
	v_cvt_f64_f32_e32 v[46:47], v47
	s_delay_alu instid0(VALU_DEP_3) | instskip(NEXT) | instid1(VALU_DEP_1)
	v_ashrrev_i32_e32 v16, 31, v15
	v_lshlrev_b64_e32 v[15:16], 4, v[15:16]
	s_wait_kmcnt 0x0
	s_delay_alu instid0(VALU_DEP_1) | instskip(SKIP_1) | instid1(VALU_DEP_2)
	v_add_co_u32 v15, vcc_lo, s4, v15
	s_wait_alu 0xfffd
	v_add_co_ci_u32_e64 v16, null, s5, v16, vcc_lo
	s_clause 0x1
	global_load_b128 v[48:51], v[15:16], off
	global_load_b128 v[52:55], v[15:16], off offset:16
	s_clause 0x3
	global_load_b128 v[56:59], v[22:23], off offset:32
	global_load_b128 v[60:63], v[22:23], off offset:48
	;; [unrolled: 1-line block ×4, first 2 shown]
	s_clause 0x1
	global_load_b128 v[72:75], v[15:16], off offset:32
	global_load_b128 v[76:79], v[15:16], off offset:48
	s_clause 0x1
	global_load_b128 v[80:83], v[22:23], off offset:96
	global_load_b128 v[84:87], v[22:23], off offset:112
	v_cvt_f64_f32_e32 v[15:16], v40
	v_cvt_f64_f32_e32 v[40:41], v41
	v_add_co_u32 v22, vcc_lo, 0x800, v22
	s_wait_alu 0xfffd
	v_add_co_ci_u32_e64 v23, null, 0, v23, vcc_lo
	v_add_co_u32 v13, vcc_lo, v13, 1
	s_wait_alu 0xfffd
	v_add_co_ci_u32_e64 v14, null, 0, v14, vcc_lo
	;; [unrolled: 3-line block ×3, first 2 shown]
	s_delay_alu instid0(VALU_DEP_3)
	v_cmp_eq_u64_e32 vcc_lo, 0, v[13:14]
	s_wait_alu 0xfffe
	s_or_b32 s7, vcc_lo, s7
	s_wait_loadcnt 0x9
	v_fma_f64 v[30:31], v[15:16], v[48:49], v[30:31]
	v_fma_f64 v[24:25], v[40:41], v[48:49], v[24:25]
	;; [unrolled: 1-line block ×8, first 2 shown]
	s_wait_loadcnt 0x7
	v_cvt_f64_f32_e32 v[48:49], v56
	v_cvt_f64_f32_e32 v[56:57], v57
	;; [unrolled: 1-line block ×4, first 2 shown]
	s_wait_loadcnt 0x6
	v_cvt_f64_f32_e32 v[96:97], v60
	v_cvt_f64_f32_e32 v[60:61], v61
	;; [unrolled: 1-line block ×4, first 2 shown]
	v_fma_f64 v[30:31], -v[40:41], v[50:51], v[30:31]
	v_fma_f64 v[15:16], v[15:16], v[50:51], v[24:25]
	v_fma_f64 v[24:25], -v[42:43], v[50:51], v[38:39]
	v_fma_f64 v[28:29], v[88:89], v[50:51], v[28:29]
	;; [unrolled: 2-line block ×4, first 2 shown]
	s_wait_loadcnt 0x5
	v_cvt_f64_f32_e32 v[38:39], v64
	v_cvt_f64_f32_e32 v[40:41], v65
	;; [unrolled: 1-line block ×4, first 2 shown]
	s_wait_loadcnt 0x4
	v_cvt_f64_f32_e32 v[46:47], v68
	v_cvt_f64_f32_e32 v[50:51], v69
	;; [unrolled: 1-line block ×3, first 2 shown]
	s_wait_loadcnt 0x0
	v_cvt_f64_f32_e32 v[66:67], v86
	v_cvt_f64_f32_e32 v[68:69], v87
	v_fma_f64 v[30:31], v[48:49], v[52:53], v[30:31]
	v_fma_f64 v[15:16], v[56:57], v[52:53], v[15:16]
	;; [unrolled: 1-line block ×8, first 2 shown]
	v_cvt_f64_f32_e32 v[52:53], v70
	v_fma_f64 v[30:31], -v[56:57], v[54:55], v[30:31]
	v_fma_f64 v[15:16], v[48:49], v[54:55], v[15:16]
	v_fma_f64 v[24:25], -v[58:59], v[54:55], v[24:25]
	v_fma_f64 v[28:29], v[94:95], v[54:55], v[28:29]
	;; [unrolled: 2-line block ×4, first 2 shown]
	v_cvt_f64_f32_e32 v[48:49], v80
	v_cvt_f64_f32_e32 v[54:55], v81
	;; [unrolled: 1-line block ×6, first 2 shown]
	v_fma_f64 v[30:31], v[38:39], v[72:73], v[30:31]
	v_fma_f64 v[15:16], v[40:41], v[72:73], v[15:16]
	;; [unrolled: 1-line block ×8, first 2 shown]
	v_fma_f64 v[30:31], -v[40:41], v[74:75], v[30:31]
	v_fma_f64 v[15:16], v[38:39], v[74:75], v[15:16]
	v_fma_f64 v[24:25], -v[44:45], v[74:75], v[24:25]
	v_fma_f64 v[28:29], v[42:43], v[74:75], v[28:29]
	;; [unrolled: 2-line block ×4, first 2 shown]
	v_fma_f64 v[30:31], v[48:49], v[76:77], v[30:31]
	v_fma_f64 v[15:16], v[54:55], v[76:77], v[15:16]
	;; [unrolled: 1-line block ×8, first 2 shown]
	v_fma_f64 v[30:31], -v[54:55], v[78:79], v[30:31]
	v_fma_f64 v[24:25], v[48:49], v[78:79], v[15:16]
	v_fma_f64 v[38:39], -v[58:59], v[78:79], v[38:39]
	v_fma_f64 v[28:29], v[56:57], v[78:79], v[28:29]
	;; [unrolled: 2-line block ×4, first 2 shown]
	s_wait_alu 0xfffe
	s_and_not1_b32 exec_lo, exec_lo, s7
	s_cbranch_execnz .LBB172_27
; %bb.28:
	s_or_b32 exec_lo, exec_lo, s7
.LBB172_29:
	s_wait_alu 0xfffe
	s_or_b32 exec_lo, exec_lo, s6
	s_delay_alu instid0(SALU_CYCLE_1)
	s_mov_b32 s6, exec_lo
	v_cmpx_lt_u64_e32 47, v[9:10]
	s_cbranch_execz .LBB172_33
; %bb.30:
	v_lshlrev_b64_e32 v[9:10], 2, v[17:18]
	s_mov_b32 s7, 0
	s_delay_alu instid0(VALU_DEP_1) | instskip(SKIP_1) | instid1(VALU_DEP_2)
	v_add_co_u32 v9, vcc_lo, s8, v9
	s_wait_alu 0xfffd
	v_add_co_ci_u32_e64 v10, null, s9, v10, vcc_lo
	s_delay_alu instid0(VALU_DEP_2) | instskip(SKIP_1) | instid1(VALU_DEP_2)
	v_add_co_u32 v9, vcc_lo, 0x80, v9
	s_wait_alu 0xfffd
	v_add_co_ci_u32_e64 v10, null, 0, v10, vcc_lo
.LBB172_31:                             ; =>This Inner Loop Header: Depth=1
	global_load_b32 v15, v[9:10], off offset:-128
	global_load_b128 v[11:14], v[22:23], off
	global_load_b32 v98, v[9:10], off offset:-64
	global_load_b128 v[40:43], v[22:23], off offset:16
	s_clause 0x1
	global_load_b32 v120, v[9:10], off
	global_load_b32 v126, v[9:10], off offset:64
	v_add_co_u32 v9, s2, 0x100, v9
	s_wait_alu 0xf1ff
	v_add_co_ci_u32_e64 v10, null, 0, v10, s2
	s_wait_loadcnt 0x5
	v_subrev_nc_u32_e32 v15, s12, v15
	s_wait_loadcnt 0x4
	v_cvt_f64_f32_e32 v[92:93], v12
	v_cvt_f64_f32_e32 v[94:95], v13
	;; [unrolled: 1-line block ×3, first 2 shown]
	s_wait_loadcnt 0x2
	v_cvt_f64_f32_e32 v[100:101], v42
	v_lshlrev_b32_e32 v15, 2, v15
	v_cvt_f64_f32_e32 v[42:43], v43
	s_delay_alu instid0(VALU_DEP_2) | instskip(NEXT) | instid1(VALU_DEP_1)
	v_ashrrev_i32_e32 v16, 31, v15
	v_lshlrev_b64_e32 v[15:16], 4, v[15:16]
	s_wait_kmcnt 0x0
	s_delay_alu instid0(VALU_DEP_1) | instskip(SKIP_1) | instid1(VALU_DEP_2)
	v_add_co_u32 v15, vcc_lo, s4, v15
	s_wait_alu 0xfffd
	v_add_co_ci_u32_e64 v16, null, s5, v16, vcc_lo
	s_clause 0x1
	global_load_b128 v[44:47], v[15:16], off
	global_load_b128 v[48:51], v[15:16], off offset:16
	s_clause 0x3
	global_load_b128 v[52:55], v[22:23], off offset:32
	global_load_b128 v[56:59], v[22:23], off offset:48
	;; [unrolled: 1-line block ×5, first 2 shown]
	s_clause 0x1
	global_load_b128 v[72:75], v[22:23], off offset:96
	global_load_b128 v[76:79], v[22:23], off offset:112
	;; [unrolled: 1-line block ×3, first 2 shown]
	s_clause 0x1
	global_load_b128 v[84:87], v[22:23], off offset:2048
	global_load_b128 v[88:91], v[22:23], off offset:2064
	v_cvt_f64_f32_e32 v[15:16], v11
	v_subrev_nc_u32_e32 v11, s12, v98
	v_cvt_f64_f32_e32 v[98:99], v40
	v_cvt_f64_f32_e32 v[40:41], v41
	s_delay_alu instid0(VALU_DEP_3) | instskip(NEXT) | instid1(VALU_DEP_1)
	v_lshlrev_b32_e32 v11, 2, v11
	v_ashrrev_i32_e32 v12, 31, v11
	s_delay_alu instid0(VALU_DEP_1) | instskip(NEXT) | instid1(VALU_DEP_1)
	v_lshlrev_b64_e32 v[11:12], 4, v[11:12]
	v_add_co_u32 v102, vcc_lo, s4, v11
	s_wait_alu 0xfffd
	s_delay_alu instid0(VALU_DEP_2)
	v_add_co_ci_u32_e64 v103, null, s5, v12, vcc_lo
	global_load_b128 v[11:14], v[102:103], off
	s_wait_loadcnt 0xc
	v_fma_f64 v[104:105], v[15:16], v[44:45], v[30:31]
	v_fma_f64 v[106:107], v[92:93], v[44:45], v[24:25]
	;; [unrolled: 1-line block ×8, first 2 shown]
	s_clause 0x1
	global_load_b128 v[24:27], v[22:23], off offset:2080
	global_load_b128 v[28:31], v[22:23], off offset:2096
	s_wait_loadcnt 0xc
	v_cvt_f64_f32_e32 v[44:45], v52
	v_cvt_f64_f32_e32 v[52:53], v53
	;; [unrolled: 1-line block ×4, first 2 shown]
	s_wait_loadcnt 0xb
	v_cvt_f64_f32_e32 v[114:115], v56
	v_cvt_f64_f32_e32 v[56:57], v57
	;; [unrolled: 1-line block ×4, first 2 shown]
	s_wait_loadcnt 0x9
	v_cvt_f64_f32_e32 v[118:119], v66
	v_cvt_f64_f32_e32 v[66:67], v67
	v_fma_f64 v[92:93], -v[92:93], v[46:47], v[104:105]
	v_fma_f64 v[15:16], v[15:16], v[46:47], v[106:107]
	v_fma_f64 v[38:39], -v[96:97], v[46:47], v[38:39]
	v_fma_f64 v[94:95], v[94:95], v[46:47], v[108:109]
	;; [unrolled: 2-line block ×4, first 2 shown]
	global_load_b128 v[32:35], v[102:103], off offset:16
	v_cvt_f64_f32_e32 v[106:107], v60
	v_cvt_f64_f32_e32 v[60:61], v61
	;; [unrolled: 1-line block ×6, first 2 shown]
	v_fma_f64 v[92:93], v[44:45], v[48:49], v[92:93]
	v_fma_f64 v[15:16], v[52:53], v[48:49], v[15:16]
	;; [unrolled: 1-line block ×8, first 2 shown]
	s_clause 0x1
	global_load_b128 v[36:39], v[22:23], off offset:2112
	global_load_b128 v[40:43], v[22:23], off offset:2128
	v_fma_f64 v[48:49], -v[52:53], v[50:51], v[92:93]
	v_fma_f64 v[15:16], v[44:45], v[50:51], v[15:16]
	v_fma_f64 v[52:53], -v[54:55], v[50:51], v[96:97]
	v_fma_f64 v[54:55], v[112:113], v[50:51], v[94:95]
	;; [unrolled: 2-line block ×4, first 2 shown]
	global_load_b128 v[44:47], v[102:103], off offset:32
	s_wait_loadcnt 0xb
	v_cvt_f64_f32_e32 v[100:101], v72
	v_cvt_f64_f32_e32 v[72:73], v73
	;; [unrolled: 1-line block ×4, first 2 shown]
	s_wait_loadcnt 0xa
	v_cvt_f64_f32_e32 v[112:113], v76
	v_cvt_f64_f32_e32 v[76:77], v77
	;; [unrolled: 1-line block ×4, first 2 shown]
	v_subrev_nc_u32_e32 v116, s12, v120
	s_delay_alu instid0(VALU_DEP_1) | instskip(NEXT) | instid1(VALU_DEP_1)
	v_lshlrev_b32_e32 v116, 2, v116
	v_ashrrev_i32_e32 v117, 31, v116
	v_fma_f64 v[94:95], v[106:107], v[68:69], v[48:49]
	v_fma_f64 v[15:16], v[60:61], v[68:69], v[15:16]
	;; [unrolled: 1-line block ×8, first 2 shown]
	s_clause 0x1
	global_load_b128 v[48:51], v[22:23], off offset:2144
	global_load_b128 v[52:55], v[22:23], off offset:2160
	v_fma_f64 v[60:61], -v[60:61], v[70:71], v[94:95]
	v_fma_f64 v[15:16], v[106:107], v[70:71], v[15:16]
	v_fma_f64 v[62:63], -v[62:63], v[70:71], v[96:97]
	v_fma_f64 v[94:95], v[108:109], v[70:71], v[98:99]
	v_fma_f64 v[64:65], -v[64:65], v[70:71], v[56:57]
	v_fma_f64 v[92:93], v[110:111], v[70:71], v[92:93]
	v_fma_f64 v[66:67], -v[66:67], v[70:71], v[58:59]
	v_fma_f64 v[68:69], v[118:119], v[70:71], v[68:69]
	global_load_b128 v[56:59], v[102:103], off offset:48
	s_wait_loadcnt 0xb
	v_cvt_f64_f32_e32 v[106:107], v86
	v_cvt_f64_f32_e32 v[86:87], v87
	s_wait_loadcnt 0xa
	v_cvt_f64_f32_e32 v[108:109], v88
	v_cvt_f64_f32_e32 v[88:89], v89
	;; [unrolled: 1-line block ×4, first 2 shown]
	v_fma_f64 v[70:71], v[100:101], v[80:81], v[60:61]
	v_fma_f64 v[15:16], v[72:73], v[80:81], v[15:16]
	v_fma_f64 v[96:97], v[104:105], v[80:81], v[62:63]
	v_fma_f64 v[94:95], v[74:75], v[80:81], v[94:95]
	v_fma_f64 v[98:99], v[112:113], v[80:81], v[64:65]
	v_fma_f64 v[92:93], v[76:77], v[80:81], v[92:93]
	v_fma_f64 v[102:103], v[114:115], v[80:81], v[66:67]
	v_fma_f64 v[68:69], v[78:79], v[80:81], v[68:69]
	s_clause 0x1
	global_load_b128 v[60:63], v[22:23], off offset:4096
	global_load_b128 v[64:67], v[22:23], off offset:4112
	v_cvt_f64_f32_e32 v[80:81], v84
	v_cvt_f64_f32_e32 v[84:85], v85
	v_fma_f64 v[72:73], -v[72:73], v[82:83], v[70:71]
	v_fma_f64 v[15:16], v[100:101], v[82:83], v[15:16]
	v_fma_f64 v[74:75], -v[74:75], v[82:83], v[96:97]
	v_fma_f64 v[94:95], v[104:105], v[82:83], v[94:95]
	;; [unrolled: 2-line block ×4, first 2 shown]
	v_lshlrev_b64_e32 v[68:69], 4, v[116:117]
	s_delay_alu instid0(VALU_DEP_1) | instskip(SKIP_1) | instid1(VALU_DEP_2)
	v_add_co_u32 v96, vcc_lo, s4, v68
	s_wait_alu 0xfffd
	v_add_co_ci_u32_e64 v97, null, s5, v69, vcc_lo
	global_load_b128 v[68:71], v[96:97], off
	s_wait_loadcnt 0xc
	v_fma_f64 v[98:99], v[80:81], v[11:12], v[72:73]
	v_fma_f64 v[15:16], v[84:85], v[11:12], v[15:16]
	v_fma_f64 v[100:101], v[106:107], v[11:12], v[74:75]
	v_fma_f64 v[94:95], v[86:87], v[11:12], v[94:95]
	v_fma_f64 v[102:103], v[108:109], v[11:12], v[76:77]
	v_fma_f64 v[92:93], v[88:89], v[11:12], v[92:93]
	v_fma_f64 v[104:105], v[110:111], v[11:12], v[78:79]
	v_fma_f64 v[11:12], v[90:91], v[11:12], v[82:83]
	s_clause 0x1
	global_load_b128 v[72:75], v[22:23], off offset:4128
	global_load_b128 v[76:79], v[22:23], off offset:4144
	s_wait_loadcnt 0xd
	v_cvt_f64_f32_e32 v[82:83], v24
	v_cvt_f64_f32_e32 v[112:113], v25
	v_cvt_f64_f32_e32 v[114:115], v26
	v_cvt_f64_f32_e32 v[116:117], v27
	s_wait_loadcnt 0xc
	v_cvt_f64_f32_e32 v[118:119], v28
	v_cvt_f64_f32_e32 v[120:121], v29
	v_cvt_f64_f32_e32 v[122:123], v30
	v_cvt_f64_f32_e32 v[124:125], v31
	v_fma_f64 v[24:25], -v[84:85], v[13:14], v[98:99]
	v_fma_f64 v[15:16], v[80:81], v[13:14], v[15:16]
	v_fma_f64 v[26:27], -v[86:87], v[13:14], v[100:101]
	v_fma_f64 v[28:29], v[106:107], v[13:14], v[94:95]
	v_fma_f64 v[30:31], -v[88:89], v[13:14], v[102:103]
	v_fma_f64 v[80:81], v[108:109], v[13:14], v[92:93]
	v_fma_f64 v[84:85], -v[90:91], v[13:14], v[104:105]
	v_fma_f64 v[86:87], v[110:111], v[13:14], v[11:12]
	global_load_b128 v[11:14], v[96:97], off offset:16
	s_wait_loadcnt 0xc
	v_fma_f64 v[88:89], v[82:83], v[32:33], v[24:25]
	v_fma_f64 v[15:16], v[112:113], v[32:33], v[15:16]
	v_fma_f64 v[90:91], v[114:115], v[32:33], v[26:27]
	v_fma_f64 v[92:93], v[116:117], v[32:33], v[28:29]
	v_fma_f64 v[94:95], v[118:119], v[32:33], v[30:31]
	v_fma_f64 v[80:81], v[120:121], v[32:33], v[80:81]
	v_fma_f64 v[84:85], v[122:123], v[32:33], v[84:85]
	v_fma_f64 v[32:33], v[124:125], v[32:33], v[86:87]
	s_clause 0x1
	global_load_b128 v[24:27], v[22:23], off offset:4160
	global_load_b128 v[28:31], v[22:23], off offset:4176
	s_wait_loadcnt 0xd
	v_cvt_f64_f32_e32 v[86:87], v36
	v_cvt_f64_f32_e32 v[98:99], v37
	v_cvt_f64_f32_e32 v[100:101], v38
	v_cvt_f64_f32_e32 v[102:103], v39
	s_wait_loadcnt 0xc
	v_cvt_f64_f32_e32 v[104:105], v40
	v_cvt_f64_f32_e32 v[106:107], v41
	v_cvt_f64_f32_e32 v[108:109], v42
	v_cvt_f64_f32_e32 v[110:111], v43
	v_fma_f64 v[36:37], -v[112:113], v[34:35], v[88:89]
	v_fma_f64 v[15:16], v[82:83], v[34:35], v[15:16]
	v_fma_f64 v[38:39], -v[116:117], v[34:35], v[90:91]
	v_fma_f64 v[40:41], v[114:115], v[34:35], v[92:93]
	v_fma_f64 v[42:43], -v[120:121], v[34:35], v[94:95]
	v_fma_f64 v[80:81], v[118:119], v[34:35], v[80:81]
	v_fma_f64 v[82:83], -v[124:125], v[34:35], v[84:85]
	v_fma_f64 v[84:85], v[122:123], v[34:35], v[32:33]
	global_load_b128 v[32:35], v[96:97], off offset:32
	;; [unrolled: 31-line block ×3, first 2 shown]
	s_wait_loadcnt 0xc
	v_fma_f64 v[88:89], v[84:85], v[56:57], v[48:49]
	v_fma_f64 v[15:16], v[112:113], v[56:57], v[15:16]
	;; [unrolled: 1-line block ×8, first 2 shown]
	s_clause 0x1
	global_load_b128 v[48:51], v[22:23], off offset:6144
	global_load_b128 v[52:55], v[22:23], off offset:6160
	s_wait_loadcnt 0xd
	v_cvt_f64_f32_e32 v[86:87], v60
	v_subrev_nc_u32_e32 v60, s12, v126
	v_cvt_f64_f32_e32 v[96:97], v61
	v_cvt_f64_f32_e32 v[98:99], v62
	;; [unrolled: 1-line block ×3, first 2 shown]
	s_wait_loadcnt 0xc
	v_cvt_f64_f32_e32 v[102:103], v64
	v_lshlrev_b32_e32 v60, 2, v60
	v_cvt_f64_f32_e32 v[104:105], v65
	v_cvt_f64_f32_e32 v[106:107], v66
	;; [unrolled: 1-line block ×3, first 2 shown]
	s_delay_alu instid0(VALU_DEP_4)
	v_ashrrev_i32_e32 v61, 31, v60
	v_fma_f64 v[62:63], -v[112:113], v[58:59], v[88:89]
	v_fma_f64 v[15:16], v[84:85], v[58:59], v[15:16]
	v_fma_f64 v[64:65], -v[116:117], v[58:59], v[90:91]
	v_fma_f64 v[66:67], v[114:115], v[58:59], v[92:93]
	v_fma_f64 v[84:85], -v[120:121], v[58:59], v[94:95]
	v_fma_f64 v[80:81], v[118:119], v[58:59], v[80:81]
	v_fma_f64 v[82:83], -v[124:125], v[58:59], v[82:83]
	v_fma_f64 v[88:89], v[122:123], v[58:59], v[56:57]
	v_lshlrev_b64_e32 v[56:57], 4, v[60:61]
	s_delay_alu instid0(VALU_DEP_1) | instskip(SKIP_1) | instid1(VALU_DEP_2)
	v_add_co_u32 v90, vcc_lo, s4, v56
	s_wait_alu 0xfffd
	v_add_co_ci_u32_e64 v91, null, s5, v57, vcc_lo
	v_add_co_u32 v17, vcc_lo, v17, 64
	s_wait_alu 0xfffd
	v_add_co_ci_u32_e64 v18, null, 0, v18, vcc_lo
	global_load_b128 v[56:59], v[90:91], off
	s_wait_loadcnt 0xc
	v_fma_f64 v[92:93], v[86:87], v[68:69], v[62:63]
	v_fma_f64 v[15:16], v[96:97], v[68:69], v[15:16]
	;; [unrolled: 1-line block ×8, first 2 shown]
	s_clause 0x1
	global_load_b128 v[60:63], v[22:23], off offset:6176
	global_load_b128 v[64:67], v[22:23], off offset:6192
	s_wait_loadcnt 0xd
	v_cvt_f64_f32_e32 v[88:89], v72
	v_cvt_f64_f32_e32 v[112:113], v73
	v_cvt_f64_f32_e32 v[114:115], v74
	v_cvt_f64_f32_e32 v[116:117], v75
	s_wait_loadcnt 0xc
	v_cvt_f64_f32_e32 v[118:119], v76
	v_cvt_f64_f32_e32 v[120:121], v77
	;; [unrolled: 1-line block ×4, first 2 shown]
	v_fma_f64 v[72:73], -v[96:97], v[70:71], v[92:93]
	v_fma_f64 v[15:16], v[86:87], v[70:71], v[15:16]
	v_fma_f64 v[74:75], -v[100:101], v[70:71], v[94:95]
	v_fma_f64 v[76:77], v[98:99], v[70:71], v[110:111]
	v_fma_f64 v[78:79], -v[104:105], v[70:71], v[84:85]
	v_fma_f64 v[80:81], v[102:103], v[70:71], v[80:81]
	v_fma_f64 v[82:83], -v[108:109], v[70:71], v[82:83]
	v_fma_f64 v[84:85], v[106:107], v[70:71], v[68:69]
	global_load_b128 v[68:71], v[90:91], off offset:16
	s_wait_loadcnt 0xc
	v_fma_f64 v[86:87], v[88:89], v[11:12], v[72:73]
	v_fma_f64 v[15:16], v[112:113], v[11:12], v[15:16]
	;; [unrolled: 1-line block ×8, first 2 shown]
	s_clause 0x1
	global_load_b128 v[72:75], v[22:23], off offset:6208
	global_load_b128 v[76:79], v[22:23], off offset:6224
	s_wait_loadcnt 0xd
	v_cvt_f64_f32_e32 v[84:85], v24
	v_cvt_f64_f32_e32 v[98:99], v25
	;; [unrolled: 1-line block ×4, first 2 shown]
	s_wait_loadcnt 0xc
	v_cvt_f64_f32_e32 v[104:105], v28
	v_cvt_f64_f32_e32 v[106:107], v29
	;; [unrolled: 1-line block ×4, first 2 shown]
	v_fma_f64 v[24:25], -v[112:113], v[13:14], v[86:87]
	v_fma_f64 v[15:16], v[88:89], v[13:14], v[15:16]
	v_fma_f64 v[26:27], -v[116:117], v[13:14], v[92:93]
	v_fma_f64 v[28:29], v[114:115], v[13:14], v[94:95]
	;; [unrolled: 2-line block ×4, first 2 shown]
	global_load_b128 v[11:14], v[90:91], off offset:32
	s_wait_loadcnt 0xc
	v_fma_f64 v[88:89], v[84:85], v[32:33], v[24:25]
	v_fma_f64 v[15:16], v[98:99], v[32:33], v[15:16]
	;; [unrolled: 1-line block ×8, first 2 shown]
	s_clause 0x1
	global_load_b128 v[24:27], v[22:23], off offset:6240
	global_load_b128 v[28:31], v[22:23], off offset:6256
	v_add_co_u32 v22, vcc_lo, 0x2000, v22
	s_wait_alu 0xfffd
	v_add_co_ci_u32_e64 v23, null, 0, v23, vcc_lo
	v_cmp_ge_i64_e32 vcc_lo, v[17:18], v[19:20]
	s_wait_alu 0xfffe
	s_or_b32 s7, vcc_lo, s7
	s_wait_loadcnt 0xd
	v_cvt_f64_f32_e32 v[86:87], v36
	v_cvt_f64_f32_e32 v[36:37], v37
	;; [unrolled: 1-line block ×4, first 2 shown]
	s_wait_loadcnt 0xc
	v_cvt_f64_f32_e32 v[116:117], v40
	v_cvt_f64_f32_e32 v[118:119], v41
	;; [unrolled: 1-line block ×4, first 2 shown]
	global_load_b128 v[38:41], v[90:91], off offset:48
	v_fma_f64 v[88:89], -v[98:99], v[34:35], v[88:89]
	v_fma_f64 v[15:16], v[84:85], v[34:35], v[15:16]
	v_fma_f64 v[84:85], -v[102:103], v[34:35], v[92:93]
	v_fma_f64 v[92:93], v[100:101], v[34:35], v[94:95]
	v_fma_f64 v[94:95], -v[106:107], v[34:35], v[96:97]
	v_fma_f64 v[80:81], v[104:105], v[34:35], v[80:81]
	v_fma_f64 v[82:83], -v[110:111], v[34:35], v[82:83]
	v_fma_f64 v[32:33], v[108:109], v[34:35], v[32:33]
	s_wait_loadcnt 0xc
	v_fma_f64 v[34:35], v[86:87], v[44:45], v[88:89]
	v_fma_f64 v[15:16], v[36:37], v[44:45], v[15:16]
	v_fma_f64 v[84:85], v[112:113], v[44:45], v[84:85]
	v_fma_f64 v[88:89], v[114:115], v[44:45], v[92:93]
	v_fma_f64 v[90:91], v[116:117], v[44:45], v[94:95]
	v_fma_f64 v[80:81], v[118:119], v[44:45], v[80:81]
	v_fma_f64 v[82:83], v[120:121], v[44:45], v[82:83]
	v_fma_f64 v[32:33], v[42:43], v[44:45], v[32:33]
	s_wait_loadcnt 0xb
	v_cvt_f64_f32_e32 v[44:45], v48
	v_cvt_f64_f32_e32 v[48:49], v49
	v_cvt_f64_f32_e32 v[92:93], v50
	v_cvt_f64_f32_e32 v[50:51], v51
	s_wait_loadcnt 0xa
	v_cvt_f64_f32_e32 v[94:95], v52
	v_cvt_f64_f32_e32 v[52:53], v53
	v_cvt_f64_f32_e32 v[96:97], v54
	v_cvt_f64_f32_e32 v[54:55], v55
	v_fma_f64 v[34:35], -v[36:37], v[46:47], v[34:35]
	v_fma_f64 v[15:16], v[86:87], v[46:47], v[15:16]
	v_fma_f64 v[36:37], -v[114:115], v[46:47], v[84:85]
	v_fma_f64 v[84:85], v[112:113], v[46:47], v[88:89]
	v_fma_f64 v[86:87], -v[118:119], v[46:47], v[90:91]
	v_fma_f64 v[80:81], v[116:117], v[46:47], v[80:81]
	v_fma_f64 v[42:43], -v[42:43], v[46:47], v[82:83]
	v_fma_f64 v[32:33], v[120:121], v[46:47], v[32:33]
	s_wait_loadcnt 0x9
	v_fma_f64 v[34:35], v[44:45], v[56:57], v[34:35]
	v_fma_f64 v[15:16], v[48:49], v[56:57], v[15:16]
	v_fma_f64 v[36:37], v[92:93], v[56:57], v[36:37]
	v_fma_f64 v[46:47], v[50:51], v[56:57], v[84:85]
	v_fma_f64 v[82:83], v[94:95], v[56:57], v[86:87]
	v_fma_f64 v[80:81], v[52:53], v[56:57], v[80:81]
	v_fma_f64 v[42:43], v[96:97], v[56:57], v[42:43]
	v_fma_f64 v[32:33], v[54:55], v[56:57], v[32:33]
	s_wait_loadcnt 0x8
	v_cvt_f64_f32_e32 v[56:57], v60
	v_cvt_f64_f32_e32 v[60:61], v61
	v_cvt_f64_f32_e32 v[84:85], v62
	v_cvt_f64_f32_e32 v[62:63], v63
	s_wait_loadcnt 0x7
	v_cvt_f64_f32_e32 v[86:87], v64
	v_cvt_f64_f32_e32 v[64:65], v65
	v_cvt_f64_f32_e32 v[88:89], v66
	v_cvt_f64_f32_e32 v[66:67], v67
	;; [unrolled: 27-line block ×4, first 2 shown]
	v_fma_f64 v[28:29], -v[52:53], v[13:14], v[34:35]
	v_fma_f64 v[15:16], v[50:51], v[13:14], v[15:16]
	v_fma_f64 v[30:31], -v[58:59], v[13:14], v[36:37]
	v_fma_f64 v[34:35], v[54:55], v[13:14], v[44:45]
	;; [unrolled: 2-line block ×4, first 2 shown]
	s_wait_loadcnt 0x0
	v_fma_f64 v[13:14], v[32:33], v[38:39], v[28:29]
	v_fma_f64 v[15:16], v[24:25], v[38:39], v[15:16]
	;; [unrolled: 1-line block ×8, first 2 shown]
	v_fma_f64 v[30:31], -v[24:25], v[40:41], v[13:14]
	v_fma_f64 v[24:25], v[32:33], v[40:41], v[15:16]
	v_fma_f64 v[38:39], -v[26:27], v[40:41], v[28:29]
	v_fma_f64 v[28:29], v[56:57], v[40:41], v[34:35]
	;; [unrolled: 2-line block ×4, first 2 shown]
	s_wait_alu 0xfffe
	s_and_not1_b32 exec_lo, exec_lo, s7
	s_cbranch_execnz .LBB172_31
; %bb.32:
	s_or_b32 exec_lo, exec_lo, s7
.LBB172_33:
	s_wait_alu 0xfffe
	s_or_b32 exec_lo, exec_lo, s6
.LBB172_34:
	s_wait_alu 0xfffe
	s_or_b32 exec_lo, exec_lo, s3
.LBB172_35:
	v_mbcnt_lo_u32_b32 v42, -1, 0
	s_delay_alu instid0(VALU_DEP_1) | instskip(NEXT) | instid1(VALU_DEP_1)
	v_xor_b32_e32 v9, 8, v42
	v_cmp_gt_i32_e32 vcc_lo, 32, v9
	s_wait_alu 0xfffd
	v_cndmask_b32_e32 v9, v42, v9, vcc_lo
	s_delay_alu instid0(VALU_DEP_1)
	v_lshlrev_b32_e32 v41, 2, v9
	ds_bpermute_b32 v22, v41, v26
	ds_bpermute_b32 v23, v41, v27
	s_wait_dscnt 0x0
	v_add_f64_e32 v[22:23], v[26:27], v[22:23]
	v_xor_b32_e32 v26, 4, v42
	s_delay_alu instid0(VALU_DEP_1)
	v_cmp_gt_i32_e32 vcc_lo, 32, v26
	s_wait_alu 0xfffd
	v_cndmask_b32_e32 v26, v42, v26, vcc_lo
	ds_bpermute_b32 v9, v41, v30
	ds_bpermute_b32 v10, v41, v31
	;; [unrolled: 1-line block ×14, first 2 shown]
	s_wait_dscnt 0xc
	v_add_f64_e32 v[9:10], v[30:31], v[9:10]
	s_wait_dscnt 0xa
	v_add_f64_e32 v[15:16], v[28:29], v[15:16]
	;; [unrolled: 2-line block ×7, first 2 shown]
	v_lshlrev_b32_e32 v41, 2, v26
	ds_bpermute_b32 v38, v41, v22
	ds_bpermute_b32 v39, v41, v23
	;; [unrolled: 1-line block ×16, first 2 shown]
	s_wait_dscnt 0xe
	v_add_f64_e32 v[22:23], v[22:23], v[38:39]
	s_wait_dscnt 0xc
	v_add_f64_e32 v[9:10], v[9:10], v[26:27]
	;; [unrolled: 2-line block ×8, first 2 shown]
	v_xor_b32_e32 v24, 2, v42
	s_delay_alu instid0(VALU_DEP_1) | instskip(SKIP_2) | instid1(VALU_DEP_1)
	v_cmp_gt_i32_e32 vcc_lo, 32, v24
	s_wait_alu 0xfffd
	v_cndmask_b32_e32 v24, v42, v24, vcc_lo
	v_lshlrev_b32_e32 v41, 2, v24
	ds_bpermute_b32 v38, v41, v22
	ds_bpermute_b32 v39, v41, v23
	;; [unrolled: 1-line block ×6, first 2 shown]
	s_wait_dscnt 0x2
	v_add_f64_e32 v[9:10], v[9:10], v[24:25]
	s_wait_dscnt 0x0
	v_add_f64_e32 v[24:25], v[15:16], v[32:33]
	v_add_f64_e32 v[15:16], v[22:23], v[38:39]
	v_xor_b32_e32 v22, 1, v42
	s_delay_alu instid0(VALU_DEP_1)
	v_cmp_gt_i32_e32 vcc_lo, 32, v22
	s_wait_alu 0xfffd
	v_cndmask_b32_e32 v22, v42, v22, vcc_lo
	ds_bpermute_b32 v28, v41, v11
	ds_bpermute_b32 v29, v41, v12
	;; [unrolled: 1-line block ×10, first 2 shown]
	v_cmp_eq_u32_e32 vcc_lo, 15, v0
	s_wait_dscnt 0x8
	v_add_f64_e32 v[28:29], v[11:12], v[28:29]
	s_wait_dscnt 0x6
	v_add_f64_e32 v[11:12], v[13:14], v[30:31]
	;; [unrolled: 2-line block ×3, first 2 shown]
	v_lshlrev_b32_e32 v35, 2, v22
	s_wait_dscnt 0x2
	v_add_f64_e32 v[19:20], v[19:20], v[36:37]
	s_wait_dscnt 0x0
	v_add_f64_e32 v[17:18], v[26:27], v[40:41]
	ds_bpermute_b32 v22, v35, v9
	ds_bpermute_b32 v23, v35, v10
	;; [unrolled: 1-line block ×16, first 2 shown]
	s_and_b32 exec_lo, exec_lo, vcc_lo
	s_cbranch_execz .LBB172_8
; %bb.36:
	s_wait_dscnt 0x8
	v_add_f64_e32 v[28:29], v[28:29], v[40:41]
	v_add_f64_e32 v[24:25], v[24:25], v[38:39]
	s_wait_dscnt 0x2
	v_add_f64_e32 v[19:20], v[19:20], v[36:37]
	s_wait_dscnt 0x0
	v_add_f64_e32 v[17:18], v[17:18], v[34:35]
	v_add_f64_e32 v[9:10], v[9:10], v[22:23]
	;; [unrolled: 1-line block ×5, first 2 shown]
	v_cmp_eq_f64_e32 vcc_lo, 0, v[1:2]
	v_cmp_eq_f64_e64 s2, 0, v[3:4]
	s_load_b64 s[0:1], s[0:1], 0x60
	v_lshlrev_b32_e32 v21, 2, v21
	v_mul_f64_e64 v[13:14], v[28:29], -v[7:8]
	v_mul_f64_e32 v[15:16], v[5:6], v[28:29]
	v_mul_f64_e64 v[28:29], v[24:25], -v[7:8]
	v_mul_f64_e32 v[24:25], v[5:6], v[24:25]
	;; [unrolled: 2-line block ×4, first 2 shown]
	s_and_b32 s2, vcc_lo, s2
	v_fma_f64 v[17:18], v[5:6], v[9:10], v[13:14]
	v_fma_f64 v[19:20], v[7:8], v[9:10], v[15:16]
	;; [unrolled: 1-line block ×8, first 2 shown]
	s_wait_alu 0xfffe
	s_and_saveexec_b32 s3, s2
	s_wait_alu 0xfffe
	s_xor_b32 s2, exec_lo, s3
	s_cbranch_execz .LBB172_38
; %bb.37:
	v_ashrrev_i32_e32 v22, 31, v21
	s_delay_alu instid0(VALU_DEP_1) | instskip(SKIP_1) | instid1(VALU_DEP_1)
	v_lshlrev_b64_e32 v[0:1], 4, v[21:22]
                                        ; implicit-def: $vgpr21
	s_wait_kmcnt 0x0
	v_add_co_u32 v0, vcc_lo, s0, v0
	s_wait_alu 0xfffd
	s_delay_alu instid0(VALU_DEP_2)
	v_add_co_ci_u32_e64 v1, null, s1, v1, vcc_lo
	s_clause 0x3
	global_store_b128 v[0:1], v[17:20], off
	global_store_b128 v[0:1], v[13:16], off offset:16
	global_store_b128 v[0:1], v[9:12], off offset:32
	;; [unrolled: 1-line block ×3, first 2 shown]
                                        ; implicit-def: $vgpr3_vgpr4
                                        ; implicit-def: $vgpr17_vgpr18
                                        ; implicit-def: $vgpr13_vgpr14
                                        ; implicit-def: $vgpr9_vgpr10
                                        ; implicit-def: $vgpr5_vgpr6
.LBB172_38:
	s_wait_alu 0xfffe
	s_and_not1_saveexec_b32 s2, s2
	s_cbranch_execz .LBB172_8
; %bb.39:
	v_ashrrev_i32_e32 v22, 31, v21
	s_delay_alu instid0(VALU_DEP_1) | instskip(SKIP_1) | instid1(VALU_DEP_1)
	v_lshlrev_b64_e32 v[21:22], 4, v[21:22]
	s_wait_kmcnt 0x0
	v_add_co_u32 v37, vcc_lo, s0, v21
	s_wait_alu 0xfffd
	s_delay_alu instid0(VALU_DEP_2)
	v_add_co_ci_u32_e64 v38, null, s1, v22, vcc_lo
	s_clause 0x3
	global_load_b128 v[21:24], v[37:38], off
	global_load_b128 v[25:28], v[37:38], off offset:16
	global_load_b128 v[29:32], v[37:38], off offset:32
	;; [unrolled: 1-line block ×3, first 2 shown]
	s_wait_loadcnt 0x3
	v_fma_f64 v[17:18], v[1:2], v[21:22], v[17:18]
	v_fma_f64 v[19:20], v[3:4], v[21:22], v[19:20]
	s_wait_loadcnt 0x2
	v_fma_f64 v[13:14], v[1:2], v[25:26], v[13:14]
	v_fma_f64 v[15:16], v[3:4], v[25:26], v[15:16]
	;; [unrolled: 3-line block ×4, first 2 shown]
	v_fma_f64 v[5:6], -v[3:4], v[23:24], v[17:18]
	v_fma_f64 v[7:8], v[1:2], v[23:24], v[19:20]
	v_fma_f64 v[9:10], -v[3:4], v[27:28], v[13:14]
	v_fma_f64 v[11:12], v[1:2], v[27:28], v[15:16]
	;; [unrolled: 2-line block ×4, first 2 shown]
	s_clause 0x3
	global_store_b128 v[37:38], v[5:8], off
	global_store_b128 v[37:38], v[9:12], off offset:16
	global_store_b128 v[37:38], v[13:16], off offset:32
	;; [unrolled: 1-line block ×3, first 2 shown]
	s_nop 0
	s_sendmsg sendmsg(MSG_DEALLOC_VGPRS)
	s_endpgm
	.section	.rodata,"a",@progbits
	.p2align	6, 0x0
	.amdhsa_kernel _ZN9rocsparseL18bsrxmvn_4x4_kernelILj128ELj16E21rocsparse_complex_numIdEliS1_IfES2_S2_EEvT3_20rocsparse_direction_NS_24const_host_device_scalarIT1_EES4_PKS4_PKT2_SD_SA_PKT4_PKT5_S8_PT6_21rocsparse_index_base_b
		.amdhsa_group_segment_fixed_size 0
		.amdhsa_private_segment_fixed_size 0
		.amdhsa_kernarg_size 112
		.amdhsa_user_sgpr_count 2
		.amdhsa_user_sgpr_dispatch_ptr 0
		.amdhsa_user_sgpr_queue_ptr 0
		.amdhsa_user_sgpr_kernarg_segment_ptr 1
		.amdhsa_user_sgpr_dispatch_id 0
		.amdhsa_user_sgpr_private_segment_size 0
		.amdhsa_wavefront_size32 1
		.amdhsa_uses_dynamic_stack 0
		.amdhsa_enable_private_segment 0
		.amdhsa_system_sgpr_workgroup_id_x 1
		.amdhsa_system_sgpr_workgroup_id_y 0
		.amdhsa_system_sgpr_workgroup_id_z 0
		.amdhsa_system_sgpr_workgroup_info 0
		.amdhsa_system_vgpr_workitem_id 0
		.amdhsa_next_free_vgpr 135
		.amdhsa_next_free_sgpr 14
		.amdhsa_reserve_vcc 1
		.amdhsa_float_round_mode_32 0
		.amdhsa_float_round_mode_16_64 0
		.amdhsa_float_denorm_mode_32 3
		.amdhsa_float_denorm_mode_16_64 3
		.amdhsa_fp16_overflow 0
		.amdhsa_workgroup_processor_mode 1
		.amdhsa_memory_ordered 1
		.amdhsa_forward_progress 1
		.amdhsa_inst_pref_size 99
		.amdhsa_round_robin_scheduling 0
		.amdhsa_exception_fp_ieee_invalid_op 0
		.amdhsa_exception_fp_denorm_src 0
		.amdhsa_exception_fp_ieee_div_zero 0
		.amdhsa_exception_fp_ieee_overflow 0
		.amdhsa_exception_fp_ieee_underflow 0
		.amdhsa_exception_fp_ieee_inexact 0
		.amdhsa_exception_int_div_zero 0
	.end_amdhsa_kernel
	.section	.text._ZN9rocsparseL18bsrxmvn_4x4_kernelILj128ELj16E21rocsparse_complex_numIdEliS1_IfES2_S2_EEvT3_20rocsparse_direction_NS_24const_host_device_scalarIT1_EES4_PKS4_PKT2_SD_SA_PKT4_PKT5_S8_PT6_21rocsparse_index_base_b,"axG",@progbits,_ZN9rocsparseL18bsrxmvn_4x4_kernelILj128ELj16E21rocsparse_complex_numIdEliS1_IfES2_S2_EEvT3_20rocsparse_direction_NS_24const_host_device_scalarIT1_EES4_PKS4_PKT2_SD_SA_PKT4_PKT5_S8_PT6_21rocsparse_index_base_b,comdat
.Lfunc_end172:
	.size	_ZN9rocsparseL18bsrxmvn_4x4_kernelILj128ELj16E21rocsparse_complex_numIdEliS1_IfES2_S2_EEvT3_20rocsparse_direction_NS_24const_host_device_scalarIT1_EES4_PKS4_PKT2_SD_SA_PKT4_PKT5_S8_PT6_21rocsparse_index_base_b, .Lfunc_end172-_ZN9rocsparseL18bsrxmvn_4x4_kernelILj128ELj16E21rocsparse_complex_numIdEliS1_IfES2_S2_EEvT3_20rocsparse_direction_NS_24const_host_device_scalarIT1_EES4_PKS4_PKT2_SD_SA_PKT4_PKT5_S8_PT6_21rocsparse_index_base_b
                                        ; -- End function
	.set _ZN9rocsparseL18bsrxmvn_4x4_kernelILj128ELj16E21rocsparse_complex_numIdEliS1_IfES2_S2_EEvT3_20rocsparse_direction_NS_24const_host_device_scalarIT1_EES4_PKS4_PKT2_SD_SA_PKT4_PKT5_S8_PT6_21rocsparse_index_base_b.num_vgpr, 135
	.set _ZN9rocsparseL18bsrxmvn_4x4_kernelILj128ELj16E21rocsparse_complex_numIdEliS1_IfES2_S2_EEvT3_20rocsparse_direction_NS_24const_host_device_scalarIT1_EES4_PKS4_PKT2_SD_SA_PKT4_PKT5_S8_PT6_21rocsparse_index_base_b.num_agpr, 0
	.set _ZN9rocsparseL18bsrxmvn_4x4_kernelILj128ELj16E21rocsparse_complex_numIdEliS1_IfES2_S2_EEvT3_20rocsparse_direction_NS_24const_host_device_scalarIT1_EES4_PKS4_PKT2_SD_SA_PKT4_PKT5_S8_PT6_21rocsparse_index_base_b.numbered_sgpr, 14
	.set _ZN9rocsparseL18bsrxmvn_4x4_kernelILj128ELj16E21rocsparse_complex_numIdEliS1_IfES2_S2_EEvT3_20rocsparse_direction_NS_24const_host_device_scalarIT1_EES4_PKS4_PKT2_SD_SA_PKT4_PKT5_S8_PT6_21rocsparse_index_base_b.num_named_barrier, 0
	.set _ZN9rocsparseL18bsrxmvn_4x4_kernelILj128ELj16E21rocsparse_complex_numIdEliS1_IfES2_S2_EEvT3_20rocsparse_direction_NS_24const_host_device_scalarIT1_EES4_PKS4_PKT2_SD_SA_PKT4_PKT5_S8_PT6_21rocsparse_index_base_b.private_seg_size, 0
	.set _ZN9rocsparseL18bsrxmvn_4x4_kernelILj128ELj16E21rocsparse_complex_numIdEliS1_IfES2_S2_EEvT3_20rocsparse_direction_NS_24const_host_device_scalarIT1_EES4_PKS4_PKT2_SD_SA_PKT4_PKT5_S8_PT6_21rocsparse_index_base_b.uses_vcc, 1
	.set _ZN9rocsparseL18bsrxmvn_4x4_kernelILj128ELj16E21rocsparse_complex_numIdEliS1_IfES2_S2_EEvT3_20rocsparse_direction_NS_24const_host_device_scalarIT1_EES4_PKS4_PKT2_SD_SA_PKT4_PKT5_S8_PT6_21rocsparse_index_base_b.uses_flat_scratch, 0
	.set _ZN9rocsparseL18bsrxmvn_4x4_kernelILj128ELj16E21rocsparse_complex_numIdEliS1_IfES2_S2_EEvT3_20rocsparse_direction_NS_24const_host_device_scalarIT1_EES4_PKS4_PKT2_SD_SA_PKT4_PKT5_S8_PT6_21rocsparse_index_base_b.has_dyn_sized_stack, 0
	.set _ZN9rocsparseL18bsrxmvn_4x4_kernelILj128ELj16E21rocsparse_complex_numIdEliS1_IfES2_S2_EEvT3_20rocsparse_direction_NS_24const_host_device_scalarIT1_EES4_PKS4_PKT2_SD_SA_PKT4_PKT5_S8_PT6_21rocsparse_index_base_b.has_recursion, 0
	.set _ZN9rocsparseL18bsrxmvn_4x4_kernelILj128ELj16E21rocsparse_complex_numIdEliS1_IfES2_S2_EEvT3_20rocsparse_direction_NS_24const_host_device_scalarIT1_EES4_PKS4_PKT2_SD_SA_PKT4_PKT5_S8_PT6_21rocsparse_index_base_b.has_indirect_call, 0
	.section	.AMDGPU.csdata,"",@progbits
; Kernel info:
; codeLenInByte = 12600
; TotalNumSgprs: 16
; NumVgprs: 135
; ScratchSize: 0
; MemoryBound: 0
; FloatMode: 240
; IeeeMode: 1
; LDSByteSize: 0 bytes/workgroup (compile time only)
; SGPRBlocks: 0
; VGPRBlocks: 16
; NumSGPRsForWavesPerEU: 16
; NumVGPRsForWavesPerEU: 135
; Occupancy: 10
; WaveLimiterHint : 1
; COMPUTE_PGM_RSRC2:SCRATCH_EN: 0
; COMPUTE_PGM_RSRC2:USER_SGPR: 2
; COMPUTE_PGM_RSRC2:TRAP_HANDLER: 0
; COMPUTE_PGM_RSRC2:TGID_X_EN: 1
; COMPUTE_PGM_RSRC2:TGID_Y_EN: 0
; COMPUTE_PGM_RSRC2:TGID_Z_EN: 0
; COMPUTE_PGM_RSRC2:TIDIG_COMP_CNT: 0
	.section	.text._ZN9rocsparseL18bsrxmvn_4x4_kernelILj128ELj32E21rocsparse_complex_numIdEliS1_IfES2_S2_EEvT3_20rocsparse_direction_NS_24const_host_device_scalarIT1_EES4_PKS4_PKT2_SD_SA_PKT4_PKT5_S8_PT6_21rocsparse_index_base_b,"axG",@progbits,_ZN9rocsparseL18bsrxmvn_4x4_kernelILj128ELj32E21rocsparse_complex_numIdEliS1_IfES2_S2_EEvT3_20rocsparse_direction_NS_24const_host_device_scalarIT1_EES4_PKS4_PKT2_SD_SA_PKT4_PKT5_S8_PT6_21rocsparse_index_base_b,comdat
	.globl	_ZN9rocsparseL18bsrxmvn_4x4_kernelILj128ELj32E21rocsparse_complex_numIdEliS1_IfES2_S2_EEvT3_20rocsparse_direction_NS_24const_host_device_scalarIT1_EES4_PKS4_PKT2_SD_SA_PKT4_PKT5_S8_PT6_21rocsparse_index_base_b ; -- Begin function _ZN9rocsparseL18bsrxmvn_4x4_kernelILj128ELj32E21rocsparse_complex_numIdEliS1_IfES2_S2_EEvT3_20rocsparse_direction_NS_24const_host_device_scalarIT1_EES4_PKS4_PKT2_SD_SA_PKT4_PKT5_S8_PT6_21rocsparse_index_base_b
	.p2align	8
	.type	_ZN9rocsparseL18bsrxmvn_4x4_kernelILj128ELj32E21rocsparse_complex_numIdEliS1_IfES2_S2_EEvT3_20rocsparse_direction_NS_24const_host_device_scalarIT1_EES4_PKS4_PKT2_SD_SA_PKT4_PKT5_S8_PT6_21rocsparse_index_base_b,@function
_ZN9rocsparseL18bsrxmvn_4x4_kernelILj128ELj32E21rocsparse_complex_numIdEliS1_IfES2_S2_EEvT3_20rocsparse_direction_NS_24const_host_device_scalarIT1_EES4_PKS4_PKT2_SD_SA_PKT4_PKT5_S8_PT6_21rocsparse_index_base_b: ; @_ZN9rocsparseL18bsrxmvn_4x4_kernelILj128ELj32E21rocsparse_complex_numIdEliS1_IfES2_S2_EEvT3_20rocsparse_direction_NS_24const_host_device_scalarIT1_EES4_PKS4_PKT2_SD_SA_PKT4_PKT5_S8_PT6_21rocsparse_index_base_b
; %bb.0:
	s_clause 0x1
	s_load_b64 s[12:13], s[0:1], 0x68
	s_load_b64 s[2:3], s[0:1], 0x8
	s_add_nc_u64 s[4:5], s[0:1], 8
	s_load_b64 s[6:7], s[0:1], 0x50
	s_wait_kmcnt 0x0
	s_bitcmp1_b32 s13, 0
	s_cselect_b32 s2, s4, s2
	s_cselect_b32 s3, s5, s3
	s_delay_alu instid0(SALU_CYCLE_1)
	v_dual_mov_b32 v1, s2 :: v_dual_mov_b32 v2, s3
	s_add_nc_u64 s[2:3], s[0:1], 0x50
	s_wait_alu 0xfffe
	s_cselect_b32 s2, s2, s6
	s_cselect_b32 s3, s3, s7
	flat_load_b128 v[5:8], v[1:2]
	s_wait_alu 0xfffe
	v_dual_mov_b32 v1, s2 :: v_dual_mov_b32 v2, s3
	flat_load_b128 v[1:4], v[1:2]
	s_wait_loadcnt_dscnt 0x101
	v_cmp_eq_f64_e32 vcc_lo, 0, v[5:6]
	v_cmp_eq_f64_e64 s2, 0, v[7:8]
	s_and_b32 s4, vcc_lo, s2
	s_mov_b32 s2, -1
	s_and_saveexec_b32 s3, s4
	s_cbranch_execz .LBB173_2
; %bb.1:
	s_wait_loadcnt_dscnt 0x0
	v_cmp_neq_f64_e32 vcc_lo, 1.0, v[1:2]
	v_cmp_neq_f64_e64 s2, 0, v[3:4]
	s_wait_alu 0xfffe
	s_or_b32 s2, vcc_lo, s2
	s_wait_alu 0xfffe
	s_or_not1_b32 s2, s2, exec_lo
.LBB173_2:
	s_wait_alu 0xfffe
	s_or_b32 exec_lo, exec_lo, s3
	s_and_saveexec_b32 s3, s2
	s_cbranch_execz .LBB173_8
; %bb.3:
	s_clause 0x1
	s_load_b64 s[4:5], s[0:1], 0x20
	s_load_b64 s[2:3], s[0:1], 0x0
	v_lshrrev_b32_e32 v9, 5, v0
	s_delay_alu instid0(VALU_DEP_1)
	v_lshl_or_b32 v21, ttmp9, 2, v9
	s_wait_kmcnt 0x0
	s_cmp_lg_u64 s[4:5], 0
	s_cbranch_scc0 .LBB173_9
; %bb.4:
	s_load_b32 s6, s[0:1], 0x18
	s_mov_b32 s7, 0
                                        ; implicit-def: $vgpr9
	s_wait_kmcnt 0x0
	v_cmp_gt_i32_e32 vcc_lo, s6, v21
	s_mov_b32 s6, 0
	s_and_saveexec_b32 s8, vcc_lo
	s_delay_alu instid0(SALU_CYCLE_1)
	s_xor_b32 s8, exec_lo, s8
	s_cbranch_execz .LBB173_6
; %bb.5:
	v_ashrrev_i32_e32 v22, 31, v21
	s_mov_b32 s6, exec_lo
	s_delay_alu instid0(VALU_DEP_1) | instskip(NEXT) | instid1(VALU_DEP_1)
	v_lshlrev_b64_e32 v[9:10], 2, v[21:22]
	v_add_co_u32 v9, vcc_lo, s4, v9
	s_delay_alu instid0(VALU_DEP_1)
	v_add_co_ci_u32_e64 v10, null, s5, v10, vcc_lo
	global_load_b32 v9, v[9:10], off
	s_wait_loadcnt 0x0
	v_subrev_nc_u32_e32 v9, s12, v9
.LBB173_6:
	s_or_b32 exec_lo, exec_lo, s8
	s_delay_alu instid0(SALU_CYCLE_1)
	s_and_b32 vcc_lo, exec_lo, s7
	s_wait_alu 0xfffe
	s_cbranch_vccz .LBB173_10
.LBB173_7:
	v_cmp_gt_i32_e32 vcc_lo, s2, v21
	s_and_not1_b32 s2, s6, exec_lo
	s_and_b32 s4, vcc_lo, exec_lo
	s_wait_alu 0xfffe
	s_or_b32 s6, s2, s4
	s_wait_alu 0xfffe
	s_and_b32 exec_lo, exec_lo, s6
	s_cbranch_execnz .LBB173_11
.LBB173_8:
	s_nop 0
	s_sendmsg sendmsg(MSG_DEALLOC_VGPRS)
	s_endpgm
.LBB173_9:
	s_mov_b32 s6, 0
                                        ; implicit-def: $vgpr9
	s_cbranch_execnz .LBB173_7
.LBB173_10:
	v_mov_b32_e32 v21, v9
	s_and_b32 exec_lo, exec_lo, s6
	s_cbranch_execz .LBB173_8
.LBB173_11:
	s_load_b256 s[4:11], s[0:1], 0x28
	s_delay_alu instid0(VALU_DEP_1) | instskip(SKIP_1) | instid1(VALU_DEP_2)
	v_ashrrev_i32_e32 v22, 31, v21
	v_and_b32_e32 v0, 31, v0
	v_lshlrev_b64_e32 v[9:10], 3, v[21:22]
	s_wait_kmcnt 0x0
	s_delay_alu instid0(VALU_DEP_1) | instskip(SKIP_1) | instid1(VALU_DEP_2)
	v_add_co_u32 v11, vcc_lo, s4, v9
	s_wait_alu 0xfffd
	v_add_co_ci_u32_e64 v12, null, s5, v10, vcc_lo
	v_add_co_u32 v9, vcc_lo, s6, v9
	s_wait_alu 0xfffd
	v_add_co_ci_u32_e64 v10, null, s7, v10, vcc_lo
	;; [unrolled: 3-line block ×3, first 2 shown]
	global_load_b64 v[40:41], v[11:12], off
	s_cmp_eq_u64 s[6:7], 0
	s_load_b64 s[4:5], s[0:1], 0x48
	s_cselect_b32 vcc_lo, -1, 0
	s_cmp_eq_u32 s3, 1
	s_wait_alu 0xfffe
	v_dual_cndmask_b32 v10, v10, v14 :: v_dual_cndmask_b32 v9, v9, v13
	global_load_b64 v[9:10], v[9:10], off
	s_wait_loadcnt 0x1
	v_sub_co_u32 v11, vcc_lo, v40, s12
	s_wait_alu 0xfffd
	v_subrev_co_ci_u32_e64 v12, null, 0, v41, vcc_lo
	s_delay_alu instid0(VALU_DEP_2) | instskip(SKIP_1) | instid1(VALU_DEP_2)
	v_add_co_u32 v17, vcc_lo, v11, v0
	s_wait_alu 0xfffd
	v_add_co_ci_u32_e64 v18, null, 0, v12, vcc_lo
	s_wait_loadcnt 0x0
	v_sub_co_u32 v19, vcc_lo, v9, s12
	s_wait_alu 0xfffd
	v_subrev_co_ci_u32_e64 v20, null, 0, v10, vcc_lo
	v_lshlrev_b64_e32 v[9:10], 7, v[17:18]
	s_delay_alu instid0(VALU_DEP_2) | instskip(NEXT) | instid1(VALU_DEP_2)
	v_cmp_lt_i64_e64 s2, v[17:18], v[19:20]
	v_add_co_u32 v22, vcc_lo, s10, v9
	s_wait_alu 0xfffd
	s_delay_alu instid0(VALU_DEP_3)
	v_add_co_ci_u32_e64 v23, null, s11, v10, vcc_lo
	s_cbranch_scc1 .LBB173_23
; %bb.12:
	v_mov_b32_e32 v24, 0
	v_mov_b32_e32 v28, 0
	;; [unrolled: 1-line block ×3, first 2 shown]
	v_dual_mov_b32 v32, 0 :: v_dual_mov_b32 v25, 0
	v_dual_mov_b32 v30, 0 :: v_dual_mov_b32 v29, 0
	;; [unrolled: 1-line block ×5, first 2 shown]
	v_mov_b32_e32 v39, 0
	v_mov_b32_e32 v37, 0
	;; [unrolled: 1-line block ×3, first 2 shown]
	s_and_saveexec_b32 s6, s2
	s_cbranch_execz .LBB173_22
; %bb.13:
	v_or_b32_e32 v9, 32, v0
	v_not_b32_e32 v13, v40
	v_not_b32_e32 v11, v41
	v_mov_b32_e32 v38, 0
	v_mov_b32_e32 v30, 0
	v_sub_co_u32 v9, s3, v9, s12
	s_wait_alu 0xf1ff
	v_sub_co_ci_u32_e64 v10, null, 0, 0, s3
	v_sub_co_u32 v14, s3, s12, v0
	s_delay_alu instid0(VALU_DEP_3) | instskip(SKIP_1) | instid1(VALU_DEP_3)
	v_add_co_u32 v9, vcc_lo, v9, v40
	s_wait_alu 0xfffd
	v_add_co_ci_u32_e64 v10, null, v10, v41, vcc_lo
	s_wait_alu 0xf1ff
	v_sub_co_ci_u32_e64 v15, null, 0, 0, s3
	v_add_co_u32 v13, s3, v14, v13
	s_delay_alu instid0(VALU_DEP_3)
	v_cmp_gt_i64_e32 vcc_lo, v[9:10], v[19:20]
	v_mov_b32_e32 v26, 0
	s_wait_alu 0xf1ff
	v_add_co_ci_u32_e64 v11, null, v15, v11, s3
	v_mov_b32_e32 v32, 0
	s_wait_alu 0xfffd
	v_dual_mov_b32 v36, 0 :: v_dual_cndmask_b32 v9, v19, v9
	v_dual_cndmask_b32 v10, v20, v10 :: v_dual_mov_b32 v33, 0
	v_dual_mov_b32 v39, 0 :: v_dual_mov_b32 v28, 0
	s_delay_alu instid0(VALU_DEP_3)
	v_add_co_u32 v9, vcc_lo, v13, v9
	v_dual_mov_b32 v34, 0 :: v_dual_mov_b32 v31, 0
	v_mov_b32_e32 v24, 0
	v_dual_mov_b32 v12, 0 :: v_dual_mov_b32 v27, 0
	v_mov_b32_e32 v37, 0
	v_mov_b32_e32 v35, 0
	s_wait_alu 0xfffd
	v_add_co_ci_u32_e64 v10, null, v11, v10, vcc_lo
	v_and_b32_e32 v11, 0x60, v9
	v_mov_b32_e32 v29, 0
	v_mov_b32_e32 v25, 0
	v_dual_mov_b32 v45, v23 :: v_dual_mov_b32 v44, v22
	v_dual_mov_b32 v43, v18 :: v_dual_mov_b32 v42, v17
	s_mov_b32 s7, exec_lo
	v_cmpx_ne_u64_e32 0x60, v[11:12]
	s_cbranch_execz .LBB173_17
; %bb.14:
	v_lshrrev_b32_e32 v13, 5, v9
	v_lshlrev_b64_e32 v[11:12], 2, v[17:18]
	v_dual_mov_b32 v43, v18 :: v_dual_mov_b32 v30, 0
	v_dual_mov_b32 v31, 0 :: v_dual_mov_b32 v28, 0
	s_delay_alu instid0(VALU_DEP_4) | instskip(SKIP_2) | instid1(VALU_DEP_3)
	v_dual_mov_b32 v24, 0 :: v_dual_add_nc_u32 v13, 1, v13
	v_dual_mov_b32 v29, 0 :: v_dual_mov_b32 v38, 0
	v_add_co_u32 v11, vcc_lo, s8, v11
	v_dual_mov_b32 v34, 0 :: v_dual_and_b32 v13, 3, v13
	v_dual_mov_b32 v39, 0 :: v_dual_mov_b32 v36, 0
	v_dual_mov_b32 v35, 0 :: v_dual_mov_b32 v32, 0
	s_delay_alu instid0(VALU_DEP_3)
	v_sub_co_u32 v13, s3, 0, v13
	v_dual_mov_b32 v37, 0 :: v_dual_mov_b32 v26, 0
	v_mov_b32_e32 v45, v23
	v_dual_mov_b32 v25, 0 :: v_dual_mov_b32 v42, v17
	s_wait_alu 0xfffd
	v_add_co_ci_u32_e64 v12, null, s9, v12, vcc_lo
	s_wait_alu 0xf1ff
	v_sub_co_ci_u32_e64 v14, null, 0, 0, s3
	v_dual_mov_b32 v33, 0 :: v_dual_mov_b32 v44, v22
	v_mov_b32_e32 v27, 0
	s_mov_b32 s10, 0
.LBB173_15:                             ; =>This Inner Loop Header: Depth=1
	global_load_b32 v15, v[11:12], off
	s_clause 0x7
	global_load_b128 v[46:49], v[44:45], off
	global_load_b128 v[50:53], v[44:45], off offset:32
	global_load_b128 v[54:57], v[44:45], off offset:64
	;; [unrolled: 1-line block ×7, first 2 shown]
	v_add_co_u32 v11, s3, 0x80, v11
	s_wait_alu 0xf1ff
	v_add_co_ci_u32_e64 v12, null, 0, v12, s3
	s_wait_loadcnt 0x8
	v_subrev_nc_u32_e32 v15, s12, v15
	s_wait_loadcnt 0x6
	v_cvt_f64_f32_e32 v[94:95], v50
	v_cvt_f64_f32_e32 v[50:51], v51
	s_wait_loadcnt 0x5
	v_cvt_f64_f32_e32 v[96:97], v54
	v_lshlrev_b32_e32 v15, 2, v15
	v_cvt_f64_f32_e32 v[54:55], v55
	s_wait_loadcnt 0x3
	v_cvt_f64_f32_e32 v[98:99], v62
	v_cvt_f64_f32_e32 v[62:63], v63
	;; [unrolled: 1-line block ×3, first 2 shown]
	v_ashrrev_i32_e32 v16, 31, v15
	v_cvt_f64_f32_e32 v[52:53], v53
	v_cvt_f64_f32_e32 v[102:103], v56
	;; [unrolled: 1-line block ×4, first 2 shown]
	v_lshlrev_b64_e32 v[15:16], 4, v[15:16]
	v_cvt_f64_f32_e32 v[64:65], v65
	s_wait_kmcnt 0x0
	s_delay_alu instid0(VALU_DEP_2) | instskip(SKIP_1) | instid1(VALU_DEP_3)
	v_add_co_u32 v15, vcc_lo, s4, v15
	s_wait_alu 0xfffd
	v_add_co_ci_u32_e64 v16, null, s5, v16, vcc_lo
	v_add_co_u32 v44, vcc_lo, 0x1000, v44
	s_wait_alu 0xfffd
	v_add_co_ci_u32_e64 v45, null, 0, v45, vcc_lo
	s_clause 0x3
	global_load_b128 v[78:81], v[15:16], off
	global_load_b128 v[82:85], v[15:16], off offset:16
	global_load_b128 v[86:89], v[15:16], off offset:32
	;; [unrolled: 1-line block ×3, first 2 shown]
	v_cvt_f64_f32_e32 v[15:16], v46
	v_cvt_f64_f32_e32 v[46:47], v47
	v_add_co_u32 v13, vcc_lo, v13, 1
	s_wait_alu 0xfffd
	v_add_co_ci_u32_e64 v14, null, 0, v14, vcc_lo
	v_add_co_u32 v42, vcc_lo, v42, 32
	s_wait_alu 0xfffd
	v_add_co_ci_u32_e64 v43, null, 0, v43, vcc_lo
	s_delay_alu instid0(VALU_DEP_3)
	v_cmp_eq_u64_e32 vcc_lo, 0, v[13:14]
	s_wait_alu 0xfffe
	s_or_b32 s10, vcc_lo, s10
	s_wait_loadcnt 0x3
	v_fma_f64 v[30:31], v[15:16], v[78:79], v[30:31]
	v_fma_f64 v[24:25], v[46:47], v[78:79], v[24:25]
	v_fma_f64 v[38:39], v[94:95], v[78:79], v[38:39]
	v_fma_f64 v[28:29], v[50:51], v[78:79], v[28:29]
	v_fma_f64 v[36:37], v[96:97], v[78:79], v[36:37]
	v_fma_f64 v[34:35], v[54:55], v[78:79], v[34:35]
	v_fma_f64 v[26:27], v[98:99], v[78:79], v[26:27]
	v_fma_f64 v[32:33], v[62:63], v[78:79], v[32:33]
	v_cvt_f64_f32_e32 v[78:79], v48
	v_cvt_f64_f32_e32 v[48:49], v49
	v_fma_f64 v[30:31], -v[46:47], v[80:81], v[30:31]
	v_fma_f64 v[15:16], v[15:16], v[80:81], v[24:25]
	v_fma_f64 v[24:25], -v[50:51], v[80:81], v[38:39]
	v_fma_f64 v[28:29], v[94:95], v[80:81], v[28:29]
	;; [unrolled: 2-line block ×4, first 2 shown]
	v_cvt_f64_f32_e32 v[38:39], v66
	v_cvt_f64_f32_e32 v[46:47], v67
	;; [unrolled: 1-line block ×10, first 2 shown]
	s_wait_loadcnt 0x2
	v_fma_f64 v[30:31], v[78:79], v[82:83], v[30:31]
	v_fma_f64 v[15:16], v[48:49], v[82:83], v[15:16]
	;; [unrolled: 1-line block ×8, first 2 shown]
	v_fma_f64 v[30:31], -v[48:49], v[84:85], v[30:31]
	v_fma_f64 v[15:16], v[78:79], v[84:85], v[15:16]
	v_fma_f64 v[24:25], -v[52:53], v[84:85], v[24:25]
	v_fma_f64 v[28:29], v[100:101], v[84:85], v[28:29]
	;; [unrolled: 2-line block ×4, first 2 shown]
	v_cvt_f64_f32_e32 v[48:49], v68
	v_cvt_f64_f32_e32 v[52:53], v69
	;; [unrolled: 1-line block ×6, first 2 shown]
	s_wait_loadcnt 0x1
	v_fma_f64 v[30:31], v[38:39], v[86:87], v[30:31]
	v_fma_f64 v[15:16], v[46:47], v[86:87], v[15:16]
	;; [unrolled: 1-line block ×8, first 2 shown]
	v_fma_f64 v[30:31], -v[46:47], v[88:89], v[30:31]
	v_fma_f64 v[15:16], v[38:39], v[88:89], v[15:16]
	v_fma_f64 v[24:25], -v[54:55], v[88:89], v[24:25]
	v_fma_f64 v[28:29], v[50:51], v[88:89], v[28:29]
	;; [unrolled: 2-line block ×4, first 2 shown]
	s_wait_loadcnt 0x0
	v_fma_f64 v[30:31], v[48:49], v[90:91], v[30:31]
	v_fma_f64 v[15:16], v[52:53], v[90:91], v[15:16]
	v_fma_f64 v[38:39], v[56:57], v[90:91], v[24:25]
	v_fma_f64 v[28:29], v[60:61], v[90:91], v[28:29]
	v_fma_f64 v[36:37], v[64:65], v[90:91], v[36:37]
	v_fma_f64 v[34:35], v[68:69], v[90:91], v[34:35]
	v_fma_f64 v[26:27], v[74:75], v[90:91], v[26:27]
	v_fma_f64 v[32:33], v[72:73], v[90:91], v[32:33]
	v_fma_f64 v[30:31], -v[52:53], v[92:93], v[30:31]
	v_fma_f64 v[24:25], v[48:49], v[92:93], v[15:16]
	v_fma_f64 v[38:39], -v[60:61], v[92:93], v[38:39]
	v_fma_f64 v[28:29], v[56:57], v[92:93], v[28:29]
	;; [unrolled: 2-line block ×4, first 2 shown]
	s_wait_alu 0xfffe
	s_and_not1_b32 exec_lo, exec_lo, s10
	s_cbranch_execnz .LBB173_15
; %bb.16:
	s_or_b32 exec_lo, exec_lo, s10
.LBB173_17:
	s_wait_alu 0xfffe
	s_or_b32 exec_lo, exec_lo, s7
	s_delay_alu instid0(SALU_CYCLE_1)
	s_mov_b32 s7, exec_lo
	v_cmpx_lt_u64_e32 0x5f, v[9:10]
	s_cbranch_execz .LBB173_21
; %bb.18:
	v_lshlrev_b64_e32 v[9:10], 2, v[42:43]
	s_mov_b32 s10, 0
	s_delay_alu instid0(VALU_DEP_1) | instskip(SKIP_1) | instid1(VALU_DEP_2)
	v_add_co_u32 v9, vcc_lo, s8, v9
	s_wait_alu 0xfffd
	v_add_co_ci_u32_e64 v10, null, s9, v10, vcc_lo
	s_delay_alu instid0(VALU_DEP_2) | instskip(SKIP_1) | instid1(VALU_DEP_2)
	v_add_co_u32 v46, vcc_lo, 0x100, v9
	s_wait_alu 0xfffd
	v_add_co_ci_u32_e64 v47, null, 0, v10, vcc_lo
.LBB173_19:                             ; =>This Inner Loop Header: Depth=1
	global_load_b32 v48, v[46:47], off offset:-256
	s_clause 0x1
	global_load_b128 v[13:16], v[44:45], off
	global_load_b128 v[9:12], v[44:45], off offset:32
	global_load_b32 v105, v[46:47], off offset:-128
	s_clause 0x1
	global_load_b128 v[49:52], v[44:45], off offset:64
	global_load_b128 v[53:56], v[44:45], off offset:96
	s_clause 0x1
	global_load_b32 v133, v[46:47], off
	global_load_b32 v134, v[46:47], off offset:128
	v_add_co_u32 v46, s3, 0x200, v46
	s_wait_alu 0xf1ff
	v_add_co_ci_u32_e64 v47, null, 0, v47, s3
	s_wait_loadcnt 0x7
	v_subrev_nc_u32_e32 v48, s12, v48
	s_wait_loadcnt 0x6
	v_cvt_f64_f32_e32 v[109:110], v13
	v_cvt_f64_f32_e32 v[13:14], v14
	s_wait_loadcnt 0x4
	v_subrev_nc_u32_e32 v105, s12, v105
	v_cvt_f64_f32_e32 v[111:112], v9
	v_lshlrev_b32_e32 v57, 2, v48
	v_cvt_f64_f32_e32 v[9:10], v10
	s_wait_loadcnt 0x3
	v_cvt_f64_f32_e32 v[48:49], v49
	v_lshlrev_b32_e32 v105, 2, v105
	v_cvt_f64_f32_e32 v[113:114], v50
	v_ashrrev_i32_e32 v58, 31, v57
	s_wait_loadcnt 0x2
	v_cvt_f64_f32_e32 v[115:116], v53
	v_cvt_f64_f32_e32 v[53:54], v54
	v_ashrrev_i32_e32 v106, 31, v105
	v_cvt_f64_f32_e32 v[119:120], v16
	v_lshlrev_b64_e32 v[57:58], 4, v[57:58]
	v_cvt_f64_f32_e32 v[121:122], v11
	v_cvt_f64_f32_e32 v[123:124], v12
	v_lshlrev_b64_e32 v[105:106], 4, v[105:106]
	v_cvt_f64_f32_e32 v[50:51], v51
	v_cvt_f64_f32_e32 v[125:126], v52
	s_wait_kmcnt 0x0
	v_add_co_u32 v85, vcc_lo, s4, v57
	s_wait_alu 0xfffd
	v_add_co_ci_u32_e64 v86, null, s5, v58, vcc_lo
	v_add_co_u32 v117, vcc_lo, s4, v105
	s_wait_alu 0xfffd
	v_add_co_ci_u32_e64 v118, null, s5, v106, vcc_lo
	s_clause 0x1
	global_load_b128 v[57:60], v[85:86], off
	global_load_b128 v[61:64], v[85:86], off offset:16
	s_clause 0x3
	global_load_b128 v[65:68], v[44:45], off offset:16
	global_load_b128 v[69:72], v[44:45], off offset:48
	;; [unrolled: 1-line block ×4, first 2 shown]
	s_clause 0x1
	global_load_b128 v[81:84], v[85:86], off offset:32
	global_load_b128 v[85:88], v[85:86], off offset:48
	s_clause 0x3
	global_load_b128 v[89:92], v[44:45], off offset:4096
	global_load_b128 v[93:96], v[44:45], off offset:4128
	;; [unrolled: 1-line block ×4, first 2 shown]
	v_cvt_f64_f32_e32 v[127:128], v55
	v_cvt_f64_f32_e32 v[55:56], v56
	global_load_b128 v[105:108], v[117:118], off
	s_wait_loadcnt 0xc
	v_fma_f64 v[30:31], v[109:110], v[57:58], v[30:31]
	v_fma_f64 v[24:25], v[13:14], v[57:58], v[24:25]
	v_fma_f64 v[38:39], v[111:112], v[57:58], v[38:39]
	v_fma_f64 v[28:29], v[9:10], v[57:58], v[28:29]
	v_fma_f64 v[36:37], v[48:49], v[57:58], v[36:37]
	v_fma_f64 v[34:35], v[113:114], v[57:58], v[34:35]
	v_fma_f64 v[26:27], v[115:116], v[57:58], v[26:27]
	v_fma_f64 v[32:33], v[53:54], v[57:58], v[32:33]
	v_cvt_f64_f32_e32 v[57:58], v15
	s_wait_loadcnt 0x8
	v_cvt_f64_f32_e32 v[129:130], v73
	v_cvt_f64_f32_e32 v[73:74], v74
	s_wait_loadcnt 0x7
	v_cvt_f64_f32_e32 v[131:132], v77
	v_cvt_f64_f32_e32 v[77:78], v78
	v_fma_f64 v[13:14], -v[13:14], v[59:60], v[30:31]
	v_fma_f64 v[15:16], v[109:110], v[59:60], v[24:25]
	v_fma_f64 v[24:25], -v[9:10], v[59:60], v[38:39]
	v_fma_f64 v[28:29], v[111:112], v[59:60], v[28:29]
	;; [unrolled: 2-line block ×4, first 2 shown]
	global_load_b128 v[9:12], v[117:118], off offset:16
	v_cvt_f64_f32_e32 v[113:114], v65
	v_cvt_f64_f32_e32 v[65:66], v66
	;; [unrolled: 1-line block ×4, first 2 shown]
	v_fma_f64 v[36:37], v[57:58], v[61:62], v[13:14]
	v_fma_f64 v[38:39], v[119:120], v[61:62], v[15:16]
	;; [unrolled: 1-line block ×8, first 2 shown]
	s_clause 0x3
	global_load_b128 v[13:16], v[44:45], off offset:4112
	global_load_b128 v[24:27], v[44:45], off offset:4144
	;; [unrolled: 1-line block ×4, first 2 shown]
	v_fma_f64 v[119:120], -v[119:120], v[63:64], v[36:37]
	v_fma_f64 v[57:58], v[57:58], v[63:64], v[38:39]
	v_fma_f64 v[48:49], -v[123:124], v[63:64], v[48:49]
	v_fma_f64 v[52:53], v[121:122], v[63:64], v[52:53]
	;; [unrolled: 2-line block ×4, first 2 shown]
	global_load_b128 v[36:39], v[117:118], off offset:32
	v_cvt_f64_f32_e32 v[109:110], v68
	v_cvt_f64_f32_e32 v[111:112], v71
	;; [unrolled: 1-line block ×5, first 2 shown]
	s_wait_loadcnt 0xa
	v_cvt_f64_f32_e32 v[123:124], v89
	v_cvt_f64_f32_e32 v[89:90], v90
	s_wait_loadcnt 0x9
	v_cvt_f64_f32_e32 v[125:126], v93
	v_cvt_f64_f32_e32 v[93:94], v94
	;; [unrolled: 3-line block ×3, first 2 shown]
	v_fma_f64 v[63:64], v[113:114], v[81:82], v[119:120]
	v_fma_f64 v[56:57], v[65:66], v[81:82], v[57:58]
	;; [unrolled: 1-line block ×8, first 2 shown]
	v_cvt_f64_f32_e32 v[81:82], v67
	v_cvt_f64_f32_e32 v[119:120], v75
	;; [unrolled: 1-line block ×3, first 2 shown]
	v_fma_f64 v[62:63], -v[65:66], v[83:84], v[63:64]
	v_fma_f64 v[56:57], v[113:114], v[83:84], v[56:57]
	v_fma_f64 v[64:65], -v[69:70], v[83:84], v[48:49]
	v_fma_f64 v[52:53], v[115:116], v[83:84], v[52:53]
	;; [unrolled: 2-line block ×4, first 2 shown]
	global_load_b128 v[48:51], v[117:118], off offset:48
	v_subrev_nc_u32_e32 v70, s12, v133
	s_wait_loadcnt 0x8
	v_cvt_f64_f32_e32 v[129:130], v101
	v_cvt_f64_f32_e32 v[101:102], v102
	s_delay_alu instid0(VALU_DEP_3)
	v_lshlrev_b32_e32 v70, 2, v70
	v_fma_f64 v[68:69], v[81:82], v[85:86], v[62:63]
	v_fma_f64 v[73:74], v[109:110], v[85:86], v[56:57]
	;; [unrolled: 1-line block ×8, first 2 shown]
	s_clause 0x3
	global_load_b128 v[52:55], v[44:45], off offset:8192
	global_load_b128 v[56:59], v[44:45], off offset:8224
	;; [unrolled: 1-line block ×4, first 2 shown]
	v_fma_f64 v[109:110], -v[109:110], v[87:88], v[68:69]
	v_fma_f64 v[73:74], v[81:82], v[87:88], v[73:74]
	v_fma_f64 v[77:78], -v[71:72], v[87:88], v[77:78]
	v_fma_f64 v[81:82], v[111:112], v[87:88], v[83:84]
	;; [unrolled: 2-line block ×4, first 2 shown]
	v_ashrrev_i32_e32 v71, 31, v70
	v_cvt_f64_f32_e32 v[113:114], v95
	v_cvt_f64_f32_e32 v[95:96], v96
	;; [unrolled: 1-line block ×4, first 2 shown]
	v_lshlrev_b64_e32 v[68:69], 4, v[70:71]
	v_cvt_f64_f32_e32 v[117:118], v103
	v_cvt_f64_f32_e32 v[103:104], v104
	s_delay_alu instid0(VALU_DEP_3) | instskip(SKIP_1) | instid1(VALU_DEP_4)
	v_add_co_u32 v111, vcc_lo, s4, v68
	s_wait_alu 0xfffd
	v_add_co_ci_u32_e64 v112, null, s5, v69, vcc_lo
	global_load_b128 v[68:71], v[111:112], off
	s_wait_loadcnt 0xc
	v_fma_f64 v[87:88], v[123:124], v[105:106], v[109:110]
	v_fma_f64 v[72:73], v[89:90], v[105:106], v[73:74]
	;; [unrolled: 1-line block ×8, first 2 shown]
	v_cvt_f64_f32_e32 v[105:106], v91
	v_cvt_f64_f32_e32 v[109:110], v92
	v_fma_f64 v[87:88], -v[89:90], v[107:108], v[87:88]
	v_fma_f64 v[89:90], v[123:124], v[107:108], v[72:73]
	v_fma_f64 v[76:77], -v[93:94], v[107:108], v[77:78]
	v_fma_f64 v[81:82], v[125:126], v[107:108], v[81:82]
	;; [unrolled: 2-line block ×4, first 2 shown]
	global_load_b128 v[72:75], v[111:112], off offset:16
	s_wait_loadcnt 0xc
	v_fma_f64 v[93:94], v[105:106], v[9:10], v[87:88]
	v_fma_f64 v[97:98], v[109:110], v[9:10], v[89:90]
	;; [unrolled: 1-line block ×8, first 2 shown]
	s_clause 0x3
	global_load_b128 v[76:79], v[44:45], off offset:8208
	global_load_b128 v[80:83], v[44:45], off offset:8240
	;; [unrolled: 1-line block ×4, first 2 shown]
	s_wait_loadcnt 0xf
	v_cvt_f64_f32_e32 v[125:126], v13
	v_cvt_f64_f32_e32 v[13:14], v14
	s_wait_loadcnt 0xe
	v_cvt_f64_f32_e32 v[127:128], v24
	v_cvt_f64_f32_e32 v[24:25], v25
	;; [unrolled: 3-line block ×4, first 2 shown]
	v_fma_f64 v[92:93], -v[109:110], v[11:12], v[93:94]
	v_fma_f64 v[97:98], v[105:106], v[11:12], v[97:98]
	v_fma_f64 v[94:95], -v[95:96], v[11:12], v[101:102]
	v_fma_f64 v[101:102], v[113:114], v[11:12], v[107:108]
	;; [unrolled: 2-line block ×4, first 2 shown]
	global_load_b128 v[9:12], v[111:112], off offset:32
	v_cvt_f64_f32_e32 v[109:110], v16
	v_cvt_f64_f32_e32 v[113:114], v26
	;; [unrolled: 1-line block ×7, first 2 shown]
	s_wait_loadcnt 0xc
	v_fma_f64 v[92:93], v[125:126], v[36:37], v[92:93]
	v_fma_f64 v[96:97], v[13:14], v[36:37], v[97:98]
	;; [unrolled: 1-line block ×8, first 2 shown]
	v_cvt_f64_f32_e32 v[107:108], v15
	v_fma_f64 v[26:27], -v[13:14], v[38:39], v[92:93]
	v_fma_f64 v[30:31], v[125:126], v[38:39], v[96:97]
	v_fma_f64 v[24:25], -v[24:25], v[38:39], v[94:95]
	v_fma_f64 v[34:35], v[127:128], v[38:39], v[101:102]
	;; [unrolled: 2-line block ×4, first 2 shown]
	global_load_b128 v[13:16], v[111:112], off offset:48
	v_subrev_nc_u32_e32 v106, s12, v134
	s_delay_alu instid0(VALU_DEP_1)
	v_lshlrev_b32_e32 v106, 2, v106
	s_wait_loadcnt 0xc
	v_fma_f64 v[94:95], v[107:108], v[48:49], v[26:27]
	v_fma_f64 v[96:97], v[109:110], v[48:49], v[30:31]
	;; [unrolled: 1-line block ×8, first 2 shown]
	s_clause 0x3
	global_load_b128 v[24:27], v[44:45], off offset:12288
	global_load_b128 v[28:31], v[44:45], off offset:12320
	;; [unrolled: 1-line block ×4, first 2 shown]
	s_wait_loadcnt 0xf
	v_cvt_f64_f32_e32 v[111:112], v52
	v_cvt_f64_f32_e32 v[52:53], v53
	s_wait_loadcnt 0xe
	v_cvt_f64_f32_e32 v[125:126], v56
	v_cvt_f64_f32_e32 v[56:57], v57
	;; [unrolled: 3-line block ×4, first 2 shown]
	v_cvt_f64_f32_e32 v[131:132], v67
	v_fma_f64 v[94:95], -v[109:110], v[50:51], v[94:95]
	v_fma_f64 v[96:97], v[107:108], v[50:51], v[96:97]
	v_fma_f64 v[98:99], -v[115:116], v[50:51], v[98:99]
	v_fma_f64 v[100:101], v[113:114], v[50:51], v[100:101]
	;; [unrolled: 2-line block ×4, first 2 shown]
	v_ashrrev_i32_e32 v107, 31, v106
	v_cvt_f64_f32_e32 v[113:114], v55
	v_cvt_f64_f32_e32 v[115:116], v58
	;; [unrolled: 1-line block ×4, first 2 shown]
	v_lshlrev_b64_e32 v[48:49], 4, v[106:107]
	v_cvt_f64_f32_e32 v[121:122], v63
	v_cvt_f64_f32_e32 v[123:124], v66
	s_delay_alu instid0(VALU_DEP_3) | instskip(SKIP_1) | instid1(VALU_DEP_4)
	v_add_co_u32 v106, vcc_lo, s4, v48
	s_wait_alu 0xfffd
	v_add_co_ci_u32_e64 v107, null, s5, v49, vcc_lo
	v_add_co_u32 v42, vcc_lo, 0x80, v42
	s_wait_alu 0xfffd
	v_add_co_ci_u32_e64 v43, null, 0, v43, vcc_lo
	global_load_b128 v[48:51], v[106:107], off
	s_wait_loadcnt 0xc
	v_fma_f64 v[94:95], v[111:112], v[68:69], v[94:95]
	v_fma_f64 v[96:97], v[52:53], v[68:69], v[96:97]
	;; [unrolled: 1-line block ×8, first 2 shown]
	v_cvt_f64_f32_e32 v[108:109], v54
	v_fma_f64 v[58:59], -v[52:53], v[70:71], v[94:95]
	v_fma_f64 v[62:63], v[111:112], v[70:71], v[96:97]
	v_fma_f64 v[56:57], -v[56:57], v[70:71], v[98:99]
	v_fma_f64 v[66:67], v[125:126], v[70:71], v[100:101]
	;; [unrolled: 2-line block ×4, first 2 shown]
	global_load_b128 v[52:55], v[106:107], off offset:16
	s_wait_loadcnt 0xc
	v_fma_f64 v[94:95], v[108:109], v[72:73], v[58:59]
	v_fma_f64 v[96:97], v[113:114], v[72:73], v[62:63]
	;; [unrolled: 1-line block ×8, first 2 shown]
	s_clause 0x3
	global_load_b128 v[56:59], v[44:45], off offset:12304
	global_load_b128 v[60:63], v[44:45], off offset:12336
	;; [unrolled: 1-line block ×4, first 2 shown]
	v_add_co_u32 v44, vcc_lo, 0x4000, v44
	s_wait_alu 0xfffd
	v_add_co_ci_u32_e64 v45, null, 0, v45, vcc_lo
	v_cmp_ge_i64_e32 vcc_lo, v[42:43], v[19:20]
	s_wait_loadcnt 0xf
	v_cvt_f64_f32_e32 v[110:111], v76
	v_cvt_f64_f32_e32 v[76:77], v77
	s_wait_loadcnt 0xe
	v_cvt_f64_f32_e32 v[125:126], v80
	v_cvt_f64_f32_e32 v[80:81], v81
	;; [unrolled: 3-line block ×4, first 2 shown]
	s_wait_alu 0xfffe
	s_or_b32 s10, vcc_lo, s10
	v_fma_f64 v[94:95], -v[113:114], v[74:75], v[94:95]
	v_fma_f64 v[96:97], v[108:109], v[74:75], v[96:97]
	v_fma_f64 v[98:99], -v[117:118], v[74:75], v[98:99]
	v_fma_f64 v[100:101], v[115:116], v[74:75], v[100:101]
	v_fma_f64 v[102:103], -v[121:122], v[74:75], v[102:103]
	v_fma_f64 v[92:93], v[119:120], v[74:75], v[92:93]
	v_fma_f64 v[104:105], -v[131:132], v[74:75], v[104:105]
	v_fma_f64 v[108:109], v[123:124], v[74:75], v[72:73]
	global_load_b128 v[72:75], v[106:107], off offset:32
	v_cvt_f64_f32_e32 v[112:113], v82
	v_cvt_f64_f32_e32 v[82:83], v83
	v_cvt_f64_f32_e32 v[114:115], v86
	v_cvt_f64_f32_e32 v[86:87], v87
	v_cvt_f64_f32_e32 v[116:117], v90
	v_cvt_f64_f32_e32 v[90:91], v91
	s_wait_loadcnt 0xc
	v_fma_f64 v[94:95], v[110:111], v[9:10], v[94:95]
	v_fma_f64 v[96:97], v[76:77], v[9:10], v[96:97]
	;; [unrolled: 1-line block ×8, first 2 shown]
	v_cvt_f64_f32_e32 v[108:109], v78
	v_cvt_f64_f32_e32 v[78:79], v79
	v_fma_f64 v[76:77], -v[76:77], v[11:12], v[94:95]
	v_fma_f64 v[94:95], v[110:111], v[11:12], v[96:97]
	v_fma_f64 v[80:81], -v[80:81], v[11:12], v[98:99]
	v_fma_f64 v[96:97], v[125:126], v[11:12], v[100:101]
	;; [unrolled: 2-line block ×4, first 2 shown]
	global_load_b128 v[9:12], v[106:107], off offset:48
	s_wait_loadcnt 0xc
	v_fma_f64 v[76:77], v[108:109], v[13:14], v[76:77]
	v_fma_f64 v[94:95], v[78:79], v[13:14], v[94:95]
	;; [unrolled: 1-line block ×8, first 2 shown]
	s_wait_loadcnt 0xb
	v_cvt_f64_f32_e32 v[98:99], v24
	v_cvt_f64_f32_e32 v[24:25], v25
	s_wait_loadcnt 0xa
	v_cvt_f64_f32_e32 v[100:101], v28
	v_cvt_f64_f32_e32 v[28:29], v29
	;; [unrolled: 3-line block ×4, first 2 shown]
	v_fma_f64 v[76:77], -v[78:79], v[15:16], v[76:77]
	v_fma_f64 v[78:79], v[108:109], v[15:16], v[94:95]
	v_fma_f64 v[80:81], -v[82:83], v[15:16], v[80:81]
	v_fma_f64 v[82:83], v[112:113], v[15:16], v[96:97]
	;; [unrolled: 2-line block ×4, first 2 shown]
	v_cvt_f64_f32_e32 v[90:91], v34
	v_cvt_f64_f32_e32 v[34:35], v35
	v_cvt_f64_f32_e32 v[92:93], v38
	v_cvt_f64_f32_e32 v[38:39], v39
	s_wait_loadcnt 0x7
	v_fma_f64 v[15:16], v[98:99], v[48:49], v[76:77]
	v_fma_f64 v[76:77], v[24:25], v[48:49], v[78:79]
	;; [unrolled: 1-line block ×8, first 2 shown]
	v_cvt_f64_f32_e32 v[48:49], v26
	v_cvt_f64_f32_e32 v[26:27], v27
	v_cvt_f64_f32_e32 v[88:89], v30
	v_cvt_f64_f32_e32 v[30:31], v31
	v_fma_f64 v[15:16], -v[24:25], v[50:51], v[15:16]
	v_fma_f64 v[24:25], v[98:99], v[50:51], v[76:77]
	v_fma_f64 v[28:29], -v[28:29], v[50:51], v[78:79]
	v_fma_f64 v[76:77], v[100:101], v[50:51], v[80:81]
	;; [unrolled: 2-line block ×4, first 2 shown]
	s_wait_loadcnt 0x6
	v_fma_f64 v[15:16], v[48:49], v[52:53], v[15:16]
	v_fma_f64 v[24:25], v[26:27], v[52:53], v[24:25]
	;; [unrolled: 1-line block ×8, first 2 shown]
	s_wait_loadcnt 0x5
	v_cvt_f64_f32_e32 v[52:53], v56
	v_cvt_f64_f32_e32 v[56:57], v57
	s_wait_loadcnt 0x4
	v_cvt_f64_f32_e32 v[78:79], v60
	v_cvt_f64_f32_e32 v[60:61], v61
	;; [unrolled: 3-line block ×4, first 2 shown]
	v_fma_f64 v[15:16], -v[26:27], v[54:55], v[15:16]
	v_fma_f64 v[24:25], v[48:49], v[54:55], v[24:25]
	v_fma_f64 v[26:27], -v[30:31], v[54:55], v[28:29]
	v_fma_f64 v[28:29], v[88:89], v[54:55], v[50:51]
	;; [unrolled: 2-line block ×4, first 2 shown]
	v_cvt_f64_f32_e32 v[36:37], v58
	v_cvt_f64_f32_e32 v[38:39], v59
	;; [unrolled: 1-line block ×8, first 2 shown]
	s_wait_loadcnt 0x1
	v_fma_f64 v[15:16], v[52:53], v[72:73], v[15:16]
	v_fma_f64 v[24:25], v[56:57], v[72:73], v[24:25]
	;; [unrolled: 1-line block ×8, first 2 shown]
	v_fma_f64 v[15:16], -v[56:57], v[74:75], v[15:16]
	v_fma_f64 v[24:25], v[52:53], v[74:75], v[24:25]
	v_fma_f64 v[26:27], -v[60:61], v[74:75], v[26:27]
	v_fma_f64 v[28:29], v[78:79], v[74:75], v[28:29]
	;; [unrolled: 2-line block ×4, first 2 shown]
	s_wait_loadcnt 0x0
	v_fma_f64 v[15:16], v[36:37], v[9:10], v[15:16]
	v_fma_f64 v[24:25], v[38:39], v[9:10], v[24:25]
	;; [unrolled: 1-line block ×8, first 2 shown]
	v_fma_f64 v[30:31], -v[38:39], v[11:12], v[15:16]
	v_fma_f64 v[24:25], v[36:37], v[11:12], v[24:25]
	v_fma_f64 v[38:39], -v[50:51], v[11:12], v[26:27]
	v_fma_f64 v[28:29], v[48:49], v[11:12], v[28:29]
	;; [unrolled: 2-line block ×4, first 2 shown]
	s_wait_alu 0xfffe
	s_and_not1_b32 exec_lo, exec_lo, s10
	s_cbranch_execnz .LBB173_19
; %bb.20:
	s_or_b32 exec_lo, exec_lo, s10
.LBB173_21:
	s_wait_alu 0xfffe
	s_or_b32 exec_lo, exec_lo, s7
.LBB173_22:
	s_wait_alu 0xfffe
	s_or_b32 exec_lo, exec_lo, s6
	s_cbranch_execz .LBB173_24
	s_branch .LBB173_35
.LBB173_23:
                                        ; implicit-def: $vgpr24_vgpr25
                                        ; implicit-def: $vgpr30_vgpr31
                                        ; implicit-def: $vgpr28_vgpr29
                                        ; implicit-def: $vgpr38_vgpr39
                                        ; implicit-def: $vgpr34_vgpr35
                                        ; implicit-def: $vgpr36_vgpr37
                                        ; implicit-def: $vgpr32_vgpr33
                                        ; implicit-def: $vgpr26_vgpr27
.LBB173_24:
	v_mov_b32_e32 v24, 0
	v_mov_b32_e32 v28, 0
	;; [unrolled: 1-line block ×3, first 2 shown]
	v_dual_mov_b32 v32, 0 :: v_dual_mov_b32 v25, 0
	v_dual_mov_b32 v30, 0 :: v_dual_mov_b32 v29, 0
	;; [unrolled: 1-line block ×5, first 2 shown]
	v_mov_b32_e32 v39, 0
	v_mov_b32_e32 v37, 0
	;; [unrolled: 1-line block ×3, first 2 shown]
	s_and_saveexec_b32 s3, s2
	s_cbranch_execz .LBB173_34
; %bb.25:
	v_or_b32_e32 v9, 32, v0
	v_not_b32_e32 v13, v40
	v_not_b32_e32 v11, v41
	v_mov_b32_e32 v34, 0
	v_mov_b32_e32 v28, 0
	v_sub_co_u32 v9, s2, v9, s12
	s_wait_alu 0xf1ff
	v_sub_co_ci_u32_e64 v10, null, 0, 0, s2
	v_sub_co_u32 v14, s2, s12, v0
	s_delay_alu instid0(VALU_DEP_3) | instskip(SKIP_1) | instid1(VALU_DEP_3)
	v_add_co_u32 v9, vcc_lo, v9, v40
	s_wait_alu 0xfffd
	v_add_co_ci_u32_e64 v10, null, v10, v41, vcc_lo
	s_wait_alu 0xf1ff
	v_sub_co_ci_u32_e64 v15, null, 0, 0, s2
	v_add_co_u32 v13, s2, v14, v13
	s_delay_alu instid0(VALU_DEP_3)
	v_cmp_gt_i64_e32 vcc_lo, v[9:10], v[19:20]
	v_mov_b32_e32 v12, 0
	s_wait_alu 0xf1ff
	v_add_co_ci_u32_e64 v11, null, v15, v11, s2
	v_mov_b32_e32 v26, 0
	s_wait_alu 0xfffd
	v_dual_mov_b32 v32, 0 :: v_dual_cndmask_b32 v9, v19, v9
	v_dual_cndmask_b32 v10, v20, v10 :: v_dual_mov_b32 v27, 0
	v_dual_mov_b32 v35, 0 :: v_dual_mov_b32 v38, 0
	s_delay_alu instid0(VALU_DEP_3)
	v_add_co_u32 v9, vcc_lo, v13, v9
	v_dual_mov_b32 v36, 0 :: v_dual_mov_b32 v29, 0
	v_mov_b32_e32 v30, 0
	v_dual_mov_b32 v24, 0 :: v_dual_mov_b32 v33, 0
	v_mov_b32_e32 v37, 0
	s_wait_alu 0xfffd
	v_add_co_ci_u32_e64 v10, null, v11, v10, vcc_lo
	v_and_b32_e32 v11, 0x60, v9
	v_mov_b32_e32 v39, 0
	v_mov_b32_e32 v31, 0
	;; [unrolled: 1-line block ×3, first 2 shown]
	s_mov_b32 s6, exec_lo
	v_cmpx_ne_u64_e32 0x60, v[11:12]
	s_cbranch_execz .LBB173_29
; %bb.26:
	v_lshrrev_b32_e32 v13, 5, v9
	v_mov_b32_e32 v28, 0
	v_lshlrev_b64_e32 v[11:12], 2, v[17:18]
	v_dual_mov_b32 v29, 0 :: v_dual_mov_b32 v38, 0
	s_delay_alu instid0(VALU_DEP_4) | instskip(SKIP_1) | instid1(VALU_DEP_4)
	v_dual_mov_b32 v24, 0 :: v_dual_add_nc_u32 v13, 1, v13
	v_dual_mov_b32 v39, 0 :: v_dual_mov_b32 v36, 0
	v_add_co_u32 v11, vcc_lo, s8, v11
	s_delay_alu instid0(VALU_DEP_3) | instskip(SKIP_2) | instid1(VALU_DEP_3)
	v_dual_mov_b32 v34, 0 :: v_dual_and_b32 v13, 3, v13
	v_dual_mov_b32 v25, 0 :: v_dual_mov_b32 v30, 0
	v_dual_mov_b32 v35, 0 :: v_dual_mov_b32 v32, 0
	v_sub_co_u32 v13, s2, 0, v13
	v_dual_mov_b32 v37, 0 :: v_dual_mov_b32 v26, 0
	v_mov_b32_e32 v31, 0
	s_wait_alu 0xfffd
	v_add_co_ci_u32_e64 v12, null, s9, v12, vcc_lo
	v_mov_b32_e32 v33, 0
	v_mov_b32_e32 v27, 0
	s_wait_alu 0xf1ff
	v_sub_co_ci_u32_e64 v14, null, 0, 0, s2
	s_mov_b32 s7, 0
.LBB173_27:                             ; =>This Inner Loop Header: Depth=1
	global_load_b32 v15, v[11:12], off
	s_clause 0x1
	global_load_b128 v[40:43], v[22:23], off
	global_load_b128 v[44:47], v[22:23], off offset:16
	v_add_co_u32 v11, s2, 0x80, v11
	s_wait_alu 0xf1ff
	v_add_co_ci_u32_e64 v12, null, 0, v12, s2
	s_wait_loadcnt 0x2
	v_subrev_nc_u32_e32 v15, s12, v15
	s_wait_loadcnt 0x1
	v_cvt_f64_f32_e32 v[88:89], v42
	v_cvt_f64_f32_e32 v[42:43], v43
	s_wait_loadcnt 0x0
	v_cvt_f64_f32_e32 v[90:91], v44
	v_cvt_f64_f32_e32 v[44:45], v45
	v_lshlrev_b32_e32 v15, 2, v15
	v_cvt_f64_f32_e32 v[92:93], v46
	v_cvt_f64_f32_e32 v[46:47], v47
	s_delay_alu instid0(VALU_DEP_3) | instskip(NEXT) | instid1(VALU_DEP_1)
	v_ashrrev_i32_e32 v16, 31, v15
	v_lshlrev_b64_e32 v[15:16], 4, v[15:16]
	s_wait_kmcnt 0x0
	s_delay_alu instid0(VALU_DEP_1) | instskip(SKIP_1) | instid1(VALU_DEP_2)
	v_add_co_u32 v15, vcc_lo, s4, v15
	s_wait_alu 0xfffd
	v_add_co_ci_u32_e64 v16, null, s5, v16, vcc_lo
	s_clause 0x1
	global_load_b128 v[48:51], v[15:16], off
	global_load_b128 v[52:55], v[15:16], off offset:16
	s_clause 0x3
	global_load_b128 v[56:59], v[22:23], off offset:32
	global_load_b128 v[60:63], v[22:23], off offset:48
	;; [unrolled: 1-line block ×4, first 2 shown]
	s_clause 0x1
	global_load_b128 v[72:75], v[15:16], off offset:32
	global_load_b128 v[76:79], v[15:16], off offset:48
	s_clause 0x1
	global_load_b128 v[80:83], v[22:23], off offset:96
	global_load_b128 v[84:87], v[22:23], off offset:112
	v_cvt_f64_f32_e32 v[15:16], v40
	v_cvt_f64_f32_e32 v[40:41], v41
	v_add_co_u32 v22, vcc_lo, 0x1000, v22
	s_wait_alu 0xfffd
	v_add_co_ci_u32_e64 v23, null, 0, v23, vcc_lo
	v_add_co_u32 v13, vcc_lo, v13, 1
	s_wait_alu 0xfffd
	v_add_co_ci_u32_e64 v14, null, 0, v14, vcc_lo
	;; [unrolled: 3-line block ×3, first 2 shown]
	s_delay_alu instid0(VALU_DEP_3)
	v_cmp_eq_u64_e32 vcc_lo, 0, v[13:14]
	s_wait_alu 0xfffe
	s_or_b32 s7, vcc_lo, s7
	s_wait_loadcnt 0x9
	v_fma_f64 v[30:31], v[15:16], v[48:49], v[30:31]
	v_fma_f64 v[24:25], v[40:41], v[48:49], v[24:25]
	;; [unrolled: 1-line block ×8, first 2 shown]
	s_wait_loadcnt 0x7
	v_cvt_f64_f32_e32 v[48:49], v56
	v_cvt_f64_f32_e32 v[56:57], v57
	;; [unrolled: 1-line block ×4, first 2 shown]
	s_wait_loadcnt 0x6
	v_cvt_f64_f32_e32 v[96:97], v60
	v_cvt_f64_f32_e32 v[60:61], v61
	;; [unrolled: 1-line block ×4, first 2 shown]
	v_fma_f64 v[30:31], -v[40:41], v[50:51], v[30:31]
	v_fma_f64 v[15:16], v[15:16], v[50:51], v[24:25]
	v_fma_f64 v[24:25], -v[42:43], v[50:51], v[38:39]
	v_fma_f64 v[28:29], v[88:89], v[50:51], v[28:29]
	;; [unrolled: 2-line block ×4, first 2 shown]
	s_wait_loadcnt 0x5
	v_cvt_f64_f32_e32 v[38:39], v64
	v_cvt_f64_f32_e32 v[40:41], v65
	;; [unrolled: 1-line block ×4, first 2 shown]
	s_wait_loadcnt 0x4
	v_cvt_f64_f32_e32 v[46:47], v68
	v_cvt_f64_f32_e32 v[50:51], v69
	;; [unrolled: 1-line block ×3, first 2 shown]
	s_wait_loadcnt 0x0
	v_cvt_f64_f32_e32 v[66:67], v86
	v_cvt_f64_f32_e32 v[68:69], v87
	v_fma_f64 v[30:31], v[48:49], v[52:53], v[30:31]
	v_fma_f64 v[15:16], v[56:57], v[52:53], v[15:16]
	;; [unrolled: 1-line block ×8, first 2 shown]
	v_cvt_f64_f32_e32 v[52:53], v70
	v_fma_f64 v[30:31], -v[56:57], v[54:55], v[30:31]
	v_fma_f64 v[15:16], v[48:49], v[54:55], v[15:16]
	v_fma_f64 v[24:25], -v[58:59], v[54:55], v[24:25]
	v_fma_f64 v[28:29], v[94:95], v[54:55], v[28:29]
	;; [unrolled: 2-line block ×4, first 2 shown]
	v_cvt_f64_f32_e32 v[48:49], v80
	v_cvt_f64_f32_e32 v[54:55], v81
	;; [unrolled: 1-line block ×6, first 2 shown]
	v_fma_f64 v[30:31], v[38:39], v[72:73], v[30:31]
	v_fma_f64 v[15:16], v[40:41], v[72:73], v[15:16]
	;; [unrolled: 1-line block ×8, first 2 shown]
	v_fma_f64 v[30:31], -v[40:41], v[74:75], v[30:31]
	v_fma_f64 v[15:16], v[38:39], v[74:75], v[15:16]
	v_fma_f64 v[24:25], -v[44:45], v[74:75], v[24:25]
	v_fma_f64 v[28:29], v[42:43], v[74:75], v[28:29]
	;; [unrolled: 2-line block ×4, first 2 shown]
	v_fma_f64 v[30:31], v[48:49], v[76:77], v[30:31]
	v_fma_f64 v[15:16], v[54:55], v[76:77], v[15:16]
	;; [unrolled: 1-line block ×8, first 2 shown]
	v_fma_f64 v[30:31], -v[54:55], v[78:79], v[30:31]
	v_fma_f64 v[24:25], v[48:49], v[78:79], v[15:16]
	v_fma_f64 v[38:39], -v[58:59], v[78:79], v[38:39]
	v_fma_f64 v[28:29], v[56:57], v[78:79], v[28:29]
	;; [unrolled: 2-line block ×4, first 2 shown]
	s_wait_alu 0xfffe
	s_and_not1_b32 exec_lo, exec_lo, s7
	s_cbranch_execnz .LBB173_27
; %bb.28:
	s_or_b32 exec_lo, exec_lo, s7
.LBB173_29:
	s_wait_alu 0xfffe
	s_or_b32 exec_lo, exec_lo, s6
	s_delay_alu instid0(SALU_CYCLE_1)
	s_mov_b32 s6, exec_lo
	v_cmpx_lt_u64_e32 0x5f, v[9:10]
	s_cbranch_execz .LBB173_33
; %bb.30:
	v_lshlrev_b64_e32 v[9:10], 2, v[17:18]
	s_mov_b32 s7, 0
	s_delay_alu instid0(VALU_DEP_1) | instskip(SKIP_1) | instid1(VALU_DEP_2)
	v_add_co_u32 v9, vcc_lo, s8, v9
	s_wait_alu 0xfffd
	v_add_co_ci_u32_e64 v10, null, s9, v10, vcc_lo
	s_delay_alu instid0(VALU_DEP_2) | instskip(SKIP_1) | instid1(VALU_DEP_2)
	v_add_co_u32 v9, vcc_lo, 0x100, v9
	s_wait_alu 0xfffd
	v_add_co_ci_u32_e64 v10, null, 0, v10, vcc_lo
.LBB173_31:                             ; =>This Inner Loop Header: Depth=1
	global_load_b32 v15, v[9:10], off offset:-256
	global_load_b128 v[11:14], v[22:23], off
	global_load_b32 v98, v[9:10], off offset:-128
	global_load_b128 v[40:43], v[22:23], off offset:16
	s_clause 0x1
	global_load_b32 v120, v[9:10], off
	global_load_b32 v126, v[9:10], off offset:128
	v_add_co_u32 v9, s2, 0x200, v9
	s_wait_alu 0xf1ff
	v_add_co_ci_u32_e64 v10, null, 0, v10, s2
	s_wait_loadcnt 0x5
	v_subrev_nc_u32_e32 v15, s12, v15
	s_wait_loadcnt 0x4
	v_cvt_f64_f32_e32 v[92:93], v12
	v_cvt_f64_f32_e32 v[94:95], v13
	;; [unrolled: 1-line block ×3, first 2 shown]
	s_wait_loadcnt 0x2
	v_cvt_f64_f32_e32 v[100:101], v42
	v_lshlrev_b32_e32 v15, 2, v15
	v_cvt_f64_f32_e32 v[42:43], v43
	s_delay_alu instid0(VALU_DEP_2) | instskip(NEXT) | instid1(VALU_DEP_1)
	v_ashrrev_i32_e32 v16, 31, v15
	v_lshlrev_b64_e32 v[15:16], 4, v[15:16]
	s_wait_kmcnt 0x0
	s_delay_alu instid0(VALU_DEP_1) | instskip(SKIP_1) | instid1(VALU_DEP_2)
	v_add_co_u32 v15, vcc_lo, s4, v15
	s_wait_alu 0xfffd
	v_add_co_ci_u32_e64 v16, null, s5, v16, vcc_lo
	s_clause 0x1
	global_load_b128 v[44:47], v[15:16], off
	global_load_b128 v[48:51], v[15:16], off offset:16
	s_clause 0x3
	global_load_b128 v[52:55], v[22:23], off offset:32
	global_load_b128 v[56:59], v[22:23], off offset:48
	;; [unrolled: 1-line block ×5, first 2 shown]
	s_clause 0x1
	global_load_b128 v[72:75], v[22:23], off offset:96
	global_load_b128 v[76:79], v[22:23], off offset:112
	;; [unrolled: 1-line block ×3, first 2 shown]
	s_clause 0x1
	global_load_b128 v[84:87], v[22:23], off offset:4096
	global_load_b128 v[88:91], v[22:23], off offset:4112
	v_cvt_f64_f32_e32 v[15:16], v11
	v_subrev_nc_u32_e32 v11, s12, v98
	v_cvt_f64_f32_e32 v[98:99], v40
	v_cvt_f64_f32_e32 v[40:41], v41
	s_delay_alu instid0(VALU_DEP_3) | instskip(NEXT) | instid1(VALU_DEP_1)
	v_lshlrev_b32_e32 v11, 2, v11
	v_ashrrev_i32_e32 v12, 31, v11
	s_delay_alu instid0(VALU_DEP_1) | instskip(NEXT) | instid1(VALU_DEP_1)
	v_lshlrev_b64_e32 v[11:12], 4, v[11:12]
	v_add_co_u32 v102, vcc_lo, s4, v11
	s_wait_alu 0xfffd
	s_delay_alu instid0(VALU_DEP_2)
	v_add_co_ci_u32_e64 v103, null, s5, v12, vcc_lo
	global_load_b128 v[11:14], v[102:103], off
	s_wait_loadcnt 0xc
	v_fma_f64 v[104:105], v[15:16], v[44:45], v[30:31]
	v_fma_f64 v[106:107], v[92:93], v[44:45], v[24:25]
	v_fma_f64 v[38:39], v[94:95], v[44:45], v[38:39]
	v_fma_f64 v[108:109], v[96:97], v[44:45], v[28:29]
	v_fma_f64 v[36:37], v[98:99], v[44:45], v[36:37]
	v_fma_f64 v[34:35], v[40:41], v[44:45], v[34:35]
	v_fma_f64 v[110:111], v[100:101], v[44:45], v[26:27]
	v_fma_f64 v[32:33], v[42:43], v[44:45], v[32:33]
	s_clause 0x1
	global_load_b128 v[24:27], v[22:23], off offset:4128
	global_load_b128 v[28:31], v[22:23], off offset:4144
	s_wait_loadcnt 0xc
	v_cvt_f64_f32_e32 v[44:45], v52
	v_cvt_f64_f32_e32 v[52:53], v53
	;; [unrolled: 1-line block ×4, first 2 shown]
	s_wait_loadcnt 0xb
	v_cvt_f64_f32_e32 v[114:115], v56
	v_cvt_f64_f32_e32 v[56:57], v57
	v_cvt_f64_f32_e32 v[116:117], v58
	v_cvt_f64_f32_e32 v[58:59], v59
	s_wait_loadcnt 0x9
	v_cvt_f64_f32_e32 v[118:119], v66
	v_cvt_f64_f32_e32 v[66:67], v67
	v_fma_f64 v[92:93], -v[92:93], v[46:47], v[104:105]
	v_fma_f64 v[15:16], v[15:16], v[46:47], v[106:107]
	v_fma_f64 v[38:39], -v[96:97], v[46:47], v[38:39]
	v_fma_f64 v[94:95], v[94:95], v[46:47], v[108:109]
	;; [unrolled: 2-line block ×4, first 2 shown]
	global_load_b128 v[32:35], v[102:103], off offset:16
	v_cvt_f64_f32_e32 v[106:107], v60
	v_cvt_f64_f32_e32 v[60:61], v61
	;; [unrolled: 1-line block ×6, first 2 shown]
	v_fma_f64 v[92:93], v[44:45], v[48:49], v[92:93]
	v_fma_f64 v[15:16], v[52:53], v[48:49], v[15:16]
	;; [unrolled: 1-line block ×8, first 2 shown]
	s_clause 0x1
	global_load_b128 v[36:39], v[22:23], off offset:4160
	global_load_b128 v[40:43], v[22:23], off offset:4176
	v_fma_f64 v[48:49], -v[52:53], v[50:51], v[92:93]
	v_fma_f64 v[15:16], v[44:45], v[50:51], v[15:16]
	v_fma_f64 v[52:53], -v[54:55], v[50:51], v[96:97]
	v_fma_f64 v[54:55], v[112:113], v[50:51], v[94:95]
	;; [unrolled: 2-line block ×4, first 2 shown]
	global_load_b128 v[44:47], v[102:103], off offset:32
	s_wait_loadcnt 0xb
	v_cvt_f64_f32_e32 v[100:101], v72
	v_cvt_f64_f32_e32 v[72:73], v73
	;; [unrolled: 1-line block ×4, first 2 shown]
	s_wait_loadcnt 0xa
	v_cvt_f64_f32_e32 v[112:113], v76
	v_cvt_f64_f32_e32 v[76:77], v77
	;; [unrolled: 1-line block ×4, first 2 shown]
	v_subrev_nc_u32_e32 v116, s12, v120
	s_delay_alu instid0(VALU_DEP_1) | instskip(NEXT) | instid1(VALU_DEP_1)
	v_lshlrev_b32_e32 v116, 2, v116
	v_ashrrev_i32_e32 v117, 31, v116
	v_fma_f64 v[94:95], v[106:107], v[68:69], v[48:49]
	v_fma_f64 v[15:16], v[60:61], v[68:69], v[15:16]
	;; [unrolled: 1-line block ×8, first 2 shown]
	s_clause 0x1
	global_load_b128 v[48:51], v[22:23], off offset:4192
	global_load_b128 v[52:55], v[22:23], off offset:4208
	v_fma_f64 v[60:61], -v[60:61], v[70:71], v[94:95]
	v_fma_f64 v[15:16], v[106:107], v[70:71], v[15:16]
	v_fma_f64 v[62:63], -v[62:63], v[70:71], v[96:97]
	v_fma_f64 v[94:95], v[108:109], v[70:71], v[98:99]
	;; [unrolled: 2-line block ×4, first 2 shown]
	global_load_b128 v[56:59], v[102:103], off offset:48
	s_wait_loadcnt 0xb
	v_cvt_f64_f32_e32 v[106:107], v86
	v_cvt_f64_f32_e32 v[86:87], v87
	s_wait_loadcnt 0xa
	v_cvt_f64_f32_e32 v[108:109], v88
	v_cvt_f64_f32_e32 v[88:89], v89
	;; [unrolled: 1-line block ×4, first 2 shown]
	v_fma_f64 v[70:71], v[100:101], v[80:81], v[60:61]
	v_fma_f64 v[15:16], v[72:73], v[80:81], v[15:16]
	;; [unrolled: 1-line block ×8, first 2 shown]
	s_clause 0x1
	global_load_b128 v[60:63], v[22:23], off offset:8192
	global_load_b128 v[64:67], v[22:23], off offset:8208
	v_cvt_f64_f32_e32 v[80:81], v84
	v_cvt_f64_f32_e32 v[84:85], v85
	v_fma_f64 v[72:73], -v[72:73], v[82:83], v[70:71]
	v_fma_f64 v[15:16], v[100:101], v[82:83], v[15:16]
	v_fma_f64 v[74:75], -v[74:75], v[82:83], v[96:97]
	v_fma_f64 v[94:95], v[104:105], v[82:83], v[94:95]
	;; [unrolled: 2-line block ×4, first 2 shown]
	v_lshlrev_b64_e32 v[68:69], 4, v[116:117]
	s_delay_alu instid0(VALU_DEP_1) | instskip(SKIP_1) | instid1(VALU_DEP_2)
	v_add_co_u32 v96, vcc_lo, s4, v68
	s_wait_alu 0xfffd
	v_add_co_ci_u32_e64 v97, null, s5, v69, vcc_lo
	global_load_b128 v[68:71], v[96:97], off
	s_wait_loadcnt 0xc
	v_fma_f64 v[98:99], v[80:81], v[11:12], v[72:73]
	v_fma_f64 v[15:16], v[84:85], v[11:12], v[15:16]
	v_fma_f64 v[100:101], v[106:107], v[11:12], v[74:75]
	v_fma_f64 v[94:95], v[86:87], v[11:12], v[94:95]
	v_fma_f64 v[102:103], v[108:109], v[11:12], v[76:77]
	v_fma_f64 v[92:93], v[88:89], v[11:12], v[92:93]
	v_fma_f64 v[104:105], v[110:111], v[11:12], v[78:79]
	v_fma_f64 v[11:12], v[90:91], v[11:12], v[82:83]
	s_clause 0x1
	global_load_b128 v[72:75], v[22:23], off offset:8224
	global_load_b128 v[76:79], v[22:23], off offset:8240
	s_wait_loadcnt 0xd
	v_cvt_f64_f32_e32 v[82:83], v24
	v_cvt_f64_f32_e32 v[112:113], v25
	v_cvt_f64_f32_e32 v[114:115], v26
	v_cvt_f64_f32_e32 v[116:117], v27
	s_wait_loadcnt 0xc
	v_cvt_f64_f32_e32 v[118:119], v28
	v_cvt_f64_f32_e32 v[120:121], v29
	v_cvt_f64_f32_e32 v[122:123], v30
	v_cvt_f64_f32_e32 v[124:125], v31
	v_fma_f64 v[24:25], -v[84:85], v[13:14], v[98:99]
	v_fma_f64 v[15:16], v[80:81], v[13:14], v[15:16]
	v_fma_f64 v[26:27], -v[86:87], v[13:14], v[100:101]
	v_fma_f64 v[28:29], v[106:107], v[13:14], v[94:95]
	v_fma_f64 v[30:31], -v[88:89], v[13:14], v[102:103]
	v_fma_f64 v[80:81], v[108:109], v[13:14], v[92:93]
	v_fma_f64 v[84:85], -v[90:91], v[13:14], v[104:105]
	v_fma_f64 v[86:87], v[110:111], v[13:14], v[11:12]
	global_load_b128 v[11:14], v[96:97], off offset:16
	s_wait_loadcnt 0xc
	v_fma_f64 v[88:89], v[82:83], v[32:33], v[24:25]
	v_fma_f64 v[15:16], v[112:113], v[32:33], v[15:16]
	v_fma_f64 v[90:91], v[114:115], v[32:33], v[26:27]
	v_fma_f64 v[92:93], v[116:117], v[32:33], v[28:29]
	v_fma_f64 v[94:95], v[118:119], v[32:33], v[30:31]
	v_fma_f64 v[80:81], v[120:121], v[32:33], v[80:81]
	v_fma_f64 v[84:85], v[122:123], v[32:33], v[84:85]
	v_fma_f64 v[32:33], v[124:125], v[32:33], v[86:87]
	s_clause 0x1
	global_load_b128 v[24:27], v[22:23], off offset:8256
	global_load_b128 v[28:31], v[22:23], off offset:8272
	s_wait_loadcnt 0xd
	v_cvt_f64_f32_e32 v[86:87], v36
	v_cvt_f64_f32_e32 v[98:99], v37
	v_cvt_f64_f32_e32 v[100:101], v38
	v_cvt_f64_f32_e32 v[102:103], v39
	s_wait_loadcnt 0xc
	v_cvt_f64_f32_e32 v[104:105], v40
	v_cvt_f64_f32_e32 v[106:107], v41
	v_cvt_f64_f32_e32 v[108:109], v42
	v_cvt_f64_f32_e32 v[110:111], v43
	v_fma_f64 v[36:37], -v[112:113], v[34:35], v[88:89]
	v_fma_f64 v[15:16], v[82:83], v[34:35], v[15:16]
	v_fma_f64 v[38:39], -v[116:117], v[34:35], v[90:91]
	v_fma_f64 v[40:41], v[114:115], v[34:35], v[92:93]
	v_fma_f64 v[42:43], -v[120:121], v[34:35], v[94:95]
	v_fma_f64 v[80:81], v[118:119], v[34:35], v[80:81]
	v_fma_f64 v[82:83], -v[124:125], v[34:35], v[84:85]
	v_fma_f64 v[84:85], v[122:123], v[34:35], v[32:33]
	global_load_b128 v[32:35], v[96:97], off offset:32
	;; [unrolled: 31-line block ×3, first 2 shown]
	s_wait_loadcnt 0xc
	v_fma_f64 v[88:89], v[84:85], v[56:57], v[48:49]
	v_fma_f64 v[15:16], v[112:113], v[56:57], v[15:16]
	;; [unrolled: 1-line block ×8, first 2 shown]
	s_clause 0x1
	global_load_b128 v[48:51], v[22:23], off offset:12288
	global_load_b128 v[52:55], v[22:23], off offset:12304
	s_wait_loadcnt 0xd
	v_cvt_f64_f32_e32 v[86:87], v60
	v_subrev_nc_u32_e32 v60, s12, v126
	v_cvt_f64_f32_e32 v[96:97], v61
	v_cvt_f64_f32_e32 v[98:99], v62
	;; [unrolled: 1-line block ×3, first 2 shown]
	s_wait_loadcnt 0xc
	v_cvt_f64_f32_e32 v[102:103], v64
	v_lshlrev_b32_e32 v60, 2, v60
	v_cvt_f64_f32_e32 v[104:105], v65
	v_cvt_f64_f32_e32 v[106:107], v66
	;; [unrolled: 1-line block ×3, first 2 shown]
	s_delay_alu instid0(VALU_DEP_4)
	v_ashrrev_i32_e32 v61, 31, v60
	v_fma_f64 v[62:63], -v[112:113], v[58:59], v[88:89]
	v_fma_f64 v[15:16], v[84:85], v[58:59], v[15:16]
	v_fma_f64 v[64:65], -v[116:117], v[58:59], v[90:91]
	v_fma_f64 v[66:67], v[114:115], v[58:59], v[92:93]
	;; [unrolled: 2-line block ×4, first 2 shown]
	v_lshlrev_b64_e32 v[56:57], 4, v[60:61]
	s_delay_alu instid0(VALU_DEP_1) | instskip(SKIP_1) | instid1(VALU_DEP_2)
	v_add_co_u32 v90, vcc_lo, s4, v56
	s_wait_alu 0xfffd
	v_add_co_ci_u32_e64 v91, null, s5, v57, vcc_lo
	v_add_co_u32 v17, vcc_lo, 0x80, v17
	s_wait_alu 0xfffd
	v_add_co_ci_u32_e64 v18, null, 0, v18, vcc_lo
	global_load_b128 v[56:59], v[90:91], off
	s_wait_loadcnt 0xc
	v_fma_f64 v[92:93], v[86:87], v[68:69], v[62:63]
	v_fma_f64 v[15:16], v[96:97], v[68:69], v[15:16]
	;; [unrolled: 1-line block ×8, first 2 shown]
	s_clause 0x1
	global_load_b128 v[60:63], v[22:23], off offset:12320
	global_load_b128 v[64:67], v[22:23], off offset:12336
	s_wait_loadcnt 0xd
	v_cvt_f64_f32_e32 v[88:89], v72
	v_cvt_f64_f32_e32 v[112:113], v73
	;; [unrolled: 1-line block ×4, first 2 shown]
	s_wait_loadcnt 0xc
	v_cvt_f64_f32_e32 v[118:119], v76
	v_cvt_f64_f32_e32 v[120:121], v77
	;; [unrolled: 1-line block ×4, first 2 shown]
	v_fma_f64 v[72:73], -v[96:97], v[70:71], v[92:93]
	v_fma_f64 v[15:16], v[86:87], v[70:71], v[15:16]
	v_fma_f64 v[74:75], -v[100:101], v[70:71], v[94:95]
	v_fma_f64 v[76:77], v[98:99], v[70:71], v[110:111]
	;; [unrolled: 2-line block ×4, first 2 shown]
	global_load_b128 v[68:71], v[90:91], off offset:16
	s_wait_loadcnt 0xc
	v_fma_f64 v[86:87], v[88:89], v[11:12], v[72:73]
	v_fma_f64 v[15:16], v[112:113], v[11:12], v[15:16]
	;; [unrolled: 1-line block ×8, first 2 shown]
	s_clause 0x1
	global_load_b128 v[72:75], v[22:23], off offset:12352
	global_load_b128 v[76:79], v[22:23], off offset:12368
	s_wait_loadcnt 0xd
	v_cvt_f64_f32_e32 v[84:85], v24
	v_cvt_f64_f32_e32 v[98:99], v25
	;; [unrolled: 1-line block ×4, first 2 shown]
	s_wait_loadcnt 0xc
	v_cvt_f64_f32_e32 v[104:105], v28
	v_cvt_f64_f32_e32 v[106:107], v29
	;; [unrolled: 1-line block ×4, first 2 shown]
	v_fma_f64 v[24:25], -v[112:113], v[13:14], v[86:87]
	v_fma_f64 v[15:16], v[88:89], v[13:14], v[15:16]
	v_fma_f64 v[26:27], -v[116:117], v[13:14], v[92:93]
	v_fma_f64 v[28:29], v[114:115], v[13:14], v[94:95]
	v_fma_f64 v[30:31], -v[120:121], v[13:14], v[96:97]
	v_fma_f64 v[80:81], v[118:119], v[13:14], v[80:81]
	v_fma_f64 v[82:83], -v[124:125], v[13:14], v[82:83]
	v_fma_f64 v[86:87], v[122:123], v[13:14], v[11:12]
	global_load_b128 v[11:14], v[90:91], off offset:32
	s_wait_loadcnt 0xc
	v_fma_f64 v[88:89], v[84:85], v[32:33], v[24:25]
	v_fma_f64 v[15:16], v[98:99], v[32:33], v[15:16]
	;; [unrolled: 1-line block ×8, first 2 shown]
	s_clause 0x1
	global_load_b128 v[24:27], v[22:23], off offset:12384
	global_load_b128 v[28:31], v[22:23], off offset:12400
	v_add_co_u32 v22, vcc_lo, 0x4000, v22
	s_wait_alu 0xfffd
	v_add_co_ci_u32_e64 v23, null, 0, v23, vcc_lo
	v_cmp_ge_i64_e32 vcc_lo, v[17:18], v[19:20]
	s_wait_alu 0xfffe
	s_or_b32 s7, vcc_lo, s7
	s_wait_loadcnt 0xd
	v_cvt_f64_f32_e32 v[86:87], v36
	v_cvt_f64_f32_e32 v[36:37], v37
	v_cvt_f64_f32_e32 v[112:113], v38
	v_cvt_f64_f32_e32 v[114:115], v39
	s_wait_loadcnt 0xc
	v_cvt_f64_f32_e32 v[116:117], v40
	v_cvt_f64_f32_e32 v[118:119], v41
	;; [unrolled: 1-line block ×4, first 2 shown]
	global_load_b128 v[38:41], v[90:91], off offset:48
	v_fma_f64 v[88:89], -v[98:99], v[34:35], v[88:89]
	v_fma_f64 v[15:16], v[84:85], v[34:35], v[15:16]
	v_fma_f64 v[84:85], -v[102:103], v[34:35], v[92:93]
	v_fma_f64 v[92:93], v[100:101], v[34:35], v[94:95]
	v_fma_f64 v[94:95], -v[106:107], v[34:35], v[96:97]
	v_fma_f64 v[80:81], v[104:105], v[34:35], v[80:81]
	v_fma_f64 v[82:83], -v[110:111], v[34:35], v[82:83]
	v_fma_f64 v[32:33], v[108:109], v[34:35], v[32:33]
	s_wait_loadcnt 0xc
	v_fma_f64 v[34:35], v[86:87], v[44:45], v[88:89]
	v_fma_f64 v[15:16], v[36:37], v[44:45], v[15:16]
	v_fma_f64 v[84:85], v[112:113], v[44:45], v[84:85]
	v_fma_f64 v[88:89], v[114:115], v[44:45], v[92:93]
	v_fma_f64 v[90:91], v[116:117], v[44:45], v[94:95]
	v_fma_f64 v[80:81], v[118:119], v[44:45], v[80:81]
	v_fma_f64 v[82:83], v[120:121], v[44:45], v[82:83]
	v_fma_f64 v[32:33], v[42:43], v[44:45], v[32:33]
	s_wait_loadcnt 0xb
	v_cvt_f64_f32_e32 v[44:45], v48
	v_cvt_f64_f32_e32 v[48:49], v49
	v_cvt_f64_f32_e32 v[92:93], v50
	v_cvt_f64_f32_e32 v[50:51], v51
	s_wait_loadcnt 0xa
	v_cvt_f64_f32_e32 v[94:95], v52
	v_cvt_f64_f32_e32 v[52:53], v53
	v_cvt_f64_f32_e32 v[96:97], v54
	v_cvt_f64_f32_e32 v[54:55], v55
	v_fma_f64 v[34:35], -v[36:37], v[46:47], v[34:35]
	v_fma_f64 v[15:16], v[86:87], v[46:47], v[15:16]
	v_fma_f64 v[36:37], -v[114:115], v[46:47], v[84:85]
	v_fma_f64 v[84:85], v[112:113], v[46:47], v[88:89]
	v_fma_f64 v[86:87], -v[118:119], v[46:47], v[90:91]
	v_fma_f64 v[80:81], v[116:117], v[46:47], v[80:81]
	v_fma_f64 v[42:43], -v[42:43], v[46:47], v[82:83]
	v_fma_f64 v[32:33], v[120:121], v[46:47], v[32:33]
	s_wait_loadcnt 0x9
	v_fma_f64 v[34:35], v[44:45], v[56:57], v[34:35]
	v_fma_f64 v[15:16], v[48:49], v[56:57], v[15:16]
	v_fma_f64 v[36:37], v[92:93], v[56:57], v[36:37]
	v_fma_f64 v[46:47], v[50:51], v[56:57], v[84:85]
	v_fma_f64 v[82:83], v[94:95], v[56:57], v[86:87]
	v_fma_f64 v[80:81], v[52:53], v[56:57], v[80:81]
	v_fma_f64 v[42:43], v[96:97], v[56:57], v[42:43]
	v_fma_f64 v[32:33], v[54:55], v[56:57], v[32:33]
	s_wait_loadcnt 0x8
	v_cvt_f64_f32_e32 v[56:57], v60
	v_cvt_f64_f32_e32 v[60:61], v61
	v_cvt_f64_f32_e32 v[84:85], v62
	v_cvt_f64_f32_e32 v[62:63], v63
	s_wait_loadcnt 0x7
	v_cvt_f64_f32_e32 v[86:87], v64
	v_cvt_f64_f32_e32 v[64:65], v65
	v_cvt_f64_f32_e32 v[88:89], v66
	v_cvt_f64_f32_e32 v[66:67], v67
	;; [unrolled: 27-line block ×4, first 2 shown]
	v_fma_f64 v[28:29], -v[52:53], v[13:14], v[34:35]
	v_fma_f64 v[15:16], v[50:51], v[13:14], v[15:16]
	v_fma_f64 v[30:31], -v[58:59], v[13:14], v[36:37]
	v_fma_f64 v[34:35], v[54:55], v[13:14], v[44:45]
	;; [unrolled: 2-line block ×4, first 2 shown]
	s_wait_loadcnt 0x0
	v_fma_f64 v[13:14], v[32:33], v[38:39], v[28:29]
	v_fma_f64 v[15:16], v[24:25], v[38:39], v[15:16]
	;; [unrolled: 1-line block ×8, first 2 shown]
	v_fma_f64 v[30:31], -v[24:25], v[40:41], v[13:14]
	v_fma_f64 v[24:25], v[32:33], v[40:41], v[15:16]
	v_fma_f64 v[38:39], -v[26:27], v[40:41], v[28:29]
	v_fma_f64 v[28:29], v[56:57], v[40:41], v[34:35]
	;; [unrolled: 2-line block ×4, first 2 shown]
	s_wait_alu 0xfffe
	s_and_not1_b32 exec_lo, exec_lo, s7
	s_cbranch_execnz .LBB173_31
; %bb.32:
	s_or_b32 exec_lo, exec_lo, s7
.LBB173_33:
	s_wait_alu 0xfffe
	s_or_b32 exec_lo, exec_lo, s6
.LBB173_34:
	s_wait_alu 0xfffe
	s_or_b32 exec_lo, exec_lo, s3
.LBB173_35:
	v_mbcnt_lo_u32_b32 v42, -1, 0
	s_delay_alu instid0(VALU_DEP_1) | instskip(NEXT) | instid1(VALU_DEP_1)
	v_xor_b32_e32 v9, 16, v42
	v_cmp_gt_i32_e32 vcc_lo, 32, v9
	s_wait_alu 0xfffd
	v_cndmask_b32_e32 v9, v42, v9, vcc_lo
	s_delay_alu instid0(VALU_DEP_1)
	v_lshlrev_b32_e32 v41, 2, v9
	ds_bpermute_b32 v22, v41, v26
	ds_bpermute_b32 v23, v41, v27
	s_wait_dscnt 0x0
	v_add_f64_e32 v[22:23], v[26:27], v[22:23]
	v_xor_b32_e32 v26, 8, v42
	s_delay_alu instid0(VALU_DEP_1)
	v_cmp_gt_i32_e32 vcc_lo, 32, v26
	s_wait_alu 0xfffd
	v_cndmask_b32_e32 v26, v42, v26, vcc_lo
	ds_bpermute_b32 v9, v41, v30
	ds_bpermute_b32 v10, v41, v31
	;; [unrolled: 1-line block ×14, first 2 shown]
	s_wait_dscnt 0xc
	v_add_f64_e32 v[9:10], v[30:31], v[9:10]
	s_wait_dscnt 0xa
	v_add_f64_e32 v[11:12], v[24:25], v[11:12]
	;; [unrolled: 2-line block ×7, first 2 shown]
	v_lshlrev_b32_e32 v41, 2, v26
	ds_bpermute_b32 v38, v41, v22
	ds_bpermute_b32 v39, v41, v23
	;; [unrolled: 1-line block ×16, first 2 shown]
	s_wait_dscnt 0xe
	v_add_f64_e32 v[22:23], v[22:23], v[38:39]
	s_wait_dscnt 0xc
	v_add_f64_e32 v[9:10], v[9:10], v[26:27]
	v_xor_b32_e32 v26, 4, v42
	s_wait_dscnt 0xa
	v_add_f64_e32 v[11:12], v[11:12], v[28:29]
	s_wait_dscnt 0x8
	v_add_f64_e32 v[13:14], v[13:14], v[30:31]
	;; [unrolled: 2-line block ×3, first 2 shown]
	v_cmp_gt_i32_e32 vcc_lo, 32, v26
	s_wait_dscnt 0x4
	v_add_f64_e32 v[17:18], v[17:18], v[34:35]
	s_wait_dscnt 0x2
	v_add_f64_e32 v[19:20], v[19:20], v[36:37]
	;; [unrolled: 2-line block ×3, first 2 shown]
	s_wait_alu 0xfffd
	v_cndmask_b32_e32 v26, v42, v26, vcc_lo
	s_delay_alu instid0(VALU_DEP_1)
	v_lshlrev_b32_e32 v41, 2, v26
	ds_bpermute_b32 v38, v41, v22
	ds_bpermute_b32 v39, v41, v23
	;; [unrolled: 1-line block ×16, first 2 shown]
	s_wait_dscnt 0xe
	v_add_f64_e32 v[22:23], v[22:23], v[38:39]
	s_wait_dscnt 0xc
	v_add_f64_e32 v[9:10], v[9:10], v[26:27]
	;; [unrolled: 2-line block ×8, first 2 shown]
	v_xor_b32_e32 v24, 2, v42
	s_delay_alu instid0(VALU_DEP_1) | instskip(SKIP_2) | instid1(VALU_DEP_1)
	v_cmp_gt_i32_e32 vcc_lo, 32, v24
	s_wait_alu 0xfffd
	v_cndmask_b32_e32 v24, v42, v24, vcc_lo
	v_lshlrev_b32_e32 v41, 2, v24
	ds_bpermute_b32 v38, v41, v22
	ds_bpermute_b32 v39, v41, v23
	;; [unrolled: 1-line block ×16, first 2 shown]
	s_wait_dscnt 0xc
	v_add_f64_e32 v[9:10], v[9:10], v[24:25]
	s_wait_dscnt 0xa
	v_add_f64_e32 v[28:29], v[11:12], v[28:29]
	;; [unrolled: 2-line block ×4, first 2 shown]
	v_add_f64_e32 v[15:16], v[22:23], v[38:39]
	s_wait_dscnt 0x4
	v_add_f64_e32 v[13:14], v[17:18], v[34:35]
	v_xor_b32_e32 v22, 1, v42
	s_wait_dscnt 0x2
	v_add_f64_e32 v[19:20], v[19:20], v[36:37]
	s_wait_dscnt 0x0
	v_add_f64_e32 v[17:18], v[26:27], v[40:41]
	v_cmp_gt_i32_e32 vcc_lo, 32, v22
	s_wait_alu 0xfffd
	v_cndmask_b32_e32 v22, v42, v22, vcc_lo
	v_cmp_eq_u32_e32 vcc_lo, 31, v0
	s_delay_alu instid0(VALU_DEP_2)
	v_lshlrev_b32_e32 v35, 2, v22
	ds_bpermute_b32 v22, v35, v9
	ds_bpermute_b32 v23, v35, v10
	;; [unrolled: 1-line block ×16, first 2 shown]
	s_and_b32 exec_lo, exec_lo, vcc_lo
	s_cbranch_execz .LBB173_8
; %bb.36:
	s_wait_dscnt 0xc
	v_add_f64_e32 v[28:29], v[28:29], v[40:41]
	s_wait_dscnt 0x8
	v_add_f64_e32 v[24:25], v[24:25], v[38:39]
	;; [unrolled: 2-line block ×4, first 2 shown]
	v_add_f64_e32 v[9:10], v[9:10], v[22:23]
	v_add_f64_e32 v[11:12], v[11:12], v[26:27]
	v_add_f64_e32 v[22:23], v[13:14], v[30:31]
	v_add_f64_e32 v[26:27], v[15:16], v[32:33]
	v_cmp_eq_f64_e32 vcc_lo, 0, v[1:2]
	v_cmp_eq_f64_e64 s2, 0, v[3:4]
	s_load_b64 s[0:1], s[0:1], 0x60
	v_lshlrev_b32_e32 v21, 2, v21
	v_mul_f64_e64 v[13:14], v[28:29], -v[7:8]
	v_mul_f64_e32 v[15:16], v[5:6], v[28:29]
	v_mul_f64_e64 v[28:29], v[24:25], -v[7:8]
	v_mul_f64_e32 v[24:25], v[5:6], v[24:25]
	;; [unrolled: 2-line block ×4, first 2 shown]
	s_and_b32 s2, vcc_lo, s2
	v_fma_f64 v[17:18], v[5:6], v[9:10], v[13:14]
	v_fma_f64 v[19:20], v[7:8], v[9:10], v[15:16]
	;; [unrolled: 1-line block ×8, first 2 shown]
	s_wait_alu 0xfffe
	s_and_saveexec_b32 s3, s2
	s_wait_alu 0xfffe
	s_xor_b32 s2, exec_lo, s3
	s_cbranch_execz .LBB173_38
; %bb.37:
	v_ashrrev_i32_e32 v22, 31, v21
	s_delay_alu instid0(VALU_DEP_1) | instskip(SKIP_1) | instid1(VALU_DEP_1)
	v_lshlrev_b64_e32 v[0:1], 4, v[21:22]
                                        ; implicit-def: $vgpr21
	s_wait_kmcnt 0x0
	v_add_co_u32 v0, vcc_lo, s0, v0
	s_wait_alu 0xfffd
	s_delay_alu instid0(VALU_DEP_2)
	v_add_co_ci_u32_e64 v1, null, s1, v1, vcc_lo
	s_clause 0x3
	global_store_b128 v[0:1], v[17:20], off
	global_store_b128 v[0:1], v[13:16], off offset:16
	global_store_b128 v[0:1], v[9:12], off offset:32
	;; [unrolled: 1-line block ×3, first 2 shown]
                                        ; implicit-def: $vgpr3_vgpr4
                                        ; implicit-def: $vgpr17_vgpr18
                                        ; implicit-def: $vgpr13_vgpr14
                                        ; implicit-def: $vgpr9_vgpr10
                                        ; implicit-def: $vgpr5_vgpr6
.LBB173_38:
	s_wait_alu 0xfffe
	s_and_not1_saveexec_b32 s2, s2
	s_cbranch_execz .LBB173_8
; %bb.39:
	v_ashrrev_i32_e32 v22, 31, v21
	s_delay_alu instid0(VALU_DEP_1) | instskip(SKIP_1) | instid1(VALU_DEP_1)
	v_lshlrev_b64_e32 v[21:22], 4, v[21:22]
	s_wait_kmcnt 0x0
	v_add_co_u32 v37, vcc_lo, s0, v21
	s_wait_alu 0xfffd
	s_delay_alu instid0(VALU_DEP_2)
	v_add_co_ci_u32_e64 v38, null, s1, v22, vcc_lo
	s_clause 0x3
	global_load_b128 v[21:24], v[37:38], off
	global_load_b128 v[25:28], v[37:38], off offset:16
	global_load_b128 v[29:32], v[37:38], off offset:32
	;; [unrolled: 1-line block ×3, first 2 shown]
	s_wait_loadcnt 0x3
	v_fma_f64 v[17:18], v[1:2], v[21:22], v[17:18]
	v_fma_f64 v[19:20], v[3:4], v[21:22], v[19:20]
	s_wait_loadcnt 0x2
	v_fma_f64 v[13:14], v[1:2], v[25:26], v[13:14]
	v_fma_f64 v[15:16], v[3:4], v[25:26], v[15:16]
	;; [unrolled: 3-line block ×4, first 2 shown]
	v_fma_f64 v[5:6], -v[3:4], v[23:24], v[17:18]
	v_fma_f64 v[7:8], v[1:2], v[23:24], v[19:20]
	v_fma_f64 v[9:10], -v[3:4], v[27:28], v[13:14]
	v_fma_f64 v[11:12], v[1:2], v[27:28], v[15:16]
	;; [unrolled: 2-line block ×4, first 2 shown]
	s_clause 0x3
	global_store_b128 v[37:38], v[5:8], off
	global_store_b128 v[37:38], v[9:12], off offset:16
	global_store_b128 v[37:38], v[13:16], off offset:32
	;; [unrolled: 1-line block ×3, first 2 shown]
	s_nop 0
	s_sendmsg sendmsg(MSG_DEALLOC_VGPRS)
	s_endpgm
	.section	.rodata,"a",@progbits
	.p2align	6, 0x0
	.amdhsa_kernel _ZN9rocsparseL18bsrxmvn_4x4_kernelILj128ELj32E21rocsparse_complex_numIdEliS1_IfES2_S2_EEvT3_20rocsparse_direction_NS_24const_host_device_scalarIT1_EES4_PKS4_PKT2_SD_SA_PKT4_PKT5_S8_PT6_21rocsparse_index_base_b
		.amdhsa_group_segment_fixed_size 0
		.amdhsa_private_segment_fixed_size 0
		.amdhsa_kernarg_size 112
		.amdhsa_user_sgpr_count 2
		.amdhsa_user_sgpr_dispatch_ptr 0
		.amdhsa_user_sgpr_queue_ptr 0
		.amdhsa_user_sgpr_kernarg_segment_ptr 1
		.amdhsa_user_sgpr_dispatch_id 0
		.amdhsa_user_sgpr_private_segment_size 0
		.amdhsa_wavefront_size32 1
		.amdhsa_uses_dynamic_stack 0
		.amdhsa_enable_private_segment 0
		.amdhsa_system_sgpr_workgroup_id_x 1
		.amdhsa_system_sgpr_workgroup_id_y 0
		.amdhsa_system_sgpr_workgroup_id_z 0
		.amdhsa_system_sgpr_workgroup_info 0
		.amdhsa_system_vgpr_workitem_id 0
		.amdhsa_next_free_vgpr 135
		.amdhsa_next_free_sgpr 14
		.amdhsa_reserve_vcc 1
		.amdhsa_float_round_mode_32 0
		.amdhsa_float_round_mode_16_64 0
		.amdhsa_float_denorm_mode_32 3
		.amdhsa_float_denorm_mode_16_64 3
		.amdhsa_fp16_overflow 0
		.amdhsa_workgroup_processor_mode 1
		.amdhsa_memory_ordered 1
		.amdhsa_forward_progress 1
		.amdhsa_inst_pref_size 101
		.amdhsa_round_robin_scheduling 0
		.amdhsa_exception_fp_ieee_invalid_op 0
		.amdhsa_exception_fp_denorm_src 0
		.amdhsa_exception_fp_ieee_div_zero 0
		.amdhsa_exception_fp_ieee_overflow 0
		.amdhsa_exception_fp_ieee_underflow 0
		.amdhsa_exception_fp_ieee_inexact 0
		.amdhsa_exception_int_div_zero 0
	.end_amdhsa_kernel
	.section	.text._ZN9rocsparseL18bsrxmvn_4x4_kernelILj128ELj32E21rocsparse_complex_numIdEliS1_IfES2_S2_EEvT3_20rocsparse_direction_NS_24const_host_device_scalarIT1_EES4_PKS4_PKT2_SD_SA_PKT4_PKT5_S8_PT6_21rocsparse_index_base_b,"axG",@progbits,_ZN9rocsparseL18bsrxmvn_4x4_kernelILj128ELj32E21rocsparse_complex_numIdEliS1_IfES2_S2_EEvT3_20rocsparse_direction_NS_24const_host_device_scalarIT1_EES4_PKS4_PKT2_SD_SA_PKT4_PKT5_S8_PT6_21rocsparse_index_base_b,comdat
.Lfunc_end173:
	.size	_ZN9rocsparseL18bsrxmvn_4x4_kernelILj128ELj32E21rocsparse_complex_numIdEliS1_IfES2_S2_EEvT3_20rocsparse_direction_NS_24const_host_device_scalarIT1_EES4_PKS4_PKT2_SD_SA_PKT4_PKT5_S8_PT6_21rocsparse_index_base_b, .Lfunc_end173-_ZN9rocsparseL18bsrxmvn_4x4_kernelILj128ELj32E21rocsparse_complex_numIdEliS1_IfES2_S2_EEvT3_20rocsparse_direction_NS_24const_host_device_scalarIT1_EES4_PKS4_PKT2_SD_SA_PKT4_PKT5_S8_PT6_21rocsparse_index_base_b
                                        ; -- End function
	.set _ZN9rocsparseL18bsrxmvn_4x4_kernelILj128ELj32E21rocsparse_complex_numIdEliS1_IfES2_S2_EEvT3_20rocsparse_direction_NS_24const_host_device_scalarIT1_EES4_PKS4_PKT2_SD_SA_PKT4_PKT5_S8_PT6_21rocsparse_index_base_b.num_vgpr, 135
	.set _ZN9rocsparseL18bsrxmvn_4x4_kernelILj128ELj32E21rocsparse_complex_numIdEliS1_IfES2_S2_EEvT3_20rocsparse_direction_NS_24const_host_device_scalarIT1_EES4_PKS4_PKT2_SD_SA_PKT4_PKT5_S8_PT6_21rocsparse_index_base_b.num_agpr, 0
	.set _ZN9rocsparseL18bsrxmvn_4x4_kernelILj128ELj32E21rocsparse_complex_numIdEliS1_IfES2_S2_EEvT3_20rocsparse_direction_NS_24const_host_device_scalarIT1_EES4_PKS4_PKT2_SD_SA_PKT4_PKT5_S8_PT6_21rocsparse_index_base_b.numbered_sgpr, 14
	.set _ZN9rocsparseL18bsrxmvn_4x4_kernelILj128ELj32E21rocsparse_complex_numIdEliS1_IfES2_S2_EEvT3_20rocsparse_direction_NS_24const_host_device_scalarIT1_EES4_PKS4_PKT2_SD_SA_PKT4_PKT5_S8_PT6_21rocsparse_index_base_b.num_named_barrier, 0
	.set _ZN9rocsparseL18bsrxmvn_4x4_kernelILj128ELj32E21rocsparse_complex_numIdEliS1_IfES2_S2_EEvT3_20rocsparse_direction_NS_24const_host_device_scalarIT1_EES4_PKS4_PKT2_SD_SA_PKT4_PKT5_S8_PT6_21rocsparse_index_base_b.private_seg_size, 0
	.set _ZN9rocsparseL18bsrxmvn_4x4_kernelILj128ELj32E21rocsparse_complex_numIdEliS1_IfES2_S2_EEvT3_20rocsparse_direction_NS_24const_host_device_scalarIT1_EES4_PKS4_PKT2_SD_SA_PKT4_PKT5_S8_PT6_21rocsparse_index_base_b.uses_vcc, 1
	.set _ZN9rocsparseL18bsrxmvn_4x4_kernelILj128ELj32E21rocsparse_complex_numIdEliS1_IfES2_S2_EEvT3_20rocsparse_direction_NS_24const_host_device_scalarIT1_EES4_PKS4_PKT2_SD_SA_PKT4_PKT5_S8_PT6_21rocsparse_index_base_b.uses_flat_scratch, 0
	.set _ZN9rocsparseL18bsrxmvn_4x4_kernelILj128ELj32E21rocsparse_complex_numIdEliS1_IfES2_S2_EEvT3_20rocsparse_direction_NS_24const_host_device_scalarIT1_EES4_PKS4_PKT2_SD_SA_PKT4_PKT5_S8_PT6_21rocsparse_index_base_b.has_dyn_sized_stack, 0
	.set _ZN9rocsparseL18bsrxmvn_4x4_kernelILj128ELj32E21rocsparse_complex_numIdEliS1_IfES2_S2_EEvT3_20rocsparse_direction_NS_24const_host_device_scalarIT1_EES4_PKS4_PKT2_SD_SA_PKT4_PKT5_S8_PT6_21rocsparse_index_base_b.has_recursion, 0
	.set _ZN9rocsparseL18bsrxmvn_4x4_kernelILj128ELj32E21rocsparse_complex_numIdEliS1_IfES2_S2_EEvT3_20rocsparse_direction_NS_24const_host_device_scalarIT1_EES4_PKS4_PKT2_SD_SA_PKT4_PKT5_S8_PT6_21rocsparse_index_base_b.has_indirect_call, 0
	.section	.AMDGPU.csdata,"",@progbits
; Kernel info:
; codeLenInByte = 12860
; TotalNumSgprs: 16
; NumVgprs: 135
; ScratchSize: 0
; MemoryBound: 0
; FloatMode: 240
; IeeeMode: 1
; LDSByteSize: 0 bytes/workgroup (compile time only)
; SGPRBlocks: 0
; VGPRBlocks: 16
; NumSGPRsForWavesPerEU: 16
; NumVGPRsForWavesPerEU: 135
; Occupancy: 10
; WaveLimiterHint : 1
; COMPUTE_PGM_RSRC2:SCRATCH_EN: 0
; COMPUTE_PGM_RSRC2:USER_SGPR: 2
; COMPUTE_PGM_RSRC2:TRAP_HANDLER: 0
; COMPUTE_PGM_RSRC2:TGID_X_EN: 1
; COMPUTE_PGM_RSRC2:TGID_Y_EN: 0
; COMPUTE_PGM_RSRC2:TGID_Z_EN: 0
; COMPUTE_PGM_RSRC2:TIDIG_COMP_CNT: 0
	.section	.text._ZN9rocsparseL18bsrxmvn_4x4_kernelILj128ELj64E21rocsparse_complex_numIdEliS1_IfES2_S2_EEvT3_20rocsparse_direction_NS_24const_host_device_scalarIT1_EES4_PKS4_PKT2_SD_SA_PKT4_PKT5_S8_PT6_21rocsparse_index_base_b,"axG",@progbits,_ZN9rocsparseL18bsrxmvn_4x4_kernelILj128ELj64E21rocsparse_complex_numIdEliS1_IfES2_S2_EEvT3_20rocsparse_direction_NS_24const_host_device_scalarIT1_EES4_PKS4_PKT2_SD_SA_PKT4_PKT5_S8_PT6_21rocsparse_index_base_b,comdat
	.globl	_ZN9rocsparseL18bsrxmvn_4x4_kernelILj128ELj64E21rocsparse_complex_numIdEliS1_IfES2_S2_EEvT3_20rocsparse_direction_NS_24const_host_device_scalarIT1_EES4_PKS4_PKT2_SD_SA_PKT4_PKT5_S8_PT6_21rocsparse_index_base_b ; -- Begin function _ZN9rocsparseL18bsrxmvn_4x4_kernelILj128ELj64E21rocsparse_complex_numIdEliS1_IfES2_S2_EEvT3_20rocsparse_direction_NS_24const_host_device_scalarIT1_EES4_PKS4_PKT2_SD_SA_PKT4_PKT5_S8_PT6_21rocsparse_index_base_b
	.p2align	8
	.type	_ZN9rocsparseL18bsrxmvn_4x4_kernelILj128ELj64E21rocsparse_complex_numIdEliS1_IfES2_S2_EEvT3_20rocsparse_direction_NS_24const_host_device_scalarIT1_EES4_PKS4_PKT2_SD_SA_PKT4_PKT5_S8_PT6_21rocsparse_index_base_b,@function
_ZN9rocsparseL18bsrxmvn_4x4_kernelILj128ELj64E21rocsparse_complex_numIdEliS1_IfES2_S2_EEvT3_20rocsparse_direction_NS_24const_host_device_scalarIT1_EES4_PKS4_PKT2_SD_SA_PKT4_PKT5_S8_PT6_21rocsparse_index_base_b: ; @_ZN9rocsparseL18bsrxmvn_4x4_kernelILj128ELj64E21rocsparse_complex_numIdEliS1_IfES2_S2_EEvT3_20rocsparse_direction_NS_24const_host_device_scalarIT1_EES4_PKS4_PKT2_SD_SA_PKT4_PKT5_S8_PT6_21rocsparse_index_base_b
; %bb.0:
	s_clause 0x1
	s_load_b64 s[12:13], s[0:1], 0x68
	s_load_b64 s[2:3], s[0:1], 0x8
	s_add_nc_u64 s[4:5], s[0:1], 8
	s_load_b64 s[6:7], s[0:1], 0x50
	s_wait_kmcnt 0x0
	s_bitcmp1_b32 s13, 0
	s_cselect_b32 s2, s4, s2
	s_cselect_b32 s3, s5, s3
	s_delay_alu instid0(SALU_CYCLE_1)
	v_dual_mov_b32 v1, s2 :: v_dual_mov_b32 v2, s3
	s_add_nc_u64 s[2:3], s[0:1], 0x50
	s_wait_alu 0xfffe
	s_cselect_b32 s2, s2, s6
	s_cselect_b32 s3, s3, s7
	flat_load_b128 v[5:8], v[1:2]
	s_wait_alu 0xfffe
	v_dual_mov_b32 v1, s2 :: v_dual_mov_b32 v2, s3
	flat_load_b128 v[1:4], v[1:2]
	s_wait_loadcnt_dscnt 0x101
	v_cmp_eq_f64_e32 vcc_lo, 0, v[5:6]
	v_cmp_eq_f64_e64 s2, 0, v[7:8]
	s_and_b32 s4, vcc_lo, s2
	s_mov_b32 s2, -1
	s_and_saveexec_b32 s3, s4
	s_cbranch_execz .LBB174_2
; %bb.1:
	s_wait_loadcnt_dscnt 0x0
	v_cmp_neq_f64_e32 vcc_lo, 1.0, v[1:2]
	v_cmp_neq_f64_e64 s2, 0, v[3:4]
	s_wait_alu 0xfffe
	s_or_b32 s2, vcc_lo, s2
	s_wait_alu 0xfffe
	s_or_not1_b32 s2, s2, exec_lo
.LBB174_2:
	s_wait_alu 0xfffe
	s_or_b32 exec_lo, exec_lo, s3
	s_and_saveexec_b32 s3, s2
	s_cbranch_execz .LBB174_8
; %bb.3:
	s_clause 0x1
	s_load_b64 s[4:5], s[0:1], 0x20
	s_load_b64 s[2:3], s[0:1], 0x0
	v_lshrrev_b32_e32 v9, 6, v0
	s_delay_alu instid0(VALU_DEP_1)
	v_lshl_or_b32 v21, ttmp9, 1, v9
	s_wait_kmcnt 0x0
	s_cmp_lg_u64 s[4:5], 0
	s_cbranch_scc0 .LBB174_9
; %bb.4:
	s_load_b32 s6, s[0:1], 0x18
	s_mov_b32 s7, 0
                                        ; implicit-def: $vgpr9
	s_wait_kmcnt 0x0
	v_cmp_gt_i32_e32 vcc_lo, s6, v21
	s_mov_b32 s6, 0
	s_and_saveexec_b32 s8, vcc_lo
	s_delay_alu instid0(SALU_CYCLE_1)
	s_xor_b32 s8, exec_lo, s8
	s_cbranch_execz .LBB174_6
; %bb.5:
	v_ashrrev_i32_e32 v22, 31, v21
	s_mov_b32 s6, exec_lo
	s_delay_alu instid0(VALU_DEP_1) | instskip(NEXT) | instid1(VALU_DEP_1)
	v_lshlrev_b64_e32 v[9:10], 2, v[21:22]
	v_add_co_u32 v9, vcc_lo, s4, v9
	s_delay_alu instid0(VALU_DEP_1)
	v_add_co_ci_u32_e64 v10, null, s5, v10, vcc_lo
	global_load_b32 v9, v[9:10], off
	s_wait_loadcnt 0x0
	v_subrev_nc_u32_e32 v9, s12, v9
.LBB174_6:
	s_or_b32 exec_lo, exec_lo, s8
	s_delay_alu instid0(SALU_CYCLE_1)
	s_and_b32 vcc_lo, exec_lo, s7
	s_wait_alu 0xfffe
	s_cbranch_vccz .LBB174_10
.LBB174_7:
	v_cmp_gt_i32_e32 vcc_lo, s2, v21
	s_and_not1_b32 s2, s6, exec_lo
	s_and_b32 s4, vcc_lo, exec_lo
	s_wait_alu 0xfffe
	s_or_b32 s6, s2, s4
	s_wait_alu 0xfffe
	s_and_b32 exec_lo, exec_lo, s6
	s_cbranch_execnz .LBB174_11
.LBB174_8:
	s_nop 0
	s_sendmsg sendmsg(MSG_DEALLOC_VGPRS)
	s_endpgm
.LBB174_9:
	s_mov_b32 s6, 0
                                        ; implicit-def: $vgpr9
	s_cbranch_execnz .LBB174_7
.LBB174_10:
	v_mov_b32_e32 v21, v9
	s_and_b32 exec_lo, exec_lo, s6
	s_cbranch_execz .LBB174_8
.LBB174_11:
	s_load_b256 s[4:11], s[0:1], 0x28
	s_delay_alu instid0(VALU_DEP_1) | instskip(SKIP_1) | instid1(VALU_DEP_2)
	v_ashrrev_i32_e32 v22, 31, v21
	v_and_b32_e32 v0, 63, v0
	v_lshlrev_b64_e32 v[9:10], 3, v[21:22]
	s_wait_kmcnt 0x0
	s_delay_alu instid0(VALU_DEP_1) | instskip(SKIP_1) | instid1(VALU_DEP_2)
	v_add_co_u32 v11, vcc_lo, s4, v9
	s_wait_alu 0xfffd
	v_add_co_ci_u32_e64 v12, null, s5, v10, vcc_lo
	v_add_co_u32 v9, vcc_lo, s6, v9
	s_wait_alu 0xfffd
	v_add_co_ci_u32_e64 v10, null, s7, v10, vcc_lo
	;; [unrolled: 3-line block ×3, first 2 shown]
	global_load_b64 v[40:41], v[11:12], off
	s_cmp_eq_u64 s[6:7], 0
	s_load_b64 s[4:5], s[0:1], 0x48
	s_cselect_b32 vcc_lo, -1, 0
	s_cmp_eq_u32 s3, 1
	s_wait_alu 0xfffe
	v_dual_cndmask_b32 v10, v10, v14 :: v_dual_cndmask_b32 v9, v9, v13
	global_load_b64 v[9:10], v[9:10], off
	s_wait_loadcnt 0x1
	v_sub_co_u32 v11, vcc_lo, v40, s12
	s_wait_alu 0xfffd
	v_subrev_co_ci_u32_e64 v12, null, 0, v41, vcc_lo
	s_delay_alu instid0(VALU_DEP_2) | instskip(SKIP_1) | instid1(VALU_DEP_2)
	v_add_co_u32 v17, vcc_lo, v11, v0
	s_wait_alu 0xfffd
	v_add_co_ci_u32_e64 v18, null, 0, v12, vcc_lo
	s_wait_loadcnt 0x0
	v_sub_co_u32 v19, vcc_lo, v9, s12
	s_wait_alu 0xfffd
	v_subrev_co_ci_u32_e64 v20, null, 0, v10, vcc_lo
	v_lshlrev_b64_e32 v[9:10], 7, v[17:18]
	s_delay_alu instid0(VALU_DEP_2) | instskip(NEXT) | instid1(VALU_DEP_2)
	v_cmp_lt_i64_e64 s2, v[17:18], v[19:20]
	v_add_co_u32 v22, vcc_lo, s10, v9
	s_wait_alu 0xfffd
	s_delay_alu instid0(VALU_DEP_3)
	v_add_co_ci_u32_e64 v23, null, s11, v10, vcc_lo
	s_cbranch_scc1 .LBB174_23
; %bb.12:
	v_mov_b32_e32 v24, 0
	v_mov_b32_e32 v28, 0
	;; [unrolled: 1-line block ×3, first 2 shown]
	v_dual_mov_b32 v32, 0 :: v_dual_mov_b32 v25, 0
	v_dual_mov_b32 v30, 0 :: v_dual_mov_b32 v29, 0
	v_dual_mov_b32 v38, 0 :: v_dual_mov_b32 v35, 0
	v_dual_mov_b32 v36, 0 :: v_dual_mov_b32 v33, 0
	v_dual_mov_b32 v26, 0 :: v_dual_mov_b32 v31, 0
	v_mov_b32_e32 v39, 0
	v_mov_b32_e32 v37, 0
	;; [unrolled: 1-line block ×3, first 2 shown]
	s_and_saveexec_b32 s6, s2
	s_cbranch_execz .LBB174_22
; %bb.13:
	v_or_b32_e32 v9, 64, v0
	v_not_b32_e32 v13, v40
	v_not_b32_e32 v11, v41
	v_mov_b32_e32 v38, 0
	v_mov_b32_e32 v30, 0
	v_sub_co_u32 v9, s3, v9, s12
	s_wait_alu 0xf1ff
	v_sub_co_ci_u32_e64 v10, null, 0, 0, s3
	v_sub_co_u32 v14, s3, s12, v0
	s_delay_alu instid0(VALU_DEP_3) | instskip(SKIP_1) | instid1(VALU_DEP_3)
	v_add_co_u32 v9, vcc_lo, v9, v40
	s_wait_alu 0xfffd
	v_add_co_ci_u32_e64 v10, null, v10, v41, vcc_lo
	s_wait_alu 0xf1ff
	v_sub_co_ci_u32_e64 v15, null, 0, 0, s3
	v_add_co_u32 v13, s3, v14, v13
	s_delay_alu instid0(VALU_DEP_3)
	v_cmp_gt_i64_e32 vcc_lo, v[9:10], v[19:20]
	v_mov_b32_e32 v26, 0
	s_wait_alu 0xf1ff
	v_add_co_ci_u32_e64 v11, null, v15, v11, s3
	v_mov_b32_e32 v32, 0
	s_wait_alu 0xfffd
	v_dual_mov_b32 v36, 0 :: v_dual_cndmask_b32 v9, v19, v9
	v_dual_cndmask_b32 v10, v20, v10 :: v_dual_mov_b32 v33, 0
	v_dual_mov_b32 v39, 0 :: v_dual_mov_b32 v28, 0
	s_delay_alu instid0(VALU_DEP_3)
	v_add_co_u32 v9, vcc_lo, v13, v9
	v_dual_mov_b32 v34, 0 :: v_dual_mov_b32 v31, 0
	v_mov_b32_e32 v24, 0
	v_dual_mov_b32 v12, 0 :: v_dual_mov_b32 v27, 0
	v_mov_b32_e32 v37, 0
	v_mov_b32_e32 v35, 0
	s_wait_alu 0xfffd
	v_add_co_ci_u32_e64 v10, null, v11, v10, vcc_lo
	v_and_b32_e32 v11, 0xc0, v9
	v_mov_b32_e32 v29, 0
	v_mov_b32_e32 v25, 0
	v_dual_mov_b32 v45, v23 :: v_dual_mov_b32 v44, v22
	v_dual_mov_b32 v43, v18 :: v_dual_mov_b32 v42, v17
	s_mov_b32 s7, exec_lo
	v_cmpx_ne_u64_e32 0xc0, v[11:12]
	s_cbranch_execz .LBB174_17
; %bb.14:
	v_lshrrev_b32_e32 v13, 6, v9
	v_lshlrev_b64_e32 v[11:12], 2, v[17:18]
	v_dual_mov_b32 v43, v18 :: v_dual_mov_b32 v30, 0
	v_dual_mov_b32 v31, 0 :: v_dual_mov_b32 v28, 0
	s_delay_alu instid0(VALU_DEP_4) | instskip(SKIP_2) | instid1(VALU_DEP_3)
	v_dual_mov_b32 v24, 0 :: v_dual_add_nc_u32 v13, 1, v13
	v_dual_mov_b32 v29, 0 :: v_dual_mov_b32 v38, 0
	v_add_co_u32 v11, vcc_lo, s8, v11
	v_dual_mov_b32 v34, 0 :: v_dual_and_b32 v13, 3, v13
	v_dual_mov_b32 v39, 0 :: v_dual_mov_b32 v36, 0
	v_dual_mov_b32 v35, 0 :: v_dual_mov_b32 v32, 0
	s_delay_alu instid0(VALU_DEP_3)
	v_sub_co_u32 v13, s3, 0, v13
	v_dual_mov_b32 v37, 0 :: v_dual_mov_b32 v26, 0
	v_mov_b32_e32 v45, v23
	v_dual_mov_b32 v25, 0 :: v_dual_mov_b32 v42, v17
	s_wait_alu 0xfffd
	v_add_co_ci_u32_e64 v12, null, s9, v12, vcc_lo
	s_wait_alu 0xf1ff
	v_sub_co_ci_u32_e64 v14, null, 0, 0, s3
	v_dual_mov_b32 v33, 0 :: v_dual_mov_b32 v44, v22
	v_mov_b32_e32 v27, 0
	s_mov_b32 s10, 0
.LBB174_15:                             ; =>This Inner Loop Header: Depth=1
	global_load_b32 v15, v[11:12], off
	s_clause 0x7
	global_load_b128 v[46:49], v[44:45], off
	global_load_b128 v[50:53], v[44:45], off offset:32
	global_load_b128 v[54:57], v[44:45], off offset:64
	;; [unrolled: 1-line block ×7, first 2 shown]
	v_add_co_u32 v11, s3, 0x100, v11
	s_wait_alu 0xf1ff
	v_add_co_ci_u32_e64 v12, null, 0, v12, s3
	s_wait_loadcnt 0x8
	v_subrev_nc_u32_e32 v15, s12, v15
	s_wait_loadcnt 0x6
	v_cvt_f64_f32_e32 v[94:95], v50
	v_cvt_f64_f32_e32 v[50:51], v51
	s_wait_loadcnt 0x5
	v_cvt_f64_f32_e32 v[96:97], v54
	v_lshlrev_b32_e32 v15, 2, v15
	v_cvt_f64_f32_e32 v[54:55], v55
	s_wait_loadcnt 0x3
	v_cvt_f64_f32_e32 v[98:99], v62
	v_cvt_f64_f32_e32 v[62:63], v63
	;; [unrolled: 1-line block ×3, first 2 shown]
	v_ashrrev_i32_e32 v16, 31, v15
	v_cvt_f64_f32_e32 v[52:53], v53
	v_cvt_f64_f32_e32 v[102:103], v56
	;; [unrolled: 1-line block ×4, first 2 shown]
	v_lshlrev_b64_e32 v[15:16], 4, v[15:16]
	v_cvt_f64_f32_e32 v[64:65], v65
	s_wait_kmcnt 0x0
	s_delay_alu instid0(VALU_DEP_2) | instskip(SKIP_1) | instid1(VALU_DEP_3)
	v_add_co_u32 v15, vcc_lo, s4, v15
	s_wait_alu 0xfffd
	v_add_co_ci_u32_e64 v16, null, s5, v16, vcc_lo
	v_add_co_u32 v44, vcc_lo, 0x2000, v44
	s_wait_alu 0xfffd
	v_add_co_ci_u32_e64 v45, null, 0, v45, vcc_lo
	s_clause 0x3
	global_load_b128 v[78:81], v[15:16], off
	global_load_b128 v[82:85], v[15:16], off offset:16
	global_load_b128 v[86:89], v[15:16], off offset:32
	;; [unrolled: 1-line block ×3, first 2 shown]
	v_cvt_f64_f32_e32 v[15:16], v46
	v_cvt_f64_f32_e32 v[46:47], v47
	v_add_co_u32 v13, vcc_lo, v13, 1
	s_wait_alu 0xfffd
	v_add_co_ci_u32_e64 v14, null, 0, v14, vcc_lo
	v_add_co_u32 v42, vcc_lo, v42, 64
	s_wait_alu 0xfffd
	v_add_co_ci_u32_e64 v43, null, 0, v43, vcc_lo
	s_delay_alu instid0(VALU_DEP_3)
	v_cmp_eq_u64_e32 vcc_lo, 0, v[13:14]
	s_wait_alu 0xfffe
	s_or_b32 s10, vcc_lo, s10
	s_wait_loadcnt 0x3
	v_fma_f64 v[30:31], v[15:16], v[78:79], v[30:31]
	v_fma_f64 v[24:25], v[46:47], v[78:79], v[24:25]
	v_fma_f64 v[38:39], v[94:95], v[78:79], v[38:39]
	v_fma_f64 v[28:29], v[50:51], v[78:79], v[28:29]
	v_fma_f64 v[36:37], v[96:97], v[78:79], v[36:37]
	v_fma_f64 v[34:35], v[54:55], v[78:79], v[34:35]
	v_fma_f64 v[26:27], v[98:99], v[78:79], v[26:27]
	v_fma_f64 v[32:33], v[62:63], v[78:79], v[32:33]
	v_cvt_f64_f32_e32 v[78:79], v48
	v_cvt_f64_f32_e32 v[48:49], v49
	v_fma_f64 v[30:31], -v[46:47], v[80:81], v[30:31]
	v_fma_f64 v[15:16], v[15:16], v[80:81], v[24:25]
	v_fma_f64 v[24:25], -v[50:51], v[80:81], v[38:39]
	v_fma_f64 v[28:29], v[94:95], v[80:81], v[28:29]
	v_fma_f64 v[36:37], -v[54:55], v[80:81], v[36:37]
	v_fma_f64 v[34:35], v[96:97], v[80:81], v[34:35]
	v_fma_f64 v[26:27], -v[62:63], v[80:81], v[26:27]
	v_fma_f64 v[32:33], v[98:99], v[80:81], v[32:33]
	v_cvt_f64_f32_e32 v[38:39], v66
	v_cvt_f64_f32_e32 v[46:47], v67
	;; [unrolled: 1-line block ×10, first 2 shown]
	s_wait_loadcnt 0x2
	v_fma_f64 v[30:31], v[78:79], v[82:83], v[30:31]
	v_fma_f64 v[15:16], v[48:49], v[82:83], v[15:16]
	v_fma_f64 v[24:25], v[100:101], v[82:83], v[24:25]
	v_fma_f64 v[28:29], v[52:53], v[82:83], v[28:29]
	v_fma_f64 v[36:37], v[102:103], v[82:83], v[36:37]
	v_fma_f64 v[34:35], v[56:57], v[82:83], v[34:35]
	v_fma_f64 v[26:27], v[104:105], v[82:83], v[26:27]
	v_fma_f64 v[32:33], v[64:65], v[82:83], v[32:33]
	v_fma_f64 v[30:31], -v[48:49], v[84:85], v[30:31]
	v_fma_f64 v[15:16], v[78:79], v[84:85], v[15:16]
	v_fma_f64 v[24:25], -v[52:53], v[84:85], v[24:25]
	v_fma_f64 v[28:29], v[100:101], v[84:85], v[28:29]
	;; [unrolled: 2-line block ×4, first 2 shown]
	v_cvt_f64_f32_e32 v[48:49], v68
	v_cvt_f64_f32_e32 v[52:53], v69
	;; [unrolled: 1-line block ×6, first 2 shown]
	s_wait_loadcnt 0x1
	v_fma_f64 v[30:31], v[38:39], v[86:87], v[30:31]
	v_fma_f64 v[15:16], v[46:47], v[86:87], v[15:16]
	v_fma_f64 v[24:25], v[50:51], v[86:87], v[24:25]
	v_fma_f64 v[28:29], v[54:55], v[86:87], v[28:29]
	v_fma_f64 v[36:37], v[58:59], v[86:87], v[36:37]
	v_fma_f64 v[34:35], v[62:63], v[86:87], v[34:35]
	v_fma_f64 v[26:27], v[66:67], v[86:87], v[26:27]
	v_fma_f64 v[32:33], v[70:71], v[86:87], v[32:33]
	v_fma_f64 v[30:31], -v[46:47], v[88:89], v[30:31]
	v_fma_f64 v[15:16], v[38:39], v[88:89], v[15:16]
	v_fma_f64 v[24:25], -v[54:55], v[88:89], v[24:25]
	v_fma_f64 v[28:29], v[50:51], v[88:89], v[28:29]
	;; [unrolled: 2-line block ×4, first 2 shown]
	s_wait_loadcnt 0x0
	v_fma_f64 v[30:31], v[48:49], v[90:91], v[30:31]
	v_fma_f64 v[15:16], v[52:53], v[90:91], v[15:16]
	;; [unrolled: 1-line block ×8, first 2 shown]
	v_fma_f64 v[30:31], -v[52:53], v[92:93], v[30:31]
	v_fma_f64 v[24:25], v[48:49], v[92:93], v[15:16]
	v_fma_f64 v[38:39], -v[60:61], v[92:93], v[38:39]
	v_fma_f64 v[28:29], v[56:57], v[92:93], v[28:29]
	;; [unrolled: 2-line block ×4, first 2 shown]
	s_wait_alu 0xfffe
	s_and_not1_b32 exec_lo, exec_lo, s10
	s_cbranch_execnz .LBB174_15
; %bb.16:
	s_or_b32 exec_lo, exec_lo, s10
.LBB174_17:
	s_wait_alu 0xfffe
	s_or_b32 exec_lo, exec_lo, s7
	s_delay_alu instid0(SALU_CYCLE_1)
	s_mov_b32 s7, exec_lo
	v_cmpx_lt_u64_e32 0xbf, v[9:10]
	s_cbranch_execz .LBB174_21
; %bb.18:
	v_lshlrev_b64_e32 v[9:10], 2, v[42:43]
	s_mov_b32 s10, 0
	s_delay_alu instid0(VALU_DEP_1) | instskip(SKIP_1) | instid1(VALU_DEP_2)
	v_add_co_u32 v9, vcc_lo, s8, v9
	s_wait_alu 0xfffd
	v_add_co_ci_u32_e64 v10, null, s9, v10, vcc_lo
	s_delay_alu instid0(VALU_DEP_2) | instskip(SKIP_1) | instid1(VALU_DEP_2)
	v_add_co_u32 v46, vcc_lo, 0x200, v9
	s_wait_alu 0xfffd
	v_add_co_ci_u32_e64 v47, null, 0, v10, vcc_lo
.LBB174_19:                             ; =>This Inner Loop Header: Depth=1
	global_load_b32 v48, v[46:47], off offset:-512
	s_clause 0x1
	global_load_b128 v[13:16], v[44:45], off
	global_load_b128 v[9:12], v[44:45], off offset:32
	global_load_b32 v105, v[46:47], off offset:-256
	s_clause 0x1
	global_load_b128 v[49:52], v[44:45], off offset:64
	global_load_b128 v[53:56], v[44:45], off offset:96
	s_clause 0x1
	global_load_b32 v133, v[46:47], off
	global_load_b32 v134, v[46:47], off offset:256
	v_add_co_u32 v46, s3, 0x400, v46
	s_wait_alu 0xf1ff
	v_add_co_ci_u32_e64 v47, null, 0, v47, s3
	s_wait_loadcnt 0x7
	v_subrev_nc_u32_e32 v48, s12, v48
	s_wait_loadcnt 0x6
	v_cvt_f64_f32_e32 v[109:110], v13
	v_cvt_f64_f32_e32 v[13:14], v14
	s_wait_loadcnt 0x4
	v_subrev_nc_u32_e32 v105, s12, v105
	v_cvt_f64_f32_e32 v[111:112], v9
	v_lshlrev_b32_e32 v57, 2, v48
	v_cvt_f64_f32_e32 v[9:10], v10
	s_wait_loadcnt 0x3
	v_cvt_f64_f32_e32 v[48:49], v49
	v_lshlrev_b32_e32 v105, 2, v105
	v_cvt_f64_f32_e32 v[113:114], v50
	v_ashrrev_i32_e32 v58, 31, v57
	s_wait_loadcnt 0x2
	v_cvt_f64_f32_e32 v[115:116], v53
	v_cvt_f64_f32_e32 v[53:54], v54
	v_ashrrev_i32_e32 v106, 31, v105
	v_cvt_f64_f32_e32 v[119:120], v16
	v_lshlrev_b64_e32 v[57:58], 4, v[57:58]
	v_cvt_f64_f32_e32 v[121:122], v11
	v_cvt_f64_f32_e32 v[123:124], v12
	v_lshlrev_b64_e32 v[105:106], 4, v[105:106]
	v_cvt_f64_f32_e32 v[50:51], v51
	v_cvt_f64_f32_e32 v[125:126], v52
	s_wait_kmcnt 0x0
	v_add_co_u32 v85, vcc_lo, s4, v57
	s_wait_alu 0xfffd
	v_add_co_ci_u32_e64 v86, null, s5, v58, vcc_lo
	v_add_co_u32 v117, vcc_lo, s4, v105
	s_wait_alu 0xfffd
	v_add_co_ci_u32_e64 v118, null, s5, v106, vcc_lo
	s_clause 0x1
	global_load_b128 v[57:60], v[85:86], off
	global_load_b128 v[61:64], v[85:86], off offset:16
	s_clause 0x3
	global_load_b128 v[65:68], v[44:45], off offset:16
	global_load_b128 v[69:72], v[44:45], off offset:48
	;; [unrolled: 1-line block ×4, first 2 shown]
	s_clause 0x1
	global_load_b128 v[81:84], v[85:86], off offset:32
	global_load_b128 v[85:88], v[85:86], off offset:48
	s_clause 0x3
	global_load_b128 v[89:92], v[44:45], off offset:8192
	global_load_b128 v[93:96], v[44:45], off offset:8224
	;; [unrolled: 1-line block ×4, first 2 shown]
	v_cvt_f64_f32_e32 v[127:128], v55
	v_cvt_f64_f32_e32 v[55:56], v56
	global_load_b128 v[105:108], v[117:118], off
	s_wait_loadcnt 0xc
	v_fma_f64 v[30:31], v[109:110], v[57:58], v[30:31]
	v_fma_f64 v[24:25], v[13:14], v[57:58], v[24:25]
	;; [unrolled: 1-line block ×8, first 2 shown]
	v_cvt_f64_f32_e32 v[57:58], v15
	s_wait_loadcnt 0x8
	v_cvt_f64_f32_e32 v[129:130], v73
	v_cvt_f64_f32_e32 v[73:74], v74
	s_wait_loadcnt 0x7
	v_cvt_f64_f32_e32 v[131:132], v77
	v_cvt_f64_f32_e32 v[77:78], v78
	v_fma_f64 v[13:14], -v[13:14], v[59:60], v[30:31]
	v_fma_f64 v[15:16], v[109:110], v[59:60], v[24:25]
	v_fma_f64 v[24:25], -v[9:10], v[59:60], v[38:39]
	v_fma_f64 v[28:29], v[111:112], v[59:60], v[28:29]
	v_fma_f64 v[30:31], -v[113:114], v[59:60], v[36:37]
	v_fma_f64 v[34:35], v[48:49], v[59:60], v[34:35]
	v_fma_f64 v[26:27], -v[53:54], v[59:60], v[26:27]
	v_fma_f64 v[32:33], v[115:116], v[59:60], v[32:33]
	global_load_b128 v[9:12], v[117:118], off offset:16
	v_cvt_f64_f32_e32 v[113:114], v65
	v_cvt_f64_f32_e32 v[65:66], v66
	;; [unrolled: 1-line block ×4, first 2 shown]
	v_fma_f64 v[36:37], v[57:58], v[61:62], v[13:14]
	v_fma_f64 v[38:39], v[119:120], v[61:62], v[15:16]
	;; [unrolled: 1-line block ×8, first 2 shown]
	s_clause 0x3
	global_load_b128 v[13:16], v[44:45], off offset:8208
	global_load_b128 v[24:27], v[44:45], off offset:8240
	;; [unrolled: 1-line block ×4, first 2 shown]
	v_fma_f64 v[119:120], -v[119:120], v[63:64], v[36:37]
	v_fma_f64 v[57:58], v[57:58], v[63:64], v[38:39]
	v_fma_f64 v[48:49], -v[123:124], v[63:64], v[48:49]
	v_fma_f64 v[52:53], v[121:122], v[63:64], v[52:53]
	;; [unrolled: 2-line block ×4, first 2 shown]
	global_load_b128 v[36:39], v[117:118], off offset:32
	v_cvt_f64_f32_e32 v[109:110], v68
	v_cvt_f64_f32_e32 v[111:112], v71
	;; [unrolled: 1-line block ×5, first 2 shown]
	s_wait_loadcnt 0xa
	v_cvt_f64_f32_e32 v[123:124], v89
	v_cvt_f64_f32_e32 v[89:90], v90
	s_wait_loadcnt 0x9
	v_cvt_f64_f32_e32 v[125:126], v93
	v_cvt_f64_f32_e32 v[93:94], v94
	;; [unrolled: 3-line block ×3, first 2 shown]
	v_fma_f64 v[63:64], v[113:114], v[81:82], v[119:120]
	v_fma_f64 v[56:57], v[65:66], v[81:82], v[57:58]
	;; [unrolled: 1-line block ×8, first 2 shown]
	v_cvt_f64_f32_e32 v[81:82], v67
	v_cvt_f64_f32_e32 v[119:120], v75
	v_cvt_f64_f32_e32 v[75:76], v76
	v_fma_f64 v[62:63], -v[65:66], v[83:84], v[63:64]
	v_fma_f64 v[56:57], v[113:114], v[83:84], v[56:57]
	v_fma_f64 v[64:65], -v[69:70], v[83:84], v[48:49]
	v_fma_f64 v[52:53], v[115:116], v[83:84], v[52:53]
	;; [unrolled: 2-line block ×4, first 2 shown]
	global_load_b128 v[48:51], v[117:118], off offset:48
	v_subrev_nc_u32_e32 v70, s12, v133
	s_wait_loadcnt 0x8
	v_cvt_f64_f32_e32 v[129:130], v101
	v_cvt_f64_f32_e32 v[101:102], v102
	s_delay_alu instid0(VALU_DEP_3)
	v_lshlrev_b32_e32 v70, 2, v70
	v_fma_f64 v[68:69], v[81:82], v[85:86], v[62:63]
	v_fma_f64 v[73:74], v[109:110], v[85:86], v[56:57]
	;; [unrolled: 1-line block ×8, first 2 shown]
	s_clause 0x3
	global_load_b128 v[52:55], v[44:45], off offset:16384
	global_load_b128 v[56:59], v[44:45], off offset:16416
	;; [unrolled: 1-line block ×4, first 2 shown]
	v_fma_f64 v[109:110], -v[109:110], v[87:88], v[68:69]
	v_fma_f64 v[73:74], v[81:82], v[87:88], v[73:74]
	v_fma_f64 v[77:78], -v[71:72], v[87:88], v[77:78]
	v_fma_f64 v[81:82], v[111:112], v[87:88], v[83:84]
	v_fma_f64 v[75:76], -v[75:76], v[87:88], v[113:114]
	v_fma_f64 v[83:84], v[119:120], v[87:88], v[115:116]
	v_fma_f64 v[79:80], -v[79:80], v[87:88], v[117:118]
	v_fma_f64 v[85:86], v[121:122], v[87:88], v[85:86]
	v_ashrrev_i32_e32 v71, 31, v70
	v_cvt_f64_f32_e32 v[113:114], v95
	v_cvt_f64_f32_e32 v[95:96], v96
	;; [unrolled: 1-line block ×4, first 2 shown]
	v_lshlrev_b64_e32 v[68:69], 4, v[70:71]
	v_cvt_f64_f32_e32 v[117:118], v103
	v_cvt_f64_f32_e32 v[103:104], v104
	s_delay_alu instid0(VALU_DEP_3) | instskip(SKIP_1) | instid1(VALU_DEP_4)
	v_add_co_u32 v111, vcc_lo, s4, v68
	s_wait_alu 0xfffd
	v_add_co_ci_u32_e64 v112, null, s5, v69, vcc_lo
	global_load_b128 v[68:71], v[111:112], off
	s_wait_loadcnt 0xc
	v_fma_f64 v[87:88], v[123:124], v[105:106], v[109:110]
	v_fma_f64 v[72:73], v[89:90], v[105:106], v[73:74]
	;; [unrolled: 1-line block ×8, first 2 shown]
	v_cvt_f64_f32_e32 v[105:106], v91
	v_cvt_f64_f32_e32 v[109:110], v92
	v_fma_f64 v[87:88], -v[89:90], v[107:108], v[87:88]
	v_fma_f64 v[89:90], v[123:124], v[107:108], v[72:73]
	v_fma_f64 v[76:77], -v[93:94], v[107:108], v[77:78]
	v_fma_f64 v[81:82], v[125:126], v[107:108], v[81:82]
	;; [unrolled: 2-line block ×4, first 2 shown]
	global_load_b128 v[72:75], v[111:112], off offset:16
	s_wait_loadcnt 0xc
	v_fma_f64 v[93:94], v[105:106], v[9:10], v[87:88]
	v_fma_f64 v[97:98], v[109:110], v[9:10], v[89:90]
	;; [unrolled: 1-line block ×8, first 2 shown]
	s_clause 0x3
	global_load_b128 v[76:79], v[44:45], off offset:16400
	global_load_b128 v[80:83], v[44:45], off offset:16432
	;; [unrolled: 1-line block ×4, first 2 shown]
	s_wait_loadcnt 0xf
	v_cvt_f64_f32_e32 v[125:126], v13
	v_cvt_f64_f32_e32 v[13:14], v14
	s_wait_loadcnt 0xe
	v_cvt_f64_f32_e32 v[127:128], v24
	v_cvt_f64_f32_e32 v[24:25], v25
	;; [unrolled: 3-line block ×4, first 2 shown]
	v_fma_f64 v[92:93], -v[109:110], v[11:12], v[93:94]
	v_fma_f64 v[97:98], v[105:106], v[11:12], v[97:98]
	v_fma_f64 v[94:95], -v[95:96], v[11:12], v[101:102]
	v_fma_f64 v[101:102], v[113:114], v[11:12], v[107:108]
	;; [unrolled: 2-line block ×4, first 2 shown]
	global_load_b128 v[9:12], v[111:112], off offset:32
	v_cvt_f64_f32_e32 v[109:110], v16
	v_cvt_f64_f32_e32 v[113:114], v26
	;; [unrolled: 1-line block ×7, first 2 shown]
	s_wait_loadcnt 0xc
	v_fma_f64 v[92:93], v[125:126], v[36:37], v[92:93]
	v_fma_f64 v[96:97], v[13:14], v[36:37], v[97:98]
	;; [unrolled: 1-line block ×8, first 2 shown]
	v_cvt_f64_f32_e32 v[107:108], v15
	v_fma_f64 v[26:27], -v[13:14], v[38:39], v[92:93]
	v_fma_f64 v[30:31], v[125:126], v[38:39], v[96:97]
	v_fma_f64 v[24:25], -v[24:25], v[38:39], v[94:95]
	v_fma_f64 v[34:35], v[127:128], v[38:39], v[101:102]
	;; [unrolled: 2-line block ×4, first 2 shown]
	global_load_b128 v[13:16], v[111:112], off offset:48
	v_subrev_nc_u32_e32 v106, s12, v134
	s_delay_alu instid0(VALU_DEP_1)
	v_lshlrev_b32_e32 v106, 2, v106
	s_wait_loadcnt 0xc
	v_fma_f64 v[94:95], v[107:108], v[48:49], v[26:27]
	v_fma_f64 v[96:97], v[109:110], v[48:49], v[30:31]
	v_fma_f64 v[98:99], v[113:114], v[48:49], v[24:25]
	v_fma_f64 v[100:101], v[115:116], v[48:49], v[34:35]
	v_fma_f64 v[102:103], v[117:118], v[48:49], v[28:29]
	v_fma_f64 v[92:93], v[119:120], v[48:49], v[92:93]
	v_fma_f64 v[104:105], v[121:122], v[48:49], v[32:33]
	v_fma_f64 v[48:49], v[123:124], v[48:49], v[36:37]
	s_clause 0x3
	global_load_b128 v[24:27], v[44:45], off offset:24576
	global_load_b128 v[28:31], v[44:45], off offset:24608
	;; [unrolled: 1-line block ×4, first 2 shown]
	s_wait_loadcnt 0xf
	v_cvt_f64_f32_e32 v[111:112], v52
	v_cvt_f64_f32_e32 v[52:53], v53
	s_wait_loadcnt 0xe
	v_cvt_f64_f32_e32 v[125:126], v56
	v_cvt_f64_f32_e32 v[56:57], v57
	;; [unrolled: 3-line block ×4, first 2 shown]
	v_cvt_f64_f32_e32 v[131:132], v67
	v_fma_f64 v[94:95], -v[109:110], v[50:51], v[94:95]
	v_fma_f64 v[96:97], v[107:108], v[50:51], v[96:97]
	v_fma_f64 v[98:99], -v[115:116], v[50:51], v[98:99]
	v_fma_f64 v[100:101], v[113:114], v[50:51], v[100:101]
	;; [unrolled: 2-line block ×4, first 2 shown]
	v_ashrrev_i32_e32 v107, 31, v106
	v_cvt_f64_f32_e32 v[113:114], v55
	v_cvt_f64_f32_e32 v[115:116], v58
	;; [unrolled: 1-line block ×4, first 2 shown]
	v_lshlrev_b64_e32 v[48:49], 4, v[106:107]
	v_cvt_f64_f32_e32 v[121:122], v63
	v_cvt_f64_f32_e32 v[123:124], v66
	s_delay_alu instid0(VALU_DEP_3) | instskip(SKIP_1) | instid1(VALU_DEP_4)
	v_add_co_u32 v106, vcc_lo, s4, v48
	s_wait_alu 0xfffd
	v_add_co_ci_u32_e64 v107, null, s5, v49, vcc_lo
	v_add_co_u32 v42, vcc_lo, 0x100, v42
	s_wait_alu 0xfffd
	v_add_co_ci_u32_e64 v43, null, 0, v43, vcc_lo
	global_load_b128 v[48:51], v[106:107], off
	s_wait_loadcnt 0xc
	v_fma_f64 v[94:95], v[111:112], v[68:69], v[94:95]
	v_fma_f64 v[96:97], v[52:53], v[68:69], v[96:97]
	;; [unrolled: 1-line block ×8, first 2 shown]
	v_cvt_f64_f32_e32 v[108:109], v54
	v_fma_f64 v[58:59], -v[52:53], v[70:71], v[94:95]
	v_fma_f64 v[62:63], v[111:112], v[70:71], v[96:97]
	v_fma_f64 v[56:57], -v[56:57], v[70:71], v[98:99]
	v_fma_f64 v[66:67], v[125:126], v[70:71], v[100:101]
	;; [unrolled: 2-line block ×4, first 2 shown]
	global_load_b128 v[52:55], v[106:107], off offset:16
	s_wait_loadcnt 0xc
	v_fma_f64 v[94:95], v[108:109], v[72:73], v[58:59]
	v_fma_f64 v[96:97], v[113:114], v[72:73], v[62:63]
	;; [unrolled: 1-line block ×8, first 2 shown]
	s_clause 0x3
	global_load_b128 v[56:59], v[44:45], off offset:24592
	global_load_b128 v[60:63], v[44:45], off offset:24624
	;; [unrolled: 1-line block ×4, first 2 shown]
	v_add_co_u32 v44, vcc_lo, 0x8000, v44
	s_wait_alu 0xfffd
	v_add_co_ci_u32_e64 v45, null, 0, v45, vcc_lo
	v_cmp_ge_i64_e32 vcc_lo, v[42:43], v[19:20]
	s_wait_loadcnt 0xf
	v_cvt_f64_f32_e32 v[110:111], v76
	v_cvt_f64_f32_e32 v[76:77], v77
	s_wait_loadcnt 0xe
	v_cvt_f64_f32_e32 v[125:126], v80
	v_cvt_f64_f32_e32 v[80:81], v81
	s_wait_loadcnt 0xd
	v_cvt_f64_f32_e32 v[127:128], v84
	v_cvt_f64_f32_e32 v[84:85], v85
	s_wait_loadcnt 0xc
	v_cvt_f64_f32_e32 v[129:130], v88
	v_cvt_f64_f32_e32 v[88:89], v89
	s_wait_alu 0xfffe
	s_or_b32 s10, vcc_lo, s10
	v_fma_f64 v[94:95], -v[113:114], v[74:75], v[94:95]
	v_fma_f64 v[96:97], v[108:109], v[74:75], v[96:97]
	v_fma_f64 v[98:99], -v[117:118], v[74:75], v[98:99]
	v_fma_f64 v[100:101], v[115:116], v[74:75], v[100:101]
	;; [unrolled: 2-line block ×4, first 2 shown]
	global_load_b128 v[72:75], v[106:107], off offset:32
	v_cvt_f64_f32_e32 v[112:113], v82
	v_cvt_f64_f32_e32 v[82:83], v83
	;; [unrolled: 1-line block ×6, first 2 shown]
	s_wait_loadcnt 0xc
	v_fma_f64 v[94:95], v[110:111], v[9:10], v[94:95]
	v_fma_f64 v[96:97], v[76:77], v[9:10], v[96:97]
	;; [unrolled: 1-line block ×8, first 2 shown]
	v_cvt_f64_f32_e32 v[108:109], v78
	v_cvt_f64_f32_e32 v[78:79], v79
	v_fma_f64 v[76:77], -v[76:77], v[11:12], v[94:95]
	v_fma_f64 v[94:95], v[110:111], v[11:12], v[96:97]
	v_fma_f64 v[80:81], -v[80:81], v[11:12], v[98:99]
	v_fma_f64 v[96:97], v[125:126], v[11:12], v[100:101]
	;; [unrolled: 2-line block ×4, first 2 shown]
	global_load_b128 v[9:12], v[106:107], off offset:48
	s_wait_loadcnt 0xc
	v_fma_f64 v[76:77], v[108:109], v[13:14], v[76:77]
	v_fma_f64 v[94:95], v[78:79], v[13:14], v[94:95]
	;; [unrolled: 1-line block ×8, first 2 shown]
	s_wait_loadcnt 0xb
	v_cvt_f64_f32_e32 v[98:99], v24
	v_cvt_f64_f32_e32 v[24:25], v25
	s_wait_loadcnt 0xa
	v_cvt_f64_f32_e32 v[100:101], v28
	v_cvt_f64_f32_e32 v[28:29], v29
	;; [unrolled: 3-line block ×4, first 2 shown]
	v_fma_f64 v[76:77], -v[78:79], v[15:16], v[76:77]
	v_fma_f64 v[78:79], v[108:109], v[15:16], v[94:95]
	v_fma_f64 v[80:81], -v[82:83], v[15:16], v[80:81]
	v_fma_f64 v[82:83], v[112:113], v[15:16], v[96:97]
	v_fma_f64 v[84:85], -v[86:87], v[15:16], v[84:85]
	v_fma_f64 v[86:87], v[114:115], v[15:16], v[92:93]
	v_fma_f64 v[88:89], -v[90:91], v[15:16], v[88:89]
	v_fma_f64 v[13:14], v[116:117], v[15:16], v[13:14]
	v_cvt_f64_f32_e32 v[90:91], v34
	v_cvt_f64_f32_e32 v[34:35], v35
	;; [unrolled: 1-line block ×4, first 2 shown]
	s_wait_loadcnt 0x7
	v_fma_f64 v[15:16], v[98:99], v[48:49], v[76:77]
	v_fma_f64 v[76:77], v[24:25], v[48:49], v[78:79]
	;; [unrolled: 1-line block ×8, first 2 shown]
	v_cvt_f64_f32_e32 v[48:49], v26
	v_cvt_f64_f32_e32 v[26:27], v27
	;; [unrolled: 1-line block ×4, first 2 shown]
	v_fma_f64 v[15:16], -v[24:25], v[50:51], v[15:16]
	v_fma_f64 v[24:25], v[98:99], v[50:51], v[76:77]
	v_fma_f64 v[28:29], -v[28:29], v[50:51], v[78:79]
	v_fma_f64 v[76:77], v[100:101], v[50:51], v[80:81]
	v_fma_f64 v[32:33], -v[32:33], v[50:51], v[82:83]
	v_fma_f64 v[78:79], v[102:103], v[50:51], v[84:85]
	v_fma_f64 v[36:37], -v[36:37], v[50:51], v[86:87]
	v_fma_f64 v[13:14], v[104:105], v[50:51], v[13:14]
	s_wait_loadcnt 0x6
	v_fma_f64 v[15:16], v[48:49], v[52:53], v[15:16]
	v_fma_f64 v[24:25], v[26:27], v[52:53], v[24:25]
	;; [unrolled: 1-line block ×8, first 2 shown]
	s_wait_loadcnt 0x5
	v_cvt_f64_f32_e32 v[52:53], v56
	v_cvt_f64_f32_e32 v[56:57], v57
	s_wait_loadcnt 0x4
	v_cvt_f64_f32_e32 v[78:79], v60
	v_cvt_f64_f32_e32 v[60:61], v61
	;; [unrolled: 3-line block ×4, first 2 shown]
	v_fma_f64 v[15:16], -v[26:27], v[54:55], v[15:16]
	v_fma_f64 v[24:25], v[48:49], v[54:55], v[24:25]
	v_fma_f64 v[26:27], -v[30:31], v[54:55], v[28:29]
	v_fma_f64 v[28:29], v[88:89], v[54:55], v[50:51]
	;; [unrolled: 2-line block ×4, first 2 shown]
	v_cvt_f64_f32_e32 v[36:37], v58
	v_cvt_f64_f32_e32 v[38:39], v59
	;; [unrolled: 1-line block ×8, first 2 shown]
	s_wait_loadcnt 0x1
	v_fma_f64 v[15:16], v[52:53], v[72:73], v[15:16]
	v_fma_f64 v[24:25], v[56:57], v[72:73], v[24:25]
	;; [unrolled: 1-line block ×8, first 2 shown]
	v_fma_f64 v[15:16], -v[56:57], v[74:75], v[15:16]
	v_fma_f64 v[24:25], v[52:53], v[74:75], v[24:25]
	v_fma_f64 v[26:27], -v[60:61], v[74:75], v[26:27]
	v_fma_f64 v[28:29], v[78:79], v[74:75], v[28:29]
	;; [unrolled: 2-line block ×4, first 2 shown]
	s_wait_loadcnt 0x0
	v_fma_f64 v[15:16], v[36:37], v[9:10], v[15:16]
	v_fma_f64 v[24:25], v[38:39], v[9:10], v[24:25]
	;; [unrolled: 1-line block ×8, first 2 shown]
	v_fma_f64 v[30:31], -v[38:39], v[11:12], v[15:16]
	v_fma_f64 v[24:25], v[36:37], v[11:12], v[24:25]
	v_fma_f64 v[38:39], -v[50:51], v[11:12], v[26:27]
	v_fma_f64 v[28:29], v[48:49], v[11:12], v[28:29]
	;; [unrolled: 2-line block ×4, first 2 shown]
	s_wait_alu 0xfffe
	s_and_not1_b32 exec_lo, exec_lo, s10
	s_cbranch_execnz .LBB174_19
; %bb.20:
	s_or_b32 exec_lo, exec_lo, s10
.LBB174_21:
	s_wait_alu 0xfffe
	s_or_b32 exec_lo, exec_lo, s7
.LBB174_22:
	s_wait_alu 0xfffe
	s_or_b32 exec_lo, exec_lo, s6
	s_cbranch_execz .LBB174_24
	s_branch .LBB174_35
.LBB174_23:
                                        ; implicit-def: $vgpr24_vgpr25
                                        ; implicit-def: $vgpr30_vgpr31
                                        ; implicit-def: $vgpr28_vgpr29
                                        ; implicit-def: $vgpr38_vgpr39
                                        ; implicit-def: $vgpr34_vgpr35
                                        ; implicit-def: $vgpr36_vgpr37
                                        ; implicit-def: $vgpr32_vgpr33
                                        ; implicit-def: $vgpr26_vgpr27
.LBB174_24:
	v_mov_b32_e32 v24, 0
	v_mov_b32_e32 v28, 0
	;; [unrolled: 1-line block ×3, first 2 shown]
	v_dual_mov_b32 v32, 0 :: v_dual_mov_b32 v25, 0
	v_dual_mov_b32 v30, 0 :: v_dual_mov_b32 v29, 0
	;; [unrolled: 1-line block ×5, first 2 shown]
	v_mov_b32_e32 v39, 0
	v_mov_b32_e32 v37, 0
	;; [unrolled: 1-line block ×3, first 2 shown]
	s_and_saveexec_b32 s3, s2
	s_cbranch_execz .LBB174_34
; %bb.25:
	v_or_b32_e32 v9, 64, v0
	v_not_b32_e32 v13, v40
	v_not_b32_e32 v11, v41
	v_mov_b32_e32 v34, 0
	v_mov_b32_e32 v28, 0
	v_sub_co_u32 v9, s2, v9, s12
	s_wait_alu 0xf1ff
	v_sub_co_ci_u32_e64 v10, null, 0, 0, s2
	v_sub_co_u32 v14, s2, s12, v0
	s_delay_alu instid0(VALU_DEP_3) | instskip(SKIP_1) | instid1(VALU_DEP_3)
	v_add_co_u32 v9, vcc_lo, v9, v40
	s_wait_alu 0xfffd
	v_add_co_ci_u32_e64 v10, null, v10, v41, vcc_lo
	s_wait_alu 0xf1ff
	v_sub_co_ci_u32_e64 v15, null, 0, 0, s2
	v_add_co_u32 v13, s2, v14, v13
	s_delay_alu instid0(VALU_DEP_3)
	v_cmp_gt_i64_e32 vcc_lo, v[9:10], v[19:20]
	v_mov_b32_e32 v12, 0
	s_wait_alu 0xf1ff
	v_add_co_ci_u32_e64 v11, null, v15, v11, s2
	v_mov_b32_e32 v26, 0
	s_wait_alu 0xfffd
	v_dual_mov_b32 v32, 0 :: v_dual_cndmask_b32 v9, v19, v9
	v_dual_cndmask_b32 v10, v20, v10 :: v_dual_mov_b32 v27, 0
	v_dual_mov_b32 v35, 0 :: v_dual_mov_b32 v38, 0
	s_delay_alu instid0(VALU_DEP_3)
	v_add_co_u32 v9, vcc_lo, v13, v9
	v_dual_mov_b32 v36, 0 :: v_dual_mov_b32 v29, 0
	v_mov_b32_e32 v30, 0
	v_dual_mov_b32 v24, 0 :: v_dual_mov_b32 v33, 0
	v_mov_b32_e32 v37, 0
	s_wait_alu 0xfffd
	v_add_co_ci_u32_e64 v10, null, v11, v10, vcc_lo
	v_and_b32_e32 v11, 0xc0, v9
	v_mov_b32_e32 v39, 0
	v_mov_b32_e32 v31, 0
	;; [unrolled: 1-line block ×3, first 2 shown]
	s_mov_b32 s6, exec_lo
	v_cmpx_ne_u64_e32 0xc0, v[11:12]
	s_cbranch_execz .LBB174_29
; %bb.26:
	v_lshrrev_b32_e32 v13, 6, v9
	v_mov_b32_e32 v28, 0
	v_lshlrev_b64_e32 v[11:12], 2, v[17:18]
	v_dual_mov_b32 v29, 0 :: v_dual_mov_b32 v38, 0
	s_delay_alu instid0(VALU_DEP_4) | instskip(SKIP_1) | instid1(VALU_DEP_4)
	v_dual_mov_b32 v24, 0 :: v_dual_add_nc_u32 v13, 1, v13
	v_dual_mov_b32 v39, 0 :: v_dual_mov_b32 v36, 0
	v_add_co_u32 v11, vcc_lo, s8, v11
	s_delay_alu instid0(VALU_DEP_3) | instskip(SKIP_2) | instid1(VALU_DEP_3)
	v_dual_mov_b32 v34, 0 :: v_dual_and_b32 v13, 3, v13
	v_dual_mov_b32 v25, 0 :: v_dual_mov_b32 v30, 0
	v_dual_mov_b32 v35, 0 :: v_dual_mov_b32 v32, 0
	v_sub_co_u32 v13, s2, 0, v13
	v_dual_mov_b32 v37, 0 :: v_dual_mov_b32 v26, 0
	v_mov_b32_e32 v31, 0
	s_wait_alu 0xfffd
	v_add_co_ci_u32_e64 v12, null, s9, v12, vcc_lo
	v_mov_b32_e32 v33, 0
	v_mov_b32_e32 v27, 0
	s_wait_alu 0xf1ff
	v_sub_co_ci_u32_e64 v14, null, 0, 0, s2
	s_mov_b32 s7, 0
.LBB174_27:                             ; =>This Inner Loop Header: Depth=1
	global_load_b32 v15, v[11:12], off
	s_clause 0x1
	global_load_b128 v[40:43], v[22:23], off
	global_load_b128 v[44:47], v[22:23], off offset:16
	v_add_co_u32 v11, s2, 0x100, v11
	s_wait_alu 0xf1ff
	v_add_co_ci_u32_e64 v12, null, 0, v12, s2
	s_wait_loadcnt 0x2
	v_subrev_nc_u32_e32 v15, s12, v15
	s_wait_loadcnt 0x1
	v_cvt_f64_f32_e32 v[88:89], v42
	v_cvt_f64_f32_e32 v[42:43], v43
	s_wait_loadcnt 0x0
	v_cvt_f64_f32_e32 v[90:91], v44
	v_cvt_f64_f32_e32 v[44:45], v45
	v_lshlrev_b32_e32 v15, 2, v15
	v_cvt_f64_f32_e32 v[92:93], v46
	v_cvt_f64_f32_e32 v[46:47], v47
	s_delay_alu instid0(VALU_DEP_3) | instskip(NEXT) | instid1(VALU_DEP_1)
	v_ashrrev_i32_e32 v16, 31, v15
	v_lshlrev_b64_e32 v[15:16], 4, v[15:16]
	s_wait_kmcnt 0x0
	s_delay_alu instid0(VALU_DEP_1) | instskip(SKIP_1) | instid1(VALU_DEP_2)
	v_add_co_u32 v15, vcc_lo, s4, v15
	s_wait_alu 0xfffd
	v_add_co_ci_u32_e64 v16, null, s5, v16, vcc_lo
	s_clause 0x1
	global_load_b128 v[48:51], v[15:16], off
	global_load_b128 v[52:55], v[15:16], off offset:16
	s_clause 0x3
	global_load_b128 v[56:59], v[22:23], off offset:32
	global_load_b128 v[60:63], v[22:23], off offset:48
	;; [unrolled: 1-line block ×4, first 2 shown]
	s_clause 0x1
	global_load_b128 v[72:75], v[15:16], off offset:32
	global_load_b128 v[76:79], v[15:16], off offset:48
	s_clause 0x1
	global_load_b128 v[80:83], v[22:23], off offset:96
	global_load_b128 v[84:87], v[22:23], off offset:112
	v_cvt_f64_f32_e32 v[15:16], v40
	v_cvt_f64_f32_e32 v[40:41], v41
	v_add_co_u32 v22, vcc_lo, 0x2000, v22
	s_wait_alu 0xfffd
	v_add_co_ci_u32_e64 v23, null, 0, v23, vcc_lo
	v_add_co_u32 v13, vcc_lo, v13, 1
	s_wait_alu 0xfffd
	v_add_co_ci_u32_e64 v14, null, 0, v14, vcc_lo
	;; [unrolled: 3-line block ×3, first 2 shown]
	s_delay_alu instid0(VALU_DEP_3)
	v_cmp_eq_u64_e32 vcc_lo, 0, v[13:14]
	s_wait_alu 0xfffe
	s_or_b32 s7, vcc_lo, s7
	s_wait_loadcnt 0x9
	v_fma_f64 v[30:31], v[15:16], v[48:49], v[30:31]
	v_fma_f64 v[24:25], v[40:41], v[48:49], v[24:25]
	;; [unrolled: 1-line block ×8, first 2 shown]
	s_wait_loadcnt 0x7
	v_cvt_f64_f32_e32 v[48:49], v56
	v_cvt_f64_f32_e32 v[56:57], v57
	v_cvt_f64_f32_e32 v[94:95], v58
	v_cvt_f64_f32_e32 v[58:59], v59
	s_wait_loadcnt 0x6
	v_cvt_f64_f32_e32 v[96:97], v60
	v_cvt_f64_f32_e32 v[60:61], v61
	;; [unrolled: 1-line block ×4, first 2 shown]
	v_fma_f64 v[30:31], -v[40:41], v[50:51], v[30:31]
	v_fma_f64 v[15:16], v[15:16], v[50:51], v[24:25]
	v_fma_f64 v[24:25], -v[42:43], v[50:51], v[38:39]
	v_fma_f64 v[28:29], v[88:89], v[50:51], v[28:29]
	;; [unrolled: 2-line block ×4, first 2 shown]
	s_wait_loadcnt 0x5
	v_cvt_f64_f32_e32 v[38:39], v64
	v_cvt_f64_f32_e32 v[40:41], v65
	;; [unrolled: 1-line block ×4, first 2 shown]
	s_wait_loadcnt 0x4
	v_cvt_f64_f32_e32 v[46:47], v68
	v_cvt_f64_f32_e32 v[50:51], v69
	;; [unrolled: 1-line block ×3, first 2 shown]
	s_wait_loadcnt 0x0
	v_cvt_f64_f32_e32 v[66:67], v86
	v_cvt_f64_f32_e32 v[68:69], v87
	v_fma_f64 v[30:31], v[48:49], v[52:53], v[30:31]
	v_fma_f64 v[15:16], v[56:57], v[52:53], v[15:16]
	;; [unrolled: 1-line block ×8, first 2 shown]
	v_cvt_f64_f32_e32 v[52:53], v70
	v_fma_f64 v[30:31], -v[56:57], v[54:55], v[30:31]
	v_fma_f64 v[15:16], v[48:49], v[54:55], v[15:16]
	v_fma_f64 v[24:25], -v[58:59], v[54:55], v[24:25]
	v_fma_f64 v[28:29], v[94:95], v[54:55], v[28:29]
	v_fma_f64 v[36:37], -v[60:61], v[54:55], v[36:37]
	v_fma_f64 v[34:35], v[96:97], v[54:55], v[34:35]
	v_fma_f64 v[26:27], -v[62:63], v[54:55], v[26:27]
	v_fma_f64 v[32:33], v[98:99], v[54:55], v[32:33]
	v_cvt_f64_f32_e32 v[48:49], v80
	v_cvt_f64_f32_e32 v[54:55], v81
	;; [unrolled: 1-line block ×6, first 2 shown]
	v_fma_f64 v[30:31], v[38:39], v[72:73], v[30:31]
	v_fma_f64 v[15:16], v[40:41], v[72:73], v[15:16]
	;; [unrolled: 1-line block ×8, first 2 shown]
	v_fma_f64 v[30:31], -v[40:41], v[74:75], v[30:31]
	v_fma_f64 v[15:16], v[38:39], v[74:75], v[15:16]
	v_fma_f64 v[24:25], -v[44:45], v[74:75], v[24:25]
	v_fma_f64 v[28:29], v[42:43], v[74:75], v[28:29]
	;; [unrolled: 2-line block ×4, first 2 shown]
	v_fma_f64 v[30:31], v[48:49], v[76:77], v[30:31]
	v_fma_f64 v[15:16], v[54:55], v[76:77], v[15:16]
	;; [unrolled: 1-line block ×8, first 2 shown]
	v_fma_f64 v[30:31], -v[54:55], v[78:79], v[30:31]
	v_fma_f64 v[24:25], v[48:49], v[78:79], v[15:16]
	v_fma_f64 v[38:39], -v[58:59], v[78:79], v[38:39]
	v_fma_f64 v[28:29], v[56:57], v[78:79], v[28:29]
	;; [unrolled: 2-line block ×4, first 2 shown]
	s_wait_alu 0xfffe
	s_and_not1_b32 exec_lo, exec_lo, s7
	s_cbranch_execnz .LBB174_27
; %bb.28:
	s_or_b32 exec_lo, exec_lo, s7
.LBB174_29:
	s_wait_alu 0xfffe
	s_or_b32 exec_lo, exec_lo, s6
	s_delay_alu instid0(SALU_CYCLE_1)
	s_mov_b32 s6, exec_lo
	v_cmpx_lt_u64_e32 0xbf, v[9:10]
	s_cbranch_execz .LBB174_33
; %bb.30:
	v_lshlrev_b64_e32 v[9:10], 2, v[17:18]
	s_mov_b32 s7, 0
	s_delay_alu instid0(VALU_DEP_1) | instskip(SKIP_1) | instid1(VALU_DEP_2)
	v_add_co_u32 v9, vcc_lo, s8, v9
	s_wait_alu 0xfffd
	v_add_co_ci_u32_e64 v10, null, s9, v10, vcc_lo
	s_delay_alu instid0(VALU_DEP_2) | instskip(SKIP_1) | instid1(VALU_DEP_2)
	v_add_co_u32 v9, vcc_lo, 0x200, v9
	s_wait_alu 0xfffd
	v_add_co_ci_u32_e64 v10, null, 0, v10, vcc_lo
.LBB174_31:                             ; =>This Inner Loop Header: Depth=1
	global_load_b32 v15, v[9:10], off offset:-512
	global_load_b128 v[11:14], v[22:23], off
	global_load_b32 v98, v[9:10], off offset:-256
	global_load_b128 v[40:43], v[22:23], off offset:16
	s_clause 0x1
	global_load_b32 v120, v[9:10], off
	global_load_b32 v126, v[9:10], off offset:256
	v_add_co_u32 v9, s2, 0x400, v9
	s_wait_alu 0xf1ff
	v_add_co_ci_u32_e64 v10, null, 0, v10, s2
	s_wait_loadcnt 0x5
	v_subrev_nc_u32_e32 v15, s12, v15
	s_wait_loadcnt 0x4
	v_cvt_f64_f32_e32 v[92:93], v12
	v_cvt_f64_f32_e32 v[94:95], v13
	;; [unrolled: 1-line block ×3, first 2 shown]
	s_wait_loadcnt 0x2
	v_cvt_f64_f32_e32 v[100:101], v42
	v_lshlrev_b32_e32 v15, 2, v15
	v_cvt_f64_f32_e32 v[42:43], v43
	s_delay_alu instid0(VALU_DEP_2) | instskip(NEXT) | instid1(VALU_DEP_1)
	v_ashrrev_i32_e32 v16, 31, v15
	v_lshlrev_b64_e32 v[15:16], 4, v[15:16]
	s_wait_kmcnt 0x0
	s_delay_alu instid0(VALU_DEP_1) | instskip(SKIP_1) | instid1(VALU_DEP_2)
	v_add_co_u32 v15, vcc_lo, s4, v15
	s_wait_alu 0xfffd
	v_add_co_ci_u32_e64 v16, null, s5, v16, vcc_lo
	s_clause 0x1
	global_load_b128 v[44:47], v[15:16], off
	global_load_b128 v[48:51], v[15:16], off offset:16
	s_clause 0x3
	global_load_b128 v[52:55], v[22:23], off offset:32
	global_load_b128 v[56:59], v[22:23], off offset:48
	;; [unrolled: 1-line block ×5, first 2 shown]
	s_clause 0x1
	global_load_b128 v[72:75], v[22:23], off offset:96
	global_load_b128 v[76:79], v[22:23], off offset:112
	;; [unrolled: 1-line block ×3, first 2 shown]
	s_clause 0x1
	global_load_b128 v[84:87], v[22:23], off offset:8192
	global_load_b128 v[88:91], v[22:23], off offset:8208
	v_cvt_f64_f32_e32 v[15:16], v11
	v_subrev_nc_u32_e32 v11, s12, v98
	v_cvt_f64_f32_e32 v[98:99], v40
	v_cvt_f64_f32_e32 v[40:41], v41
	s_delay_alu instid0(VALU_DEP_3) | instskip(NEXT) | instid1(VALU_DEP_1)
	v_lshlrev_b32_e32 v11, 2, v11
	v_ashrrev_i32_e32 v12, 31, v11
	s_delay_alu instid0(VALU_DEP_1) | instskip(NEXT) | instid1(VALU_DEP_1)
	v_lshlrev_b64_e32 v[11:12], 4, v[11:12]
	v_add_co_u32 v102, vcc_lo, s4, v11
	s_wait_alu 0xfffd
	s_delay_alu instid0(VALU_DEP_2)
	v_add_co_ci_u32_e64 v103, null, s5, v12, vcc_lo
	global_load_b128 v[11:14], v[102:103], off
	s_wait_loadcnt 0xc
	v_fma_f64 v[104:105], v[15:16], v[44:45], v[30:31]
	v_fma_f64 v[106:107], v[92:93], v[44:45], v[24:25]
	;; [unrolled: 1-line block ×8, first 2 shown]
	s_clause 0x1
	global_load_b128 v[24:27], v[22:23], off offset:8224
	global_load_b128 v[28:31], v[22:23], off offset:8240
	s_wait_loadcnt 0xc
	v_cvt_f64_f32_e32 v[44:45], v52
	v_cvt_f64_f32_e32 v[52:53], v53
	;; [unrolled: 1-line block ×4, first 2 shown]
	s_wait_loadcnt 0xb
	v_cvt_f64_f32_e32 v[114:115], v56
	v_cvt_f64_f32_e32 v[56:57], v57
	;; [unrolled: 1-line block ×4, first 2 shown]
	s_wait_loadcnt 0x9
	v_cvt_f64_f32_e32 v[118:119], v66
	v_cvt_f64_f32_e32 v[66:67], v67
	v_fma_f64 v[92:93], -v[92:93], v[46:47], v[104:105]
	v_fma_f64 v[15:16], v[15:16], v[46:47], v[106:107]
	v_fma_f64 v[38:39], -v[96:97], v[46:47], v[38:39]
	v_fma_f64 v[94:95], v[94:95], v[46:47], v[108:109]
	;; [unrolled: 2-line block ×4, first 2 shown]
	global_load_b128 v[32:35], v[102:103], off offset:16
	v_cvt_f64_f32_e32 v[106:107], v60
	v_cvt_f64_f32_e32 v[60:61], v61
	;; [unrolled: 1-line block ×6, first 2 shown]
	v_fma_f64 v[92:93], v[44:45], v[48:49], v[92:93]
	v_fma_f64 v[15:16], v[52:53], v[48:49], v[15:16]
	;; [unrolled: 1-line block ×8, first 2 shown]
	s_clause 0x1
	global_load_b128 v[36:39], v[22:23], off offset:8256
	global_load_b128 v[40:43], v[22:23], off offset:8272
	v_fma_f64 v[48:49], -v[52:53], v[50:51], v[92:93]
	v_fma_f64 v[15:16], v[44:45], v[50:51], v[15:16]
	v_fma_f64 v[52:53], -v[54:55], v[50:51], v[96:97]
	v_fma_f64 v[54:55], v[112:113], v[50:51], v[94:95]
	v_fma_f64 v[56:57], -v[56:57], v[50:51], v[98:99]
	v_fma_f64 v[92:93], v[114:115], v[50:51], v[100:101]
	v_fma_f64 v[58:59], -v[58:59], v[50:51], v[104:105]
	v_fma_f64 v[50:51], v[116:117], v[50:51], v[46:47]
	global_load_b128 v[44:47], v[102:103], off offset:32
	s_wait_loadcnt 0xb
	v_cvt_f64_f32_e32 v[100:101], v72
	v_cvt_f64_f32_e32 v[72:73], v73
	;; [unrolled: 1-line block ×4, first 2 shown]
	s_wait_loadcnt 0xa
	v_cvt_f64_f32_e32 v[112:113], v76
	v_cvt_f64_f32_e32 v[76:77], v77
	;; [unrolled: 1-line block ×4, first 2 shown]
	v_subrev_nc_u32_e32 v116, s12, v120
	s_delay_alu instid0(VALU_DEP_1) | instskip(NEXT) | instid1(VALU_DEP_1)
	v_lshlrev_b32_e32 v116, 2, v116
	v_ashrrev_i32_e32 v117, 31, v116
	v_fma_f64 v[94:95], v[106:107], v[68:69], v[48:49]
	v_fma_f64 v[15:16], v[60:61], v[68:69], v[15:16]
	;; [unrolled: 1-line block ×8, first 2 shown]
	s_clause 0x1
	global_load_b128 v[48:51], v[22:23], off offset:8288
	global_load_b128 v[52:55], v[22:23], off offset:8304
	v_fma_f64 v[60:61], -v[60:61], v[70:71], v[94:95]
	v_fma_f64 v[15:16], v[106:107], v[70:71], v[15:16]
	v_fma_f64 v[62:63], -v[62:63], v[70:71], v[96:97]
	v_fma_f64 v[94:95], v[108:109], v[70:71], v[98:99]
	;; [unrolled: 2-line block ×4, first 2 shown]
	global_load_b128 v[56:59], v[102:103], off offset:48
	s_wait_loadcnt 0xb
	v_cvt_f64_f32_e32 v[106:107], v86
	v_cvt_f64_f32_e32 v[86:87], v87
	s_wait_loadcnt 0xa
	v_cvt_f64_f32_e32 v[108:109], v88
	v_cvt_f64_f32_e32 v[88:89], v89
	;; [unrolled: 1-line block ×4, first 2 shown]
	v_fma_f64 v[70:71], v[100:101], v[80:81], v[60:61]
	v_fma_f64 v[15:16], v[72:73], v[80:81], v[15:16]
	;; [unrolled: 1-line block ×8, first 2 shown]
	s_clause 0x1
	global_load_b128 v[60:63], v[22:23], off offset:16384
	global_load_b128 v[64:67], v[22:23], off offset:16400
	v_cvt_f64_f32_e32 v[80:81], v84
	v_cvt_f64_f32_e32 v[84:85], v85
	v_fma_f64 v[72:73], -v[72:73], v[82:83], v[70:71]
	v_fma_f64 v[15:16], v[100:101], v[82:83], v[15:16]
	v_fma_f64 v[74:75], -v[74:75], v[82:83], v[96:97]
	v_fma_f64 v[94:95], v[104:105], v[82:83], v[94:95]
	;; [unrolled: 2-line block ×4, first 2 shown]
	v_lshlrev_b64_e32 v[68:69], 4, v[116:117]
	s_delay_alu instid0(VALU_DEP_1) | instskip(SKIP_1) | instid1(VALU_DEP_2)
	v_add_co_u32 v96, vcc_lo, s4, v68
	s_wait_alu 0xfffd
	v_add_co_ci_u32_e64 v97, null, s5, v69, vcc_lo
	global_load_b128 v[68:71], v[96:97], off
	s_wait_loadcnt 0xc
	v_fma_f64 v[98:99], v[80:81], v[11:12], v[72:73]
	v_fma_f64 v[15:16], v[84:85], v[11:12], v[15:16]
	v_fma_f64 v[100:101], v[106:107], v[11:12], v[74:75]
	v_fma_f64 v[94:95], v[86:87], v[11:12], v[94:95]
	v_fma_f64 v[102:103], v[108:109], v[11:12], v[76:77]
	v_fma_f64 v[92:93], v[88:89], v[11:12], v[92:93]
	v_fma_f64 v[104:105], v[110:111], v[11:12], v[78:79]
	v_fma_f64 v[11:12], v[90:91], v[11:12], v[82:83]
	s_clause 0x1
	global_load_b128 v[72:75], v[22:23], off offset:16416
	global_load_b128 v[76:79], v[22:23], off offset:16432
	s_wait_loadcnt 0xd
	v_cvt_f64_f32_e32 v[82:83], v24
	v_cvt_f64_f32_e32 v[112:113], v25
	v_cvt_f64_f32_e32 v[114:115], v26
	v_cvt_f64_f32_e32 v[116:117], v27
	s_wait_loadcnt 0xc
	v_cvt_f64_f32_e32 v[118:119], v28
	v_cvt_f64_f32_e32 v[120:121], v29
	v_cvt_f64_f32_e32 v[122:123], v30
	v_cvt_f64_f32_e32 v[124:125], v31
	v_fma_f64 v[24:25], -v[84:85], v[13:14], v[98:99]
	v_fma_f64 v[15:16], v[80:81], v[13:14], v[15:16]
	v_fma_f64 v[26:27], -v[86:87], v[13:14], v[100:101]
	v_fma_f64 v[28:29], v[106:107], v[13:14], v[94:95]
	v_fma_f64 v[30:31], -v[88:89], v[13:14], v[102:103]
	v_fma_f64 v[80:81], v[108:109], v[13:14], v[92:93]
	v_fma_f64 v[84:85], -v[90:91], v[13:14], v[104:105]
	v_fma_f64 v[86:87], v[110:111], v[13:14], v[11:12]
	global_load_b128 v[11:14], v[96:97], off offset:16
	s_wait_loadcnt 0xc
	v_fma_f64 v[88:89], v[82:83], v[32:33], v[24:25]
	v_fma_f64 v[15:16], v[112:113], v[32:33], v[15:16]
	v_fma_f64 v[90:91], v[114:115], v[32:33], v[26:27]
	v_fma_f64 v[92:93], v[116:117], v[32:33], v[28:29]
	v_fma_f64 v[94:95], v[118:119], v[32:33], v[30:31]
	v_fma_f64 v[80:81], v[120:121], v[32:33], v[80:81]
	v_fma_f64 v[84:85], v[122:123], v[32:33], v[84:85]
	v_fma_f64 v[32:33], v[124:125], v[32:33], v[86:87]
	s_clause 0x1
	global_load_b128 v[24:27], v[22:23], off offset:16448
	global_load_b128 v[28:31], v[22:23], off offset:16464
	s_wait_loadcnt 0xd
	v_cvt_f64_f32_e32 v[86:87], v36
	v_cvt_f64_f32_e32 v[98:99], v37
	v_cvt_f64_f32_e32 v[100:101], v38
	v_cvt_f64_f32_e32 v[102:103], v39
	s_wait_loadcnt 0xc
	v_cvt_f64_f32_e32 v[104:105], v40
	v_cvt_f64_f32_e32 v[106:107], v41
	v_cvt_f64_f32_e32 v[108:109], v42
	v_cvt_f64_f32_e32 v[110:111], v43
	v_fma_f64 v[36:37], -v[112:113], v[34:35], v[88:89]
	v_fma_f64 v[15:16], v[82:83], v[34:35], v[15:16]
	v_fma_f64 v[38:39], -v[116:117], v[34:35], v[90:91]
	v_fma_f64 v[40:41], v[114:115], v[34:35], v[92:93]
	v_fma_f64 v[42:43], -v[120:121], v[34:35], v[94:95]
	v_fma_f64 v[80:81], v[118:119], v[34:35], v[80:81]
	v_fma_f64 v[82:83], -v[124:125], v[34:35], v[84:85]
	v_fma_f64 v[84:85], v[122:123], v[34:35], v[32:33]
	global_load_b128 v[32:35], v[96:97], off offset:32
	;; [unrolled: 31-line block ×3, first 2 shown]
	s_wait_loadcnt 0xc
	v_fma_f64 v[88:89], v[84:85], v[56:57], v[48:49]
	v_fma_f64 v[15:16], v[112:113], v[56:57], v[15:16]
	v_fma_f64 v[90:91], v[114:115], v[56:57], v[50:51]
	v_fma_f64 v[92:93], v[116:117], v[56:57], v[52:53]
	v_fma_f64 v[94:95], v[118:119], v[56:57], v[54:55]
	v_fma_f64 v[80:81], v[120:121], v[56:57], v[80:81]
	v_fma_f64 v[82:83], v[122:123], v[56:57], v[82:83]
	v_fma_f64 v[56:57], v[124:125], v[56:57], v[86:87]
	s_clause 0x1
	global_load_b128 v[48:51], v[22:23], off offset:24576
	global_load_b128 v[52:55], v[22:23], off offset:24592
	s_wait_loadcnt 0xd
	v_cvt_f64_f32_e32 v[86:87], v60
	v_subrev_nc_u32_e32 v60, s12, v126
	v_cvt_f64_f32_e32 v[96:97], v61
	v_cvt_f64_f32_e32 v[98:99], v62
	;; [unrolled: 1-line block ×3, first 2 shown]
	s_wait_loadcnt 0xc
	v_cvt_f64_f32_e32 v[102:103], v64
	v_lshlrev_b32_e32 v60, 2, v60
	v_cvt_f64_f32_e32 v[104:105], v65
	v_cvt_f64_f32_e32 v[106:107], v66
	;; [unrolled: 1-line block ×3, first 2 shown]
	s_delay_alu instid0(VALU_DEP_4)
	v_ashrrev_i32_e32 v61, 31, v60
	v_fma_f64 v[62:63], -v[112:113], v[58:59], v[88:89]
	v_fma_f64 v[15:16], v[84:85], v[58:59], v[15:16]
	v_fma_f64 v[64:65], -v[116:117], v[58:59], v[90:91]
	v_fma_f64 v[66:67], v[114:115], v[58:59], v[92:93]
	;; [unrolled: 2-line block ×4, first 2 shown]
	v_lshlrev_b64_e32 v[56:57], 4, v[60:61]
	s_delay_alu instid0(VALU_DEP_1) | instskip(SKIP_1) | instid1(VALU_DEP_2)
	v_add_co_u32 v90, vcc_lo, s4, v56
	s_wait_alu 0xfffd
	v_add_co_ci_u32_e64 v91, null, s5, v57, vcc_lo
	v_add_co_u32 v17, vcc_lo, 0x100, v17
	s_wait_alu 0xfffd
	v_add_co_ci_u32_e64 v18, null, 0, v18, vcc_lo
	global_load_b128 v[56:59], v[90:91], off
	s_wait_loadcnt 0xc
	v_fma_f64 v[92:93], v[86:87], v[68:69], v[62:63]
	v_fma_f64 v[15:16], v[96:97], v[68:69], v[15:16]
	;; [unrolled: 1-line block ×8, first 2 shown]
	s_clause 0x1
	global_load_b128 v[60:63], v[22:23], off offset:24608
	global_load_b128 v[64:67], v[22:23], off offset:24624
	s_wait_loadcnt 0xd
	v_cvt_f64_f32_e32 v[88:89], v72
	v_cvt_f64_f32_e32 v[112:113], v73
	;; [unrolled: 1-line block ×4, first 2 shown]
	s_wait_loadcnt 0xc
	v_cvt_f64_f32_e32 v[118:119], v76
	v_cvt_f64_f32_e32 v[120:121], v77
	;; [unrolled: 1-line block ×4, first 2 shown]
	v_fma_f64 v[72:73], -v[96:97], v[70:71], v[92:93]
	v_fma_f64 v[15:16], v[86:87], v[70:71], v[15:16]
	v_fma_f64 v[74:75], -v[100:101], v[70:71], v[94:95]
	v_fma_f64 v[76:77], v[98:99], v[70:71], v[110:111]
	;; [unrolled: 2-line block ×4, first 2 shown]
	global_load_b128 v[68:71], v[90:91], off offset:16
	s_wait_loadcnt 0xc
	v_fma_f64 v[86:87], v[88:89], v[11:12], v[72:73]
	v_fma_f64 v[15:16], v[112:113], v[11:12], v[15:16]
	;; [unrolled: 1-line block ×8, first 2 shown]
	s_clause 0x1
	global_load_b128 v[72:75], v[22:23], off offset:24640
	global_load_b128 v[76:79], v[22:23], off offset:24656
	s_wait_loadcnt 0xd
	v_cvt_f64_f32_e32 v[84:85], v24
	v_cvt_f64_f32_e32 v[98:99], v25
	;; [unrolled: 1-line block ×4, first 2 shown]
	s_wait_loadcnt 0xc
	v_cvt_f64_f32_e32 v[104:105], v28
	v_cvt_f64_f32_e32 v[106:107], v29
	;; [unrolled: 1-line block ×4, first 2 shown]
	v_fma_f64 v[24:25], -v[112:113], v[13:14], v[86:87]
	v_fma_f64 v[15:16], v[88:89], v[13:14], v[15:16]
	v_fma_f64 v[26:27], -v[116:117], v[13:14], v[92:93]
	v_fma_f64 v[28:29], v[114:115], v[13:14], v[94:95]
	;; [unrolled: 2-line block ×4, first 2 shown]
	global_load_b128 v[11:14], v[90:91], off offset:32
	s_wait_loadcnt 0xc
	v_fma_f64 v[88:89], v[84:85], v[32:33], v[24:25]
	v_fma_f64 v[15:16], v[98:99], v[32:33], v[15:16]
	;; [unrolled: 1-line block ×8, first 2 shown]
	s_clause 0x1
	global_load_b128 v[24:27], v[22:23], off offset:24672
	global_load_b128 v[28:31], v[22:23], off offset:24688
	v_add_co_u32 v22, vcc_lo, 0x8000, v22
	s_wait_alu 0xfffd
	v_add_co_ci_u32_e64 v23, null, 0, v23, vcc_lo
	v_cmp_ge_i64_e32 vcc_lo, v[17:18], v[19:20]
	s_wait_alu 0xfffe
	s_or_b32 s7, vcc_lo, s7
	s_wait_loadcnt 0xd
	v_cvt_f64_f32_e32 v[86:87], v36
	v_cvt_f64_f32_e32 v[36:37], v37
	;; [unrolled: 1-line block ×4, first 2 shown]
	s_wait_loadcnt 0xc
	v_cvt_f64_f32_e32 v[116:117], v40
	v_cvt_f64_f32_e32 v[118:119], v41
	;; [unrolled: 1-line block ×4, first 2 shown]
	global_load_b128 v[38:41], v[90:91], off offset:48
	v_fma_f64 v[88:89], -v[98:99], v[34:35], v[88:89]
	v_fma_f64 v[15:16], v[84:85], v[34:35], v[15:16]
	v_fma_f64 v[84:85], -v[102:103], v[34:35], v[92:93]
	v_fma_f64 v[92:93], v[100:101], v[34:35], v[94:95]
	v_fma_f64 v[94:95], -v[106:107], v[34:35], v[96:97]
	v_fma_f64 v[80:81], v[104:105], v[34:35], v[80:81]
	v_fma_f64 v[82:83], -v[110:111], v[34:35], v[82:83]
	v_fma_f64 v[32:33], v[108:109], v[34:35], v[32:33]
	s_wait_loadcnt 0xc
	v_fma_f64 v[34:35], v[86:87], v[44:45], v[88:89]
	v_fma_f64 v[15:16], v[36:37], v[44:45], v[15:16]
	v_fma_f64 v[84:85], v[112:113], v[44:45], v[84:85]
	v_fma_f64 v[88:89], v[114:115], v[44:45], v[92:93]
	v_fma_f64 v[90:91], v[116:117], v[44:45], v[94:95]
	v_fma_f64 v[80:81], v[118:119], v[44:45], v[80:81]
	v_fma_f64 v[82:83], v[120:121], v[44:45], v[82:83]
	v_fma_f64 v[32:33], v[42:43], v[44:45], v[32:33]
	s_wait_loadcnt 0xb
	v_cvt_f64_f32_e32 v[44:45], v48
	v_cvt_f64_f32_e32 v[48:49], v49
	v_cvt_f64_f32_e32 v[92:93], v50
	v_cvt_f64_f32_e32 v[50:51], v51
	s_wait_loadcnt 0xa
	v_cvt_f64_f32_e32 v[94:95], v52
	v_cvt_f64_f32_e32 v[52:53], v53
	v_cvt_f64_f32_e32 v[96:97], v54
	v_cvt_f64_f32_e32 v[54:55], v55
	v_fma_f64 v[34:35], -v[36:37], v[46:47], v[34:35]
	v_fma_f64 v[15:16], v[86:87], v[46:47], v[15:16]
	v_fma_f64 v[36:37], -v[114:115], v[46:47], v[84:85]
	v_fma_f64 v[84:85], v[112:113], v[46:47], v[88:89]
	v_fma_f64 v[86:87], -v[118:119], v[46:47], v[90:91]
	v_fma_f64 v[80:81], v[116:117], v[46:47], v[80:81]
	v_fma_f64 v[42:43], -v[42:43], v[46:47], v[82:83]
	v_fma_f64 v[32:33], v[120:121], v[46:47], v[32:33]
	s_wait_loadcnt 0x9
	v_fma_f64 v[34:35], v[44:45], v[56:57], v[34:35]
	v_fma_f64 v[15:16], v[48:49], v[56:57], v[15:16]
	v_fma_f64 v[36:37], v[92:93], v[56:57], v[36:37]
	v_fma_f64 v[46:47], v[50:51], v[56:57], v[84:85]
	v_fma_f64 v[82:83], v[94:95], v[56:57], v[86:87]
	v_fma_f64 v[80:81], v[52:53], v[56:57], v[80:81]
	v_fma_f64 v[42:43], v[96:97], v[56:57], v[42:43]
	v_fma_f64 v[32:33], v[54:55], v[56:57], v[32:33]
	s_wait_loadcnt 0x8
	v_cvt_f64_f32_e32 v[56:57], v60
	v_cvt_f64_f32_e32 v[60:61], v61
	v_cvt_f64_f32_e32 v[84:85], v62
	v_cvt_f64_f32_e32 v[62:63], v63
	s_wait_loadcnt 0x7
	v_cvt_f64_f32_e32 v[86:87], v64
	v_cvt_f64_f32_e32 v[64:65], v65
	v_cvt_f64_f32_e32 v[88:89], v66
	v_cvt_f64_f32_e32 v[66:67], v67
	;; [unrolled: 27-line block ×4, first 2 shown]
	v_fma_f64 v[28:29], -v[52:53], v[13:14], v[34:35]
	v_fma_f64 v[15:16], v[50:51], v[13:14], v[15:16]
	v_fma_f64 v[30:31], -v[58:59], v[13:14], v[36:37]
	v_fma_f64 v[34:35], v[54:55], v[13:14], v[44:45]
	;; [unrolled: 2-line block ×4, first 2 shown]
	s_wait_loadcnt 0x0
	v_fma_f64 v[13:14], v[32:33], v[38:39], v[28:29]
	v_fma_f64 v[15:16], v[24:25], v[38:39], v[15:16]
	;; [unrolled: 1-line block ×8, first 2 shown]
	v_fma_f64 v[30:31], -v[24:25], v[40:41], v[13:14]
	v_fma_f64 v[24:25], v[32:33], v[40:41], v[15:16]
	v_fma_f64 v[38:39], -v[26:27], v[40:41], v[28:29]
	v_fma_f64 v[28:29], v[56:57], v[40:41], v[34:35]
	;; [unrolled: 2-line block ×4, first 2 shown]
	s_wait_alu 0xfffe
	s_and_not1_b32 exec_lo, exec_lo, s7
	s_cbranch_execnz .LBB174_31
; %bb.32:
	s_or_b32 exec_lo, exec_lo, s7
.LBB174_33:
	s_wait_alu 0xfffe
	s_or_b32 exec_lo, exec_lo, s6
.LBB174_34:
	s_wait_alu 0xfffe
	s_or_b32 exec_lo, exec_lo, s3
.LBB174_35:
	v_mbcnt_lo_u32_b32 v42, -1, 0
	s_delay_alu instid0(VALU_DEP_1) | instskip(NEXT) | instid1(VALU_DEP_1)
	v_or_b32_e32 v9, 32, v42
	v_cmp_gt_i32_e32 vcc_lo, 32, v9
	s_wait_alu 0xfffd
	v_cndmask_b32_e32 v9, v42, v9, vcc_lo
	s_delay_alu instid0(VALU_DEP_1)
	v_lshlrev_b32_e32 v41, 2, v9
	ds_bpermute_b32 v22, v41, v26
	ds_bpermute_b32 v23, v41, v27
	s_wait_dscnt 0x0
	v_add_f64_e32 v[22:23], v[26:27], v[22:23]
	v_xor_b32_e32 v26, 16, v42
	s_delay_alu instid0(VALU_DEP_1)
	v_cmp_gt_i32_e32 vcc_lo, 32, v26
	s_wait_alu 0xfffd
	v_cndmask_b32_e32 v26, v42, v26, vcc_lo
	ds_bpermute_b32 v9, v41, v30
	ds_bpermute_b32 v10, v41, v31
	;; [unrolled: 1-line block ×14, first 2 shown]
	s_wait_dscnt 0xc
	v_add_f64_e32 v[9:10], v[30:31], v[9:10]
	s_wait_dscnt 0xa
	v_add_f64_e32 v[11:12], v[24:25], v[11:12]
	;; [unrolled: 2-line block ×7, first 2 shown]
	v_lshlrev_b32_e32 v41, 2, v26
	ds_bpermute_b32 v38, v41, v22
	ds_bpermute_b32 v39, v41, v23
	;; [unrolled: 1-line block ×16, first 2 shown]
	s_wait_dscnt 0xe
	v_add_f64_e32 v[22:23], v[22:23], v[38:39]
	s_wait_dscnt 0xc
	v_add_f64_e32 v[9:10], v[9:10], v[26:27]
	v_xor_b32_e32 v26, 8, v42
	s_wait_dscnt 0xa
	v_add_f64_e32 v[11:12], v[11:12], v[28:29]
	s_wait_dscnt 0x8
	v_add_f64_e32 v[13:14], v[13:14], v[30:31]
	;; [unrolled: 2-line block ×3, first 2 shown]
	v_cmp_gt_i32_e32 vcc_lo, 32, v26
	s_wait_dscnt 0x4
	v_add_f64_e32 v[17:18], v[17:18], v[34:35]
	s_wait_dscnt 0x2
	v_add_f64_e32 v[19:20], v[19:20], v[36:37]
	;; [unrolled: 2-line block ×3, first 2 shown]
	s_wait_alu 0xfffd
	v_cndmask_b32_e32 v26, v42, v26, vcc_lo
	s_delay_alu instid0(VALU_DEP_1)
	v_lshlrev_b32_e32 v41, 2, v26
	ds_bpermute_b32 v38, v41, v22
	ds_bpermute_b32 v39, v41, v23
	;; [unrolled: 1-line block ×16, first 2 shown]
	s_wait_dscnt 0xe
	v_add_f64_e32 v[22:23], v[22:23], v[38:39]
	s_wait_dscnt 0xc
	v_add_f64_e32 v[9:10], v[9:10], v[26:27]
	v_xor_b32_e32 v26, 4, v42
	s_wait_dscnt 0xa
	v_add_f64_e32 v[11:12], v[11:12], v[28:29]
	s_wait_dscnt 0x8
	v_add_f64_e32 v[13:14], v[13:14], v[30:31]
	;; [unrolled: 2-line block ×3, first 2 shown]
	v_cmp_gt_i32_e32 vcc_lo, 32, v26
	s_wait_dscnt 0x4
	v_add_f64_e32 v[17:18], v[17:18], v[34:35]
	s_wait_dscnt 0x2
	v_add_f64_e32 v[19:20], v[19:20], v[36:37]
	;; [unrolled: 2-line block ×3, first 2 shown]
	s_wait_alu 0xfffd
	v_cndmask_b32_e32 v26, v42, v26, vcc_lo
	s_delay_alu instid0(VALU_DEP_1)
	v_lshlrev_b32_e32 v41, 2, v26
	ds_bpermute_b32 v38, v41, v22
	ds_bpermute_b32 v39, v41, v23
	;; [unrolled: 1-line block ×16, first 2 shown]
	s_wait_dscnt 0xe
	v_add_f64_e32 v[22:23], v[22:23], v[38:39]
	s_wait_dscnt 0xc
	v_add_f64_e32 v[9:10], v[9:10], v[26:27]
	;; [unrolled: 2-line block ×8, first 2 shown]
	v_xor_b32_e32 v24, 2, v42
	s_delay_alu instid0(VALU_DEP_1) | instskip(SKIP_2) | instid1(VALU_DEP_1)
	v_cmp_gt_i32_e32 vcc_lo, 32, v24
	s_wait_alu 0xfffd
	v_cndmask_b32_e32 v24, v42, v24, vcc_lo
	v_lshlrev_b32_e32 v41, 2, v24
	ds_bpermute_b32 v38, v41, v22
	ds_bpermute_b32 v39, v41, v23
	ds_bpermute_b32 v24, v41, v9
	ds_bpermute_b32 v25, v41, v10
	ds_bpermute_b32 v28, v41, v11
	ds_bpermute_b32 v29, v41, v12
	ds_bpermute_b32 v30, v41, v13
	ds_bpermute_b32 v31, v41, v14
	ds_bpermute_b32 v32, v41, v15
	ds_bpermute_b32 v33, v41, v16
	ds_bpermute_b32 v34, v41, v17
	ds_bpermute_b32 v35, v41, v18
	ds_bpermute_b32 v36, v41, v19
	ds_bpermute_b32 v37, v41, v20
	ds_bpermute_b32 v40, v41, v26
	ds_bpermute_b32 v41, v41, v27
	s_wait_dscnt 0xc
	v_add_f64_e32 v[9:10], v[9:10], v[24:25]
	s_wait_dscnt 0xa
	v_add_f64_e32 v[28:29], v[11:12], v[28:29]
	;; [unrolled: 2-line block ×4, first 2 shown]
	v_add_f64_e32 v[15:16], v[22:23], v[38:39]
	s_wait_dscnt 0x4
	v_add_f64_e32 v[13:14], v[17:18], v[34:35]
	v_xor_b32_e32 v22, 1, v42
	s_wait_dscnt 0x2
	v_add_f64_e32 v[19:20], v[19:20], v[36:37]
	s_wait_dscnt 0x0
	v_add_f64_e32 v[17:18], v[26:27], v[40:41]
	v_cmp_gt_i32_e32 vcc_lo, 32, v22
	s_wait_alu 0xfffd
	v_cndmask_b32_e32 v22, v42, v22, vcc_lo
	v_cmp_eq_u32_e32 vcc_lo, 63, v0
	s_delay_alu instid0(VALU_DEP_2)
	v_lshlrev_b32_e32 v35, 2, v22
	ds_bpermute_b32 v22, v35, v9
	ds_bpermute_b32 v23, v35, v10
	;; [unrolled: 1-line block ×16, first 2 shown]
	s_and_b32 exec_lo, exec_lo, vcc_lo
	s_cbranch_execz .LBB174_8
; %bb.36:
	s_wait_dscnt 0xc
	v_add_f64_e32 v[28:29], v[28:29], v[40:41]
	s_wait_dscnt 0x8
	v_add_f64_e32 v[24:25], v[24:25], v[38:39]
	;; [unrolled: 2-line block ×4, first 2 shown]
	v_add_f64_e32 v[9:10], v[9:10], v[22:23]
	v_add_f64_e32 v[11:12], v[11:12], v[26:27]
	;; [unrolled: 1-line block ×4, first 2 shown]
	v_cmp_eq_f64_e32 vcc_lo, 0, v[1:2]
	v_cmp_eq_f64_e64 s2, 0, v[3:4]
	s_load_b64 s[0:1], s[0:1], 0x60
	v_lshlrev_b32_e32 v21, 2, v21
	v_mul_f64_e64 v[13:14], v[28:29], -v[7:8]
	v_mul_f64_e32 v[15:16], v[5:6], v[28:29]
	v_mul_f64_e64 v[28:29], v[24:25], -v[7:8]
	v_mul_f64_e32 v[24:25], v[5:6], v[24:25]
	;; [unrolled: 2-line block ×4, first 2 shown]
	s_and_b32 s2, vcc_lo, s2
	v_fma_f64 v[17:18], v[5:6], v[9:10], v[13:14]
	v_fma_f64 v[19:20], v[7:8], v[9:10], v[15:16]
	;; [unrolled: 1-line block ×8, first 2 shown]
	s_wait_alu 0xfffe
	s_and_saveexec_b32 s3, s2
	s_wait_alu 0xfffe
	s_xor_b32 s2, exec_lo, s3
	s_cbranch_execz .LBB174_38
; %bb.37:
	v_ashrrev_i32_e32 v22, 31, v21
	s_delay_alu instid0(VALU_DEP_1) | instskip(SKIP_1) | instid1(VALU_DEP_1)
	v_lshlrev_b64_e32 v[0:1], 4, v[21:22]
                                        ; implicit-def: $vgpr21
	s_wait_kmcnt 0x0
	v_add_co_u32 v0, vcc_lo, s0, v0
	s_wait_alu 0xfffd
	s_delay_alu instid0(VALU_DEP_2)
	v_add_co_ci_u32_e64 v1, null, s1, v1, vcc_lo
	s_clause 0x3
	global_store_b128 v[0:1], v[17:20], off
	global_store_b128 v[0:1], v[13:16], off offset:16
	global_store_b128 v[0:1], v[9:12], off offset:32
	;; [unrolled: 1-line block ×3, first 2 shown]
                                        ; implicit-def: $vgpr3_vgpr4
                                        ; implicit-def: $vgpr17_vgpr18
                                        ; implicit-def: $vgpr13_vgpr14
                                        ; implicit-def: $vgpr9_vgpr10
                                        ; implicit-def: $vgpr5_vgpr6
.LBB174_38:
	s_wait_alu 0xfffe
	s_and_not1_saveexec_b32 s2, s2
	s_cbranch_execz .LBB174_8
; %bb.39:
	v_ashrrev_i32_e32 v22, 31, v21
	s_delay_alu instid0(VALU_DEP_1) | instskip(SKIP_1) | instid1(VALU_DEP_1)
	v_lshlrev_b64_e32 v[21:22], 4, v[21:22]
	s_wait_kmcnt 0x0
	v_add_co_u32 v37, vcc_lo, s0, v21
	s_wait_alu 0xfffd
	s_delay_alu instid0(VALU_DEP_2)
	v_add_co_ci_u32_e64 v38, null, s1, v22, vcc_lo
	s_clause 0x3
	global_load_b128 v[21:24], v[37:38], off
	global_load_b128 v[25:28], v[37:38], off offset:16
	global_load_b128 v[29:32], v[37:38], off offset:32
	;; [unrolled: 1-line block ×3, first 2 shown]
	s_wait_loadcnt 0x3
	v_fma_f64 v[17:18], v[1:2], v[21:22], v[17:18]
	v_fma_f64 v[19:20], v[3:4], v[21:22], v[19:20]
	s_wait_loadcnt 0x2
	v_fma_f64 v[13:14], v[1:2], v[25:26], v[13:14]
	v_fma_f64 v[15:16], v[3:4], v[25:26], v[15:16]
	;; [unrolled: 3-line block ×4, first 2 shown]
	v_fma_f64 v[5:6], -v[3:4], v[23:24], v[17:18]
	v_fma_f64 v[7:8], v[1:2], v[23:24], v[19:20]
	v_fma_f64 v[9:10], -v[3:4], v[27:28], v[13:14]
	v_fma_f64 v[11:12], v[1:2], v[27:28], v[15:16]
	;; [unrolled: 2-line block ×4, first 2 shown]
	s_clause 0x3
	global_store_b128 v[37:38], v[5:8], off
	global_store_b128 v[37:38], v[9:12], off offset:16
	global_store_b128 v[37:38], v[13:16], off offset:32
	global_store_b128 v[37:38], v[17:20], off offset:48
	s_nop 0
	s_sendmsg sendmsg(MSG_DEALLOC_VGPRS)
	s_endpgm
	.section	.rodata,"a",@progbits
	.p2align	6, 0x0
	.amdhsa_kernel _ZN9rocsparseL18bsrxmvn_4x4_kernelILj128ELj64E21rocsparse_complex_numIdEliS1_IfES2_S2_EEvT3_20rocsparse_direction_NS_24const_host_device_scalarIT1_EES4_PKS4_PKT2_SD_SA_PKT4_PKT5_S8_PT6_21rocsparse_index_base_b
		.amdhsa_group_segment_fixed_size 0
		.amdhsa_private_segment_fixed_size 0
		.amdhsa_kernarg_size 112
		.amdhsa_user_sgpr_count 2
		.amdhsa_user_sgpr_dispatch_ptr 0
		.amdhsa_user_sgpr_queue_ptr 0
		.amdhsa_user_sgpr_kernarg_segment_ptr 1
		.amdhsa_user_sgpr_dispatch_id 0
		.amdhsa_user_sgpr_private_segment_size 0
		.amdhsa_wavefront_size32 1
		.amdhsa_uses_dynamic_stack 0
		.amdhsa_enable_private_segment 0
		.amdhsa_system_sgpr_workgroup_id_x 1
		.amdhsa_system_sgpr_workgroup_id_y 0
		.amdhsa_system_sgpr_workgroup_id_z 0
		.amdhsa_system_sgpr_workgroup_info 0
		.amdhsa_system_vgpr_workitem_id 0
		.amdhsa_next_free_vgpr 135
		.amdhsa_next_free_sgpr 14
		.amdhsa_reserve_vcc 1
		.amdhsa_float_round_mode_32 0
		.amdhsa_float_round_mode_16_64 0
		.amdhsa_float_denorm_mode_32 3
		.amdhsa_float_denorm_mode_16_64 3
		.amdhsa_fp16_overflow 0
		.amdhsa_workgroup_processor_mode 1
		.amdhsa_memory_ordered 1
		.amdhsa_forward_progress 1
		.amdhsa_inst_pref_size 103
		.amdhsa_round_robin_scheduling 0
		.amdhsa_exception_fp_ieee_invalid_op 0
		.amdhsa_exception_fp_denorm_src 0
		.amdhsa_exception_fp_ieee_div_zero 0
		.amdhsa_exception_fp_ieee_overflow 0
		.amdhsa_exception_fp_ieee_underflow 0
		.amdhsa_exception_fp_ieee_inexact 0
		.amdhsa_exception_int_div_zero 0
	.end_amdhsa_kernel
	.section	.text._ZN9rocsparseL18bsrxmvn_4x4_kernelILj128ELj64E21rocsparse_complex_numIdEliS1_IfES2_S2_EEvT3_20rocsparse_direction_NS_24const_host_device_scalarIT1_EES4_PKS4_PKT2_SD_SA_PKT4_PKT5_S8_PT6_21rocsparse_index_base_b,"axG",@progbits,_ZN9rocsparseL18bsrxmvn_4x4_kernelILj128ELj64E21rocsparse_complex_numIdEliS1_IfES2_S2_EEvT3_20rocsparse_direction_NS_24const_host_device_scalarIT1_EES4_PKS4_PKT2_SD_SA_PKT4_PKT5_S8_PT6_21rocsparse_index_base_b,comdat
.Lfunc_end174:
	.size	_ZN9rocsparseL18bsrxmvn_4x4_kernelILj128ELj64E21rocsparse_complex_numIdEliS1_IfES2_S2_EEvT3_20rocsparse_direction_NS_24const_host_device_scalarIT1_EES4_PKS4_PKT2_SD_SA_PKT4_PKT5_S8_PT6_21rocsparse_index_base_b, .Lfunc_end174-_ZN9rocsparseL18bsrxmvn_4x4_kernelILj128ELj64E21rocsparse_complex_numIdEliS1_IfES2_S2_EEvT3_20rocsparse_direction_NS_24const_host_device_scalarIT1_EES4_PKS4_PKT2_SD_SA_PKT4_PKT5_S8_PT6_21rocsparse_index_base_b
                                        ; -- End function
	.set _ZN9rocsparseL18bsrxmvn_4x4_kernelILj128ELj64E21rocsparse_complex_numIdEliS1_IfES2_S2_EEvT3_20rocsparse_direction_NS_24const_host_device_scalarIT1_EES4_PKS4_PKT2_SD_SA_PKT4_PKT5_S8_PT6_21rocsparse_index_base_b.num_vgpr, 135
	.set _ZN9rocsparseL18bsrxmvn_4x4_kernelILj128ELj64E21rocsparse_complex_numIdEliS1_IfES2_S2_EEvT3_20rocsparse_direction_NS_24const_host_device_scalarIT1_EES4_PKS4_PKT2_SD_SA_PKT4_PKT5_S8_PT6_21rocsparse_index_base_b.num_agpr, 0
	.set _ZN9rocsparseL18bsrxmvn_4x4_kernelILj128ELj64E21rocsparse_complex_numIdEliS1_IfES2_S2_EEvT3_20rocsparse_direction_NS_24const_host_device_scalarIT1_EES4_PKS4_PKT2_SD_SA_PKT4_PKT5_S8_PT6_21rocsparse_index_base_b.numbered_sgpr, 14
	.set _ZN9rocsparseL18bsrxmvn_4x4_kernelILj128ELj64E21rocsparse_complex_numIdEliS1_IfES2_S2_EEvT3_20rocsparse_direction_NS_24const_host_device_scalarIT1_EES4_PKS4_PKT2_SD_SA_PKT4_PKT5_S8_PT6_21rocsparse_index_base_b.num_named_barrier, 0
	.set _ZN9rocsparseL18bsrxmvn_4x4_kernelILj128ELj64E21rocsparse_complex_numIdEliS1_IfES2_S2_EEvT3_20rocsparse_direction_NS_24const_host_device_scalarIT1_EES4_PKS4_PKT2_SD_SA_PKT4_PKT5_S8_PT6_21rocsparse_index_base_b.private_seg_size, 0
	.set _ZN9rocsparseL18bsrxmvn_4x4_kernelILj128ELj64E21rocsparse_complex_numIdEliS1_IfES2_S2_EEvT3_20rocsparse_direction_NS_24const_host_device_scalarIT1_EES4_PKS4_PKT2_SD_SA_PKT4_PKT5_S8_PT6_21rocsparse_index_base_b.uses_vcc, 1
	.set _ZN9rocsparseL18bsrxmvn_4x4_kernelILj128ELj64E21rocsparse_complex_numIdEliS1_IfES2_S2_EEvT3_20rocsparse_direction_NS_24const_host_device_scalarIT1_EES4_PKS4_PKT2_SD_SA_PKT4_PKT5_S8_PT6_21rocsparse_index_base_b.uses_flat_scratch, 0
	.set _ZN9rocsparseL18bsrxmvn_4x4_kernelILj128ELj64E21rocsparse_complex_numIdEliS1_IfES2_S2_EEvT3_20rocsparse_direction_NS_24const_host_device_scalarIT1_EES4_PKS4_PKT2_SD_SA_PKT4_PKT5_S8_PT6_21rocsparse_index_base_b.has_dyn_sized_stack, 0
	.set _ZN9rocsparseL18bsrxmvn_4x4_kernelILj128ELj64E21rocsparse_complex_numIdEliS1_IfES2_S2_EEvT3_20rocsparse_direction_NS_24const_host_device_scalarIT1_EES4_PKS4_PKT2_SD_SA_PKT4_PKT5_S8_PT6_21rocsparse_index_base_b.has_recursion, 0
	.set _ZN9rocsparseL18bsrxmvn_4x4_kernelILj128ELj64E21rocsparse_complex_numIdEliS1_IfES2_S2_EEvT3_20rocsparse_direction_NS_24const_host_device_scalarIT1_EES4_PKS4_PKT2_SD_SA_PKT4_PKT5_S8_PT6_21rocsparse_index_base_b.has_indirect_call, 0
	.section	.AMDGPU.csdata,"",@progbits
; Kernel info:
; codeLenInByte = 13076
; TotalNumSgprs: 16
; NumVgprs: 135
; ScratchSize: 0
; MemoryBound: 0
; FloatMode: 240
; IeeeMode: 1
; LDSByteSize: 0 bytes/workgroup (compile time only)
; SGPRBlocks: 0
; VGPRBlocks: 16
; NumSGPRsForWavesPerEU: 16
; NumVGPRsForWavesPerEU: 135
; Occupancy: 10
; WaveLimiterHint : 1
; COMPUTE_PGM_RSRC2:SCRATCH_EN: 0
; COMPUTE_PGM_RSRC2:USER_SGPR: 2
; COMPUTE_PGM_RSRC2:TRAP_HANDLER: 0
; COMPUTE_PGM_RSRC2:TGID_X_EN: 1
; COMPUTE_PGM_RSRC2:TGID_Y_EN: 0
; COMPUTE_PGM_RSRC2:TGID_Z_EN: 0
; COMPUTE_PGM_RSRC2:TIDIG_COMP_CNT: 0
	.section	.text._ZN9rocsparseL18bsrxmvn_4x4_kernelILj128ELj4E21rocsparse_complex_numIdEllS1_IfES2_S2_EEvT3_20rocsparse_direction_NS_24const_host_device_scalarIT1_EES4_PKS4_PKT2_SD_SA_PKT4_PKT5_S8_PT6_21rocsparse_index_base_b,"axG",@progbits,_ZN9rocsparseL18bsrxmvn_4x4_kernelILj128ELj4E21rocsparse_complex_numIdEllS1_IfES2_S2_EEvT3_20rocsparse_direction_NS_24const_host_device_scalarIT1_EES4_PKS4_PKT2_SD_SA_PKT4_PKT5_S8_PT6_21rocsparse_index_base_b,comdat
	.globl	_ZN9rocsparseL18bsrxmvn_4x4_kernelILj128ELj4E21rocsparse_complex_numIdEllS1_IfES2_S2_EEvT3_20rocsparse_direction_NS_24const_host_device_scalarIT1_EES4_PKS4_PKT2_SD_SA_PKT4_PKT5_S8_PT6_21rocsparse_index_base_b ; -- Begin function _ZN9rocsparseL18bsrxmvn_4x4_kernelILj128ELj4E21rocsparse_complex_numIdEllS1_IfES2_S2_EEvT3_20rocsparse_direction_NS_24const_host_device_scalarIT1_EES4_PKS4_PKT2_SD_SA_PKT4_PKT5_S8_PT6_21rocsparse_index_base_b
	.p2align	8
	.type	_ZN9rocsparseL18bsrxmvn_4x4_kernelILj128ELj4E21rocsparse_complex_numIdEllS1_IfES2_S2_EEvT3_20rocsparse_direction_NS_24const_host_device_scalarIT1_EES4_PKS4_PKT2_SD_SA_PKT4_PKT5_S8_PT6_21rocsparse_index_base_b,@function
_ZN9rocsparseL18bsrxmvn_4x4_kernelILj128ELj4E21rocsparse_complex_numIdEllS1_IfES2_S2_EEvT3_20rocsparse_direction_NS_24const_host_device_scalarIT1_EES4_PKS4_PKT2_SD_SA_PKT4_PKT5_S8_PT6_21rocsparse_index_base_b: ; @_ZN9rocsparseL18bsrxmvn_4x4_kernelILj128ELj4E21rocsparse_complex_numIdEllS1_IfES2_S2_EEvT3_20rocsparse_direction_NS_24const_host_device_scalarIT1_EES4_PKS4_PKT2_SD_SA_PKT4_PKT5_S8_PT6_21rocsparse_index_base_b
; %bb.0:
	s_clause 0x1
	s_load_b64 s[4:5], s[0:1], 0x70
	s_load_b64 s[2:3], s[0:1], 0x10
	s_add_nc_u64 s[6:7], s[0:1], 16
	s_load_b64 s[8:9], s[0:1], 0x58
	s_wait_kmcnt 0x0
	s_bitcmp1_b32 s5, 0
	s_cselect_b32 s2, s6, s2
	s_cselect_b32 s3, s7, s3
	s_delay_alu instid0(SALU_CYCLE_1)
	v_dual_mov_b32 v1, s2 :: v_dual_mov_b32 v2, s3
	s_add_nc_u64 s[2:3], s[0:1], 0x58
	s_wait_alu 0xfffe
	s_cselect_b32 s2, s2, s8
	s_cselect_b32 s3, s3, s9
	flat_load_b128 v[5:8], v[1:2]
	s_wait_alu 0xfffe
	v_dual_mov_b32 v1, s2 :: v_dual_mov_b32 v2, s3
	flat_load_b128 v[1:4], v[1:2]
	s_wait_loadcnt_dscnt 0x101
	v_cmp_eq_f64_e32 vcc_lo, 0, v[5:6]
	v_cmp_eq_f64_e64 s2, 0, v[7:8]
	s_and_b32 s5, vcc_lo, s2
	s_mov_b32 s2, -1
	s_and_saveexec_b32 s3, s5
	s_cbranch_execz .LBB175_2
; %bb.1:
	s_wait_loadcnt_dscnt 0x0
	v_cmp_neq_f64_e32 vcc_lo, 1.0, v[1:2]
	v_cmp_neq_f64_e64 s2, 0, v[3:4]
	s_wait_alu 0xfffe
	s_or_b32 s2, vcc_lo, s2
	s_wait_alu 0xfffe
	s_or_not1_b32 s2, s2, exec_lo
.LBB175_2:
	s_wait_alu 0xfffe
	s_or_b32 exec_lo, exec_lo, s3
	s_and_saveexec_b32 s3, s2
	s_cbranch_execz .LBB175_8
; %bb.3:
	s_load_b64 s[2:3], s[0:1], 0x28
	v_lshrrev_b32_e32 v9, 2, v0
	v_mov_b32_e32 v10, 0
	s_delay_alu instid0(VALU_DEP_2)
	v_lshl_or_b32 v9, ttmp9, 5, v9
	s_wait_kmcnt 0x0
	s_cmp_lg_u64 s[2:3], 0
	s_cbranch_scc0 .LBB175_9
; %bb.4:
	s_load_b64 s[6:7], s[0:1], 0x20
                                        ; implicit-def: $vgpr21_vgpr22
                                        ; implicit-def: $vgpr17_vgpr18
	s_wait_kmcnt 0x0
	v_cmp_gt_i64_e32 vcc_lo, s[6:7], v[9:10]
	s_mov_b32 s7, 0
	s_mov_b32 s6, 0
	s_and_saveexec_b32 s5, vcc_lo
	s_delay_alu instid0(SALU_CYCLE_1)
	s_xor_b32 s8, exec_lo, s5
	s_cbranch_execz .LBB175_6
; %bb.5:
	v_lshlrev_b64_e32 v[11:12], 3, v[9:10]
	s_mov_b32 s5, 0
	s_mov_b32 s6, exec_lo
	v_dual_mov_b32 v18, s5 :: v_dual_mov_b32 v17, s4
	s_delay_alu instid0(VALU_DEP_2) | instskip(NEXT) | instid1(VALU_DEP_1)
	v_add_co_u32 v11, vcc_lo, s2, v11
	v_add_co_ci_u32_e64 v12, null, s3, v12, vcc_lo
	global_load_b64 v[11:12], v[11:12], off
	s_wait_loadcnt 0x0
	v_sub_co_u32 v21, vcc_lo, v11, s4
	s_wait_alu 0xfffd
	v_subrev_co_ci_u32_e64 v22, null, 0, v12, vcc_lo
.LBB175_6:
	s_or_b32 exec_lo, exec_lo, s8
	s_wait_alu 0xfffe
	s_and_b32 vcc_lo, exec_lo, s7
	s_wait_alu 0xfffe
	s_cbranch_vccnz .LBB175_10
.LBB175_7:
	s_and_b32 exec_lo, exec_lo, s6
	s_cbranch_execnz .LBB175_13
.LBB175_8:
	s_nop 0
	s_sendmsg sendmsg(MSG_DEALLOC_VGPRS)
	s_endpgm
.LBB175_9:
	s_mov_b32 s6, 0
                                        ; implicit-def: $vgpr21_vgpr22
                                        ; implicit-def: $vgpr17_vgpr18
	s_cbranch_execz .LBB175_7
.LBB175_10:
	s_load_b64 s[2:3], s[0:1], 0x0
	s_wait_kmcnt 0x0
	v_cmp_gt_i64_e32 vcc_lo, s[2:3], v[9:10]
	s_and_saveexec_b32 s2, vcc_lo
; %bb.11:
	s_mov_b32 s5, 0
	s_or_b32 s6, s6, exec_lo
; %bb.12:
	s_wait_alu 0xfffe
	s_or_b32 exec_lo, exec_lo, s2
	v_dual_mov_b32 v18, s5 :: v_dual_mov_b32 v17, s4
	v_dual_mov_b32 v22, v10 :: v_dual_mov_b32 v21, v9
	s_and_b32 exec_lo, exec_lo, s6
	s_cbranch_execz .LBB175_8
.LBB175_13:
	s_load_b256 s[4:11], s[0:1], 0x30
	s_delay_alu instid0(VALU_DEP_1) | instskip(SKIP_3) | instid1(VALU_DEP_2)
	v_lshlrev_b64_e32 v[9:10], 3, v[21:22]
	v_and_b32_e32 v0, 3, v0
	s_load_b32 s3, s[0:1], 0x8
	s_wait_kmcnt 0x0
	v_add_co_u32 v11, vcc_lo, s4, v9
	s_wait_alu 0xfffd
	v_add_co_ci_u32_e64 v12, null, s5, v10, vcc_lo
	v_add_co_u32 v9, vcc_lo, s6, v9
	s_wait_alu 0xfffd
	v_add_co_ci_u32_e64 v10, null, s7, v10, vcc_lo
	;; [unrolled: 3-line block ×3, first 2 shown]
	global_load_b64 v[43:44], v[11:12], off
	s_cmp_eq_u64 s[6:7], 0
	s_load_b64 s[4:5], s[0:1], 0x50
	s_cselect_b32 vcc_lo, -1, 0
	s_cmp_eq_u32 s3, 1
	s_wait_alu 0xfffe
	v_dual_cndmask_b32 v10, v10, v14 :: v_dual_cndmask_b32 v9, v9, v13
	global_load_b64 v[9:10], v[9:10], off
	s_wait_loadcnt 0x1
	v_sub_co_u32 v11, vcc_lo, v43, v17
	s_wait_alu 0xfffd
	v_sub_co_ci_u32_e64 v12, null, v44, v18, vcc_lo
	s_delay_alu instid0(VALU_DEP_2) | instskip(SKIP_1) | instid1(VALU_DEP_2)
	v_add_co_u32 v19, vcc_lo, v11, v0
	s_wait_alu 0xfffd
	v_add_co_ci_u32_e64 v20, null, 0, v12, vcc_lo
	s_wait_loadcnt 0x0
	v_sub_co_u32 v23, vcc_lo, v9, v17
	s_wait_alu 0xfffd
	v_sub_co_ci_u32_e64 v24, null, v10, v18, vcc_lo
	v_lshlrev_b64_e32 v[9:10], 7, v[19:20]
	s_delay_alu instid0(VALU_DEP_2) | instskip(NEXT) | instid1(VALU_DEP_2)
	v_cmp_lt_i64_e64 s2, v[19:20], v[23:24]
	v_add_co_u32 v25, vcc_lo, s10, v9
	s_wait_alu 0xfffd
	s_delay_alu instid0(VALU_DEP_3)
	v_add_co_ci_u32_e64 v26, null, s11, v10, vcc_lo
	s_cbranch_scc1 .LBB175_25
; %bb.14:
	v_mov_b32_e32 v27, 0
	v_mov_b32_e32 v31, 0
	;; [unrolled: 1-line block ×3, first 2 shown]
	v_dual_mov_b32 v35, 0 :: v_dual_mov_b32 v28, 0
	v_dual_mov_b32 v33, 0 :: v_dual_mov_b32 v32, 0
	;; [unrolled: 1-line block ×5, first 2 shown]
	v_mov_b32_e32 v42, 0
	v_mov_b32_e32 v40, 0
	;; [unrolled: 1-line block ×3, first 2 shown]
	s_and_saveexec_b32 s6, s2
	s_cbranch_execz .LBB175_24
; %bb.15:
	v_or_b32_e32 v9, 4, v0
	v_not_b32_e32 v13, v43
	v_dual_mov_b32 v12, 0 :: v_dual_mov_b32 v29, 0
	v_not_b32_e32 v11, v44
	s_delay_alu instid0(VALU_DEP_4) | instskip(SKIP_3) | instid1(VALU_DEP_3)
	v_sub_co_u32 v9, vcc_lo, v9, v17
	s_wait_alu 0xfffd
	v_sub_co_ci_u32_e64 v10, null, 0, v18, vcc_lo
	v_mov_b32_e32 v41, 0
	v_add_co_u32 v9, vcc_lo, v9, v43
	s_wait_alu 0xfffd
	s_delay_alu instid0(VALU_DEP_3) | instskip(SKIP_3) | instid1(VALU_DEP_3)
	v_add_co_ci_u32_e64 v10, null, v10, v44, vcc_lo
	v_sub_co_u32 v14, vcc_lo, v17, v0
	s_wait_alu 0xfffd
	v_subrev_co_ci_u32_e64 v15, null, 0, v18, vcc_lo
	v_cmp_gt_i64_e32 vcc_lo, v[9:10], v[23:24]
	v_mov_b32_e32 v30, 0
	v_add_co_u32 v13, s3, v14, v13
	s_wait_alu 0xf1ff
	v_add_co_ci_u32_e64 v11, null, v15, v11, s3
	s_wait_alu 0xfffd
	v_dual_cndmask_b32 v9, v23, v9 :: v_dual_cndmask_b32 v10, v24, v10
	v_mov_b32_e32 v35, 0
	v_dual_mov_b32 v36, 0 :: v_dual_mov_b32 v39, 0
	s_delay_alu instid0(VALU_DEP_3)
	v_add_co_u32 v9, vcc_lo, v13, v9
	v_dual_mov_b32 v33, 0 :: v_dual_mov_b32 v40, 0
	v_dual_mov_b32 v37, 0 :: v_dual_mov_b32 v42, 0
	;; [unrolled: 1-line block ×4, first 2 shown]
	s_wait_alu 0xfffd
	v_add_co_ci_u32_e64 v10, null, v11, v10, vcc_lo
	v_dual_mov_b32 v32, 0 :: v_dual_and_b32 v11, 12, v9
	v_mov_b32_e32 v28, 0
	v_dual_mov_b32 v48, v26 :: v_dual_mov_b32 v47, v25
	v_dual_mov_b32 v46, v20 :: v_dual_mov_b32 v45, v19
	s_mov_b32 s7, exec_lo
	v_cmpx_ne_u64_e32 12, v[11:12]
	s_cbranch_execz .LBB175_19
; %bb.16:
	v_lshrrev_b32_e32 v13, 2, v9
	v_lshlrev_b64_e32 v[11:12], 3, v[19:20]
	v_dual_mov_b32 v27, 0 :: v_dual_mov_b32 v46, v20
	v_mov_b32_e32 v37, 0
	s_delay_alu instid0(VALU_DEP_4) | instskip(NEXT) | instid1(VALU_DEP_4)
	v_dual_mov_b32 v28, 0 :: v_dual_add_nc_u32 v13, 1, v13
	v_add_co_u32 v11, vcc_lo, s8, v11
	v_mov_b32_e32 v33, 0
	s_delay_alu instid0(VALU_DEP_3) | instskip(SKIP_3) | instid1(VALU_DEP_4)
	v_dual_mov_b32 v38, 0 :: v_dual_and_b32 v13, 3, v13
	v_mov_b32_e32 v31, 0
	v_mov_b32_e32 v41, 0
	;; [unrolled: 1-line block ×3, first 2 shown]
	v_sub_co_u32 v13, s3, 0, v13
	v_dual_mov_b32 v35, 0 :: v_dual_mov_b32 v48, v26
	v_mov_b32_e32 v29, 0
	v_dual_mov_b32 v45, v19 :: v_dual_mov_b32 v34, 0
	v_mov_b32_e32 v32, 0
	s_wait_alu 0xfffd
	v_add_co_ci_u32_e64 v12, null, s9, v12, vcc_lo
	s_wait_alu 0xf1ff
	v_sub_co_ci_u32_e64 v14, null, 0, 0, s3
	v_mov_b32_e32 v42, 0
	v_mov_b32_e32 v40, 0
	;; [unrolled: 1-line block ×3, first 2 shown]
	v_dual_mov_b32 v30, 0 :: v_dual_mov_b32 v47, v25
	s_mov_b32 s10, 0
.LBB175_17:                             ; =>This Inner Loop Header: Depth=1
	global_load_b64 v[15:16], v[11:12], off
	s_clause 0x3
	global_load_b128 v[49:52], v[47:48], off
	global_load_b128 v[53:56], v[47:48], off offset:32
	global_load_b128 v[57:60], v[47:48], off offset:64
	global_load_b128 v[61:64], v[47:48], off offset:96
	v_add_co_u32 v11, s3, v11, 32
	s_wait_alu 0xf1ff
	v_add_co_ci_u32_e64 v12, null, 0, v12, s3
	s_wait_loadcnt 0x4
	v_sub_co_u32 v15, vcc_lo, v15, v17
	s_wait_alu 0xfffd
	v_sub_co_ci_u32_e64 v16, null, v16, v18, vcc_lo
	s_wait_loadcnt 0x2
	v_cvt_f64_f32_e32 v[97:98], v53
	v_cvt_f64_f32_e32 v[53:54], v54
	s_wait_loadcnt 0x1
	v_cvt_f64_f32_e32 v[99:100], v57
	v_lshlrev_b64_e32 v[15:16], 6, v[15:16]
	v_cvt_f64_f32_e32 v[57:58], v58
	s_wait_loadcnt 0x0
	v_cvt_f64_f32_e32 v[101:102], v61
	v_cvt_f64_f32_e32 v[61:62], v62
	;; [unrolled: 1-line block ×4, first 2 shown]
	s_wait_kmcnt 0x0
	v_add_co_u32 v15, vcc_lo, s4, v15
	s_wait_alu 0xfffd
	v_add_co_ci_u32_e64 v16, null, s5, v16, vcc_lo
	v_cvt_f64_f32_e32 v[105:106], v59
	v_cvt_f64_f32_e32 v[59:60], v60
	;; [unrolled: 1-line block ×3, first 2 shown]
	s_clause 0x1
	global_load_b128 v[65:68], v[15:16], off
	global_load_b128 v[69:72], v[15:16], off offset:16
	s_clause 0x3
	global_load_b128 v[73:76], v[47:48], off offset:16
	global_load_b128 v[77:80], v[47:48], off offset:48
	;; [unrolled: 1-line block ×4, first 2 shown]
	s_clause 0x1
	global_load_b128 v[89:92], v[15:16], off offset:32
	global_load_b128 v[93:96], v[15:16], off offset:48
	v_cvt_f64_f32_e32 v[15:16], v49
	v_cvt_f64_f32_e32 v[49:50], v50
	;; [unrolled: 1-line block ×3, first 2 shown]
	v_add_co_u32 v47, vcc_lo, 0x200, v47
	s_wait_alu 0xfffd
	v_add_co_ci_u32_e64 v48, null, 0, v48, vcc_lo
	v_add_co_u32 v13, vcc_lo, v13, 1
	s_wait_alu 0xfffd
	v_add_co_ci_u32_e64 v14, null, 0, v14, vcc_lo
	;; [unrolled: 3-line block ×3, first 2 shown]
	s_delay_alu instid0(VALU_DEP_3)
	v_cmp_eq_u64_e32 vcc_lo, 0, v[13:14]
	s_wait_alu 0xfffe
	s_or_b32 s10, vcc_lo, s10
	s_wait_loadcnt 0x7
	v_fma_f64 v[33:34], v[15:16], v[65:66], v[33:34]
	v_fma_f64 v[27:28], v[49:50], v[65:66], v[27:28]
	;; [unrolled: 1-line block ×8, first 2 shown]
	v_cvt_f64_f32_e32 v[65:66], v51
	v_cvt_f64_f32_e32 v[51:52], v52
	v_fma_f64 v[33:34], -v[49:50], v[67:68], v[33:34]
	v_fma_f64 v[15:16], v[15:16], v[67:68], v[27:28]
	v_fma_f64 v[27:28], -v[53:54], v[67:68], v[41:42]
	v_fma_f64 v[31:32], v[97:98], v[67:68], v[31:32]
	;; [unrolled: 2-line block ×4, first 2 shown]
	s_wait_loadcnt 0x5
	v_cvt_f64_f32_e32 v[41:42], v73
	v_cvt_f64_f32_e32 v[49:50], v74
	s_wait_loadcnt 0x4
	v_cvt_f64_f32_e32 v[53:54], v77
	v_cvt_f64_f32_e32 v[57:58], v78
	;; [unrolled: 3-line block ×4, first 2 shown]
	v_fma_f64 v[33:34], v[65:66], v[69:70], v[33:34]
	v_fma_f64 v[15:16], v[51:52], v[69:70], v[15:16]
	;; [unrolled: 1-line block ×8, first 2 shown]
	v_cvt_f64_f32_e32 v[69:70], v85
	v_fma_f64 v[33:34], -v[51:52], v[71:72], v[33:34]
	v_fma_f64 v[15:16], v[65:66], v[71:72], v[15:16]
	v_fma_f64 v[27:28], -v[55:56], v[71:72], v[27:28]
	v_fma_f64 v[31:32], v[103:104], v[71:72], v[31:32]
	;; [unrolled: 2-line block ×4, first 2 shown]
	v_cvt_f64_f32_e32 v[51:52], v75
	v_cvt_f64_f32_e32 v[55:56], v76
	;; [unrolled: 1-line block ×7, first 2 shown]
	s_wait_loadcnt 0x1
	v_fma_f64 v[33:34], v[41:42], v[89:90], v[33:34]
	v_fma_f64 v[15:16], v[49:50], v[89:90], v[15:16]
	;; [unrolled: 1-line block ×8, first 2 shown]
	v_fma_f64 v[33:34], -v[49:50], v[91:92], v[33:34]
	v_fma_f64 v[15:16], v[41:42], v[91:92], v[15:16]
	v_fma_f64 v[27:28], -v[57:58], v[91:92], v[27:28]
	v_fma_f64 v[31:32], v[53:54], v[91:92], v[31:32]
	;; [unrolled: 2-line block ×4, first 2 shown]
	s_wait_loadcnt 0x0
	v_fma_f64 v[33:34], v[51:52], v[93:94], v[33:34]
	v_fma_f64 v[15:16], v[55:56], v[93:94], v[15:16]
	;; [unrolled: 1-line block ×8, first 2 shown]
	v_fma_f64 v[33:34], -v[55:56], v[95:96], v[33:34]
	v_fma_f64 v[27:28], v[51:52], v[95:96], v[15:16]
	v_fma_f64 v[41:42], -v[63:64], v[95:96], v[41:42]
	v_fma_f64 v[31:32], v[59:60], v[95:96], v[31:32]
	;; [unrolled: 2-line block ×4, first 2 shown]
	s_wait_alu 0xfffe
	s_and_not1_b32 exec_lo, exec_lo, s10
	s_cbranch_execnz .LBB175_17
; %bb.18:
	s_or_b32 exec_lo, exec_lo, s10
.LBB175_19:
	s_wait_alu 0xfffe
	s_or_b32 exec_lo, exec_lo, s7
	s_delay_alu instid0(SALU_CYCLE_1)
	s_mov_b32 s7, exec_lo
	v_cmpx_lt_u64_e32 11, v[9:10]
	s_cbranch_execz .LBB175_23
; %bb.20:
	v_lshlrev_b64_e32 v[9:10], 3, v[45:46]
	s_mov_b32 s10, 0
	s_delay_alu instid0(VALU_DEP_1) | instskip(SKIP_1) | instid1(VALU_DEP_2)
	v_add_co_u32 v9, vcc_lo, s8, v9
	s_wait_alu 0xfffd
	v_add_co_ci_u32_e64 v10, null, s9, v10, vcc_lo
	s_delay_alu instid0(VALU_DEP_2) | instskip(SKIP_1) | instid1(VALU_DEP_2)
	v_add_co_u32 v49, vcc_lo, v9, 64
	s_wait_alu 0xfffd
	v_add_co_ci_u32_e64 v50, null, 0, v10, vcc_lo
.LBB175_21:                             ; =>This Inner Loop Header: Depth=1
	global_load_b64 v[51:52], v[49:50], off offset:-64
	s_clause 0x3
	global_load_b128 v[13:16], v[47:48], off
	global_load_b128 v[9:12], v[47:48], off offset:32
	global_load_b128 v[53:56], v[47:48], off offset:64
	;; [unrolled: 1-line block ×3, first 2 shown]
	s_clause 0x2
	global_load_b64 v[109:110], v[49:50], off offset:-32
	global_load_b64 v[111:112], v[49:50], off
	global_load_b64 v[113:114], v[49:50], off offset:32
	v_add_co_u32 v49, s3, 0x80, v49
	s_wait_alu 0xf1ff
	v_add_co_ci_u32_e64 v50, null, 0, v50, s3
	s_wait_loadcnt 0x7
	v_sub_co_u32 v51, vcc_lo, v51, v17
	s_wait_alu 0xfffd
	v_sub_co_ci_u32_e64 v52, null, v52, v18, vcc_lo
	s_wait_loadcnt 0x6
	v_cvt_f64_f32_e32 v[115:116], v13
	v_cvt_f64_f32_e32 v[13:14], v14
	s_wait_loadcnt 0x5
	v_cvt_f64_f32_e32 v[117:118], v9
	v_lshlrev_b64_e32 v[51:52], 6, v[51:52]
	v_cvt_f64_f32_e32 v[9:10], v10
	s_wait_loadcnt 0x4
	v_cvt_f64_f32_e32 v[119:120], v53
	s_wait_loadcnt 0x3
	v_cvt_f64_f32_e32 v[121:122], v57
	v_cvt_f64_f32_e32 v[57:58], v58
	;; [unrolled: 1-line block ×3, first 2 shown]
	s_wait_kmcnt 0x0
	v_add_co_u32 v51, vcc_lo, s4, v51
	s_wait_alu 0xfffd
	v_add_co_ci_u32_e64 v52, null, s5, v52, vcc_lo
	v_cvt_f64_f32_e32 v[127:128], v11
	v_cvt_f64_f32_e32 v[129:130], v12
	;; [unrolled: 1-line block ×3, first 2 shown]
	s_clause 0x1
	global_load_b128 v[61:64], v[51:52], off
	global_load_b128 v[65:68], v[51:52], off offset:16
	s_clause 0x3
	global_load_b128 v[69:72], v[47:48], off offset:16
	global_load_b128 v[73:76], v[47:48], off offset:48
	;; [unrolled: 1-line block ×4, first 2 shown]
	s_clause 0x1
	global_load_b128 v[85:88], v[51:52], off offset:32
	global_load_b128 v[89:92], v[51:52], off offset:48
	s_clause 0x3
	global_load_b128 v[93:96], v[47:48], off offset:512
	global_load_b128 v[97:100], v[47:48], off offset:544
	;; [unrolled: 1-line block ×4, first 2 shown]
	s_wait_loadcnt 0xe
	v_sub_co_u32 v51, vcc_lo, v109, v17
	s_wait_alu 0xfffd
	v_sub_co_ci_u32_e64 v52, null, v110, v18, vcc_lo
	v_cvt_f64_f32_e32 v[109:110], v54
	v_cvt_f64_f32_e32 v[55:56], v56
	;; [unrolled: 1-line block ×3, first 2 shown]
	s_delay_alu instid0(VALU_DEP_4) | instskip(SKIP_1) | instid1(VALU_DEP_2)
	v_lshlrev_b64_e32 v[51:52], 6, v[51:52]
	v_cvt_f64_f32_e32 v[59:60], v60
	v_add_co_u32 v123, vcc_lo, s4, v51
	s_wait_alu 0xfffd
	s_delay_alu instid0(VALU_DEP_3)
	v_add_co_ci_u32_e64 v124, null, s5, v52, vcc_lo
	s_wait_loadcnt 0xd
	v_sub_co_u32 v111, vcc_lo, v111, v17
	s_wait_alu 0xfffd
	v_sub_co_ci_u32_e64 v112, null, v112, v18, vcc_lo
	global_load_b128 v[51:54], v[123:124], off
	s_wait_loadcnt 0xc
	v_fma_f64 v[33:34], v[115:116], v[61:62], v[33:34]
	v_fma_f64 v[27:28], v[13:14], v[61:62], v[27:28]
	;; [unrolled: 1-line block ×8, first 2 shown]
	v_cvt_f64_f32_e32 v[61:62], v15
	s_wait_loadcnt 0x8
	v_cvt_f64_f32_e32 v[135:136], v77
	v_cvt_f64_f32_e32 v[77:78], v78
	s_wait_loadcnt 0x7
	v_cvt_f64_f32_e32 v[137:138], v81
	v_cvt_f64_f32_e32 v[81:82], v82
	v_fma_f64 v[13:14], -v[13:14], v[63:64], v[33:34]
	v_fma_f64 v[15:16], v[115:116], v[63:64], v[27:28]
	v_fma_f64 v[27:28], -v[9:10], v[63:64], v[41:42]
	v_fma_f64 v[31:32], v[117:118], v[63:64], v[31:32]
	;; [unrolled: 2-line block ×4, first 2 shown]
	global_load_b128 v[9:12], v[123:124], off offset:16
	v_cvt_f64_f32_e32 v[119:120], v69
	v_cvt_f64_f32_e32 v[69:70], v70
	;; [unrolled: 1-line block ×4, first 2 shown]
	v_fma_f64 v[39:40], v[61:62], v[65:66], v[13:14]
	v_fma_f64 v[41:42], v[125:126], v[65:66], v[15:16]
	;; [unrolled: 1-line block ×8, first 2 shown]
	s_clause 0x3
	global_load_b128 v[13:16], v[47:48], off offset:528
	global_load_b128 v[27:30], v[47:48], off offset:560
	global_load_b128 v[31:34], v[47:48], off offset:592
	global_load_b128 v[35:38], v[47:48], off offset:624
	v_fma_f64 v[125:126], -v[125:126], v[67:68], v[39:40]
	v_fma_f64 v[61:62], v[61:62], v[67:68], v[41:42]
	v_fma_f64 v[57:58], -v[129:130], v[67:68], v[57:58]
	v_fma_f64 v[63:64], v[127:128], v[67:68], v[63:64]
	;; [unrolled: 2-line block ×4, first 2 shown]
	global_load_b128 v[39:42], v[123:124], off offset:32
	v_cvt_f64_f32_e32 v[115:116], v72
	v_cvt_f64_f32_e32 v[117:118], v75
	;; [unrolled: 1-line block ×5, first 2 shown]
	s_wait_loadcnt 0xa
	v_cvt_f64_f32_e32 v[129:130], v93
	v_cvt_f64_f32_e32 v[93:94], v94
	s_wait_loadcnt 0x9
	v_cvt_f64_f32_e32 v[131:132], v97
	v_cvt_f64_f32_e32 v[97:98], v98
	;; [unrolled: 3-line block ×3, first 2 shown]
	v_fma_f64 v[67:68], v[119:120], v[85:86], v[125:126]
	v_fma_f64 v[61:62], v[69:70], v[85:86], v[61:62]
	;; [unrolled: 1-line block ×8, first 2 shown]
	v_cvt_f64_f32_e32 v[85:86], v71
	v_cvt_f64_f32_e32 v[125:126], v79
	v_cvt_f64_f32_e32 v[79:80], v80
	v_fma_f64 v[67:68], -v[69:70], v[87:88], v[67:68]
	v_fma_f64 v[61:62], v[119:120], v[87:88], v[61:62]
	v_fma_f64 v[69:70], -v[73:74], v[87:88], v[57:58]
	v_fma_f64 v[63:64], v[121:122], v[87:88], v[63:64]
	;; [unrolled: 2-line block ×4, first 2 shown]
	global_load_b128 v[55:58], v[123:124], off offset:48
	s_wait_loadcnt 0x8
	v_cvt_f64_f32_e32 v[135:136], v105
	v_cvt_f64_f32_e32 v[105:106], v106
	v_fma_f64 v[77:78], v[85:86], v[89:90], v[67:68]
	v_fma_f64 v[81:82], v[115:116], v[89:90], v[61:62]
	;; [unrolled: 1-line block ×8, first 2 shown]
	s_clause 0x3
	global_load_b128 v[59:62], v[47:48], off offset:1024
	global_load_b128 v[63:66], v[47:48], off offset:1056
	;; [unrolled: 1-line block ×4, first 2 shown]
	v_fma_f64 v[115:116], -v[115:116], v[91:92], v[77:78]
	v_fma_f64 v[81:82], v[85:86], v[91:92], v[81:82]
	v_fma_f64 v[85:86], -v[75:76], v[91:92], v[87:88]
	v_fma_f64 v[87:88], v[117:118], v[91:92], v[109:110]
	;; [unrolled: 2-line block ×4, first 2 shown]
	v_lshlrev_b64_e32 v[75:76], 6, v[111:112]
	v_cvt_f64_f32_e32 v[117:118], v99
	v_cvt_f64_f32_e32 v[99:100], v100
	;; [unrolled: 1-line block ×5, first 2 shown]
	v_add_co_u32 v111, vcc_lo, s4, v75
	s_wait_alu 0xfffd
	v_add_co_ci_u32_e64 v112, null, s5, v76, vcc_lo
	v_cvt_f64_f32_e32 v[107:108], v108
	v_sub_co_u32 v113, vcc_lo, v113, v17
	global_load_b128 v[75:78], v[111:112], off
	s_wait_alu 0xfffd
	v_sub_co_ci_u32_e64 v114, null, v114, v18, vcc_lo
	s_wait_loadcnt 0xc
	v_fma_f64 v[91:92], v[129:130], v[51:52], v[115:116]
	v_fma_f64 v[81:82], v[93:94], v[51:52], v[81:82]
	;; [unrolled: 1-line block ×8, first 2 shown]
	v_cvt_f64_f32_e32 v[115:116], v95
	v_cvt_f64_f32_e32 v[95:96], v96
	v_fma_f64 v[89:90], -v[93:94], v[53:54], v[91:92]
	v_fma_f64 v[81:82], v[129:130], v[53:54], v[81:82]
	v_fma_f64 v[85:86], -v[97:98], v[53:54], v[85:86]
	v_fma_f64 v[87:88], v[131:132], v[53:54], v[87:88]
	;; [unrolled: 2-line block ×4, first 2 shown]
	global_load_b128 v[51:54], v[111:112], off offset:16
	s_wait_loadcnt 0xc
	v_fma_f64 v[97:98], v[115:116], v[9:10], v[89:90]
	v_fma_f64 v[101:102], v[95:96], v[9:10], v[81:82]
	;; [unrolled: 1-line block ×8, first 2 shown]
	s_clause 0x3
	global_load_b128 v[79:82], v[47:48], off offset:1040
	global_load_b128 v[83:86], v[47:48], off offset:1072
	;; [unrolled: 1-line block ×4, first 2 shown]
	s_wait_loadcnt 0xf
	v_cvt_f64_f32_e32 v[129:130], v13
	v_cvt_f64_f32_e32 v[13:14], v14
	s_wait_loadcnt 0xe
	v_cvt_f64_f32_e32 v[131:132], v27
	v_cvt_f64_f32_e32 v[27:28], v28
	;; [unrolled: 3-line block ×4, first 2 shown]
	v_fma_f64 v[95:96], -v[95:96], v[11:12], v[97:98]
	v_fma_f64 v[97:98], v[115:116], v[11:12], v[101:102]
	v_fma_f64 v[99:100], -v[99:100], v[11:12], v[105:106]
	v_fma_f64 v[101:102], v[117:118], v[11:12], v[109:110]
	;; [unrolled: 2-line block ×4, first 2 shown]
	global_load_b128 v[9:12], v[111:112], off offset:32
	v_cvt_f64_f32_e32 v[115:116], v16
	v_cvt_f64_f32_e32 v[117:118], v29
	;; [unrolled: 1-line block ×7, first 2 shown]
	s_wait_loadcnt 0xc
	v_fma_f64 v[95:96], v[129:130], v[39:40], v[95:96]
	v_fma_f64 v[97:98], v[13:14], v[39:40], v[97:98]
	;; [unrolled: 1-line block ×8, first 2 shown]
	v_cvt_f64_f32_e32 v[109:110], v15
	v_fma_f64 v[29:30], -v[13:14], v[41:42], v[95:96]
	v_fma_f64 v[33:34], v[129:130], v[41:42], v[97:98]
	v_fma_f64 v[27:28], -v[27:28], v[41:42], v[99:100]
	v_fma_f64 v[37:38], v[131:132], v[41:42], v[101:102]
	;; [unrolled: 2-line block ×4, first 2 shown]
	global_load_b128 v[13:16], v[111:112], off offset:48
	s_wait_loadcnt 0xc
	v_fma_f64 v[97:98], v[109:110], v[55:56], v[29:30]
	v_fma_f64 v[99:100], v[115:116], v[55:56], v[33:34]
	;; [unrolled: 1-line block ×8, first 2 shown]
	s_clause 0x3
	global_load_b128 v[27:30], v[47:48], off offset:1536
	global_load_b128 v[31:34], v[47:48], off offset:1568
	;; [unrolled: 1-line block ×4, first 2 shown]
	s_wait_loadcnt 0xf
	v_cvt_f64_f32_e32 v[111:112], v59
	v_cvt_f64_f32_e32 v[59:60], v60
	s_wait_loadcnt 0xe
	v_cvt_f64_f32_e32 v[129:130], v63
	v_cvt_f64_f32_e32 v[63:64], v64
	;; [unrolled: 3-line block ×4, first 2 shown]
	v_fma_f64 v[97:98], -v[115:116], v[57:58], v[97:98]
	v_fma_f64 v[99:100], v[109:110], v[57:58], v[99:100]
	v_fma_f64 v[101:102], -v[119:120], v[57:58], v[101:102]
	v_fma_f64 v[103:104], v[117:118], v[57:58], v[103:104]
	v_fma_f64 v[105:106], -v[123:124], v[57:58], v[105:106]
	v_fma_f64 v[95:96], v[121:122], v[57:58], v[95:96]
	v_fma_f64 v[107:108], -v[127:128], v[57:58], v[107:108]
	v_fma_f64 v[109:110], v[125:126], v[57:58], v[55:56]
	v_lshlrev_b64_e32 v[55:56], 6, v[113:114]
	v_cvt_f64_f32_e32 v[115:116], v62
	v_cvt_f64_f32_e32 v[117:118], v65
	;; [unrolled: 1-line block ×5, first 2 shown]
	v_add_co_u32 v113, vcc_lo, s4, v55
	s_wait_alu 0xfffd
	v_add_co_ci_u32_e64 v114, null, s5, v56, vcc_lo
	v_cvt_f64_f32_e32 v[125:126], v73
	v_cvt_f64_f32_e32 v[127:128], v74
	v_add_co_u32 v45, vcc_lo, v45, 16
	global_load_b128 v[55:58], v[113:114], off
	s_wait_alu 0xfffd
	v_add_co_ci_u32_e64 v46, null, 0, v46, vcc_lo
	s_wait_loadcnt 0xc
	v_fma_f64 v[97:98], v[111:112], v[75:76], v[97:98]
	v_fma_f64 v[99:100], v[59:60], v[75:76], v[99:100]
	;; [unrolled: 1-line block ×8, first 2 shown]
	v_cvt_f64_f32_e32 v[109:110], v61
	v_fma_f64 v[65:66], -v[59:60], v[77:78], v[97:98]
	v_fma_f64 v[69:70], v[111:112], v[77:78], v[99:100]
	v_fma_f64 v[63:64], -v[63:64], v[77:78], v[101:102]
	v_fma_f64 v[73:74], v[129:130], v[77:78], v[103:104]
	;; [unrolled: 2-line block ×4, first 2 shown]
	global_load_b128 v[59:62], v[113:114], off offset:16
	s_wait_loadcnt 0xc
	v_fma_f64 v[97:98], v[109:110], v[51:52], v[65:66]
	v_fma_f64 v[99:100], v[115:116], v[51:52], v[69:70]
	v_fma_f64 v[101:102], v[117:118], v[51:52], v[63:64]
	v_fma_f64 v[103:104], v[119:120], v[51:52], v[73:74]
	v_fma_f64 v[105:106], v[121:122], v[51:52], v[67:68]
	v_fma_f64 v[95:96], v[123:124], v[51:52], v[95:96]
	v_fma_f64 v[107:108], v[125:126], v[51:52], v[71:72]
	v_fma_f64 v[51:52], v[127:128], v[51:52], v[75:76]
	s_clause 0x3
	global_load_b128 v[63:66], v[47:48], off offset:1552
	global_load_b128 v[67:70], v[47:48], off offset:1584
	;; [unrolled: 1-line block ×4, first 2 shown]
	v_add_co_u32 v47, vcc_lo, 0x800, v47
	s_wait_alu 0xfffd
	v_add_co_ci_u32_e64 v48, null, 0, v48, vcc_lo
	v_cmp_ge_i64_e32 vcc_lo, v[45:46], v[23:24]
	s_wait_alu 0xfffe
	s_or_b32 s10, vcc_lo, s10
	s_wait_loadcnt 0xf
	v_cvt_f64_f32_e32 v[111:112], v79
	v_cvt_f64_f32_e32 v[79:80], v80
	s_wait_loadcnt 0xe
	v_cvt_f64_f32_e32 v[129:130], v83
	v_cvt_f64_f32_e32 v[83:84], v84
	;; [unrolled: 3-line block ×4, first 2 shown]
	v_fma_f64 v[97:98], -v[115:116], v[53:54], v[97:98]
	v_fma_f64 v[99:100], v[109:110], v[53:54], v[99:100]
	v_fma_f64 v[101:102], -v[119:120], v[53:54], v[101:102]
	v_fma_f64 v[103:104], v[117:118], v[53:54], v[103:104]
	;; [unrolled: 2-line block ×4, first 2 shown]
	global_load_b128 v[51:54], v[113:114], off offset:32
	v_cvt_f64_f32_e32 v[115:116], v85
	v_cvt_f64_f32_e32 v[85:86], v86
	;; [unrolled: 1-line block ×6, first 2 shown]
	s_wait_loadcnt 0xc
	v_fma_f64 v[97:98], v[111:112], v[9:10], v[97:98]
	v_fma_f64 v[99:100], v[79:80], v[9:10], v[99:100]
	v_fma_f64 v[101:102], v[129:130], v[9:10], v[101:102]
	v_fma_f64 v[103:104], v[83:84], v[9:10], v[103:104]
	v_fma_f64 v[105:106], v[131:132], v[9:10], v[105:106]
	v_fma_f64 v[95:96], v[87:88], v[9:10], v[95:96]
	v_fma_f64 v[107:108], v[133:134], v[9:10], v[107:108]
	v_fma_f64 v[9:10], v[91:92], v[9:10], v[109:110]
	v_cvt_f64_f32_e32 v[109:110], v81
	v_cvt_f64_f32_e32 v[81:82], v82
	v_fma_f64 v[79:80], -v[79:80], v[11:12], v[97:98]
	v_fma_f64 v[97:98], v[111:112], v[11:12], v[99:100]
	v_fma_f64 v[83:84], -v[83:84], v[11:12], v[101:102]
	v_fma_f64 v[99:100], v[129:130], v[11:12], v[103:104]
	;; [unrolled: 2-line block ×4, first 2 shown]
	global_load_b128 v[9:12], v[113:114], off offset:48
	s_wait_loadcnt 0xc
	v_fma_f64 v[79:80], v[109:110], v[13:14], v[79:80]
	v_fma_f64 v[97:98], v[81:82], v[13:14], v[97:98]
	;; [unrolled: 1-line block ×8, first 2 shown]
	s_wait_loadcnt 0xb
	v_cvt_f64_f32_e32 v[101:102], v27
	v_cvt_f64_f32_e32 v[27:28], v28
	s_wait_loadcnt 0xa
	v_cvt_f64_f32_e32 v[103:104], v31
	v_cvt_f64_f32_e32 v[31:32], v32
	;; [unrolled: 3-line block ×4, first 2 shown]
	v_fma_f64 v[79:80], -v[81:82], v[15:16], v[79:80]
	v_fma_f64 v[81:82], v[109:110], v[15:16], v[97:98]
	v_fma_f64 v[83:84], -v[85:86], v[15:16], v[83:84]
	v_fma_f64 v[85:86], v[115:116], v[15:16], v[99:100]
	;; [unrolled: 2-line block ×4, first 2 shown]
	v_cvt_f64_f32_e32 v[93:94], v37
	v_cvt_f64_f32_e32 v[37:38], v38
	;; [unrolled: 1-line block ×4, first 2 shown]
	s_wait_loadcnt 0x7
	v_fma_f64 v[15:16], v[101:102], v[55:56], v[79:80]
	v_fma_f64 v[79:80], v[27:28], v[55:56], v[81:82]
	;; [unrolled: 1-line block ×8, first 2 shown]
	v_cvt_f64_f32_e32 v[55:56], v29
	v_cvt_f64_f32_e32 v[29:30], v30
	;; [unrolled: 1-line block ×4, first 2 shown]
	v_fma_f64 v[15:16], -v[27:28], v[57:58], v[15:16]
	v_fma_f64 v[27:28], v[101:102], v[57:58], v[79:80]
	v_fma_f64 v[31:32], -v[31:32], v[57:58], v[81:82]
	v_fma_f64 v[79:80], v[103:104], v[57:58], v[83:84]
	;; [unrolled: 2-line block ×4, first 2 shown]
	s_wait_loadcnt 0x6
	v_fma_f64 v[15:16], v[55:56], v[59:60], v[15:16]
	v_fma_f64 v[27:28], v[29:30], v[59:60], v[27:28]
	;; [unrolled: 1-line block ×8, first 2 shown]
	s_wait_loadcnt 0x5
	v_cvt_f64_f32_e32 v[59:60], v63
	v_cvt_f64_f32_e32 v[63:64], v64
	s_wait_loadcnt 0x4
	v_cvt_f64_f32_e32 v[81:82], v67
	v_cvt_f64_f32_e32 v[67:68], v68
	;; [unrolled: 3-line block ×4, first 2 shown]
	v_fma_f64 v[15:16], -v[29:30], v[61:62], v[15:16]
	v_fma_f64 v[27:28], v[55:56], v[61:62], v[27:28]
	v_fma_f64 v[29:30], -v[33:34], v[61:62], v[31:32]
	v_fma_f64 v[31:32], v[91:92], v[61:62], v[57:58]
	;; [unrolled: 2-line block ×4, first 2 shown]
	v_cvt_f64_f32_e32 v[39:40], v65
	v_cvt_f64_f32_e32 v[41:42], v66
	;; [unrolled: 1-line block ×6, first 2 shown]
	s_wait_loadcnt 0x1
	v_fma_f64 v[15:16], v[59:60], v[51:52], v[15:16]
	v_fma_f64 v[27:28], v[63:64], v[51:52], v[27:28]
	;; [unrolled: 1-line block ×8, first 2 shown]
	v_cvt_f64_f32_e32 v[51:52], v69
	v_cvt_f64_f32_e32 v[69:70], v78
	v_fma_f64 v[15:16], -v[63:64], v[53:54], v[15:16]
	v_fma_f64 v[27:28], v[59:60], v[53:54], v[27:28]
	v_fma_f64 v[29:30], -v[67:68], v[53:54], v[29:30]
	v_fma_f64 v[31:32], v[81:82], v[53:54], v[31:32]
	;; [unrolled: 2-line block ×4, first 2 shown]
	s_wait_loadcnt 0x0
	v_fma_f64 v[15:16], v[39:40], v[9:10], v[15:16]
	v_fma_f64 v[27:28], v[41:42], v[9:10], v[27:28]
	;; [unrolled: 1-line block ×8, first 2 shown]
	v_fma_f64 v[33:34], -v[41:42], v[11:12], v[15:16]
	v_fma_f64 v[27:28], v[39:40], v[11:12], v[27:28]
	v_fma_f64 v[41:42], -v[55:56], v[11:12], v[29:30]
	v_fma_f64 v[31:32], v[51:52], v[11:12], v[31:32]
	;; [unrolled: 2-line block ×4, first 2 shown]
	s_wait_alu 0xfffe
	s_and_not1_b32 exec_lo, exec_lo, s10
	s_cbranch_execnz .LBB175_21
; %bb.22:
	s_or_b32 exec_lo, exec_lo, s10
.LBB175_23:
	s_wait_alu 0xfffe
	s_or_b32 exec_lo, exec_lo, s7
.LBB175_24:
	s_wait_alu 0xfffe
	s_or_b32 exec_lo, exec_lo, s6
	s_cbranch_execz .LBB175_26
	s_branch .LBB175_37
.LBB175_25:
                                        ; implicit-def: $vgpr27_vgpr28
                                        ; implicit-def: $vgpr33_vgpr34
                                        ; implicit-def: $vgpr31_vgpr32
                                        ; implicit-def: $vgpr41_vgpr42
                                        ; implicit-def: $vgpr37_vgpr38
                                        ; implicit-def: $vgpr39_vgpr40
                                        ; implicit-def: $vgpr35_vgpr36
                                        ; implicit-def: $vgpr29_vgpr30
.LBB175_26:
	v_mov_b32_e32 v27, 0
	v_mov_b32_e32 v31, 0
	v_mov_b32_e32 v37, 0
	v_dual_mov_b32 v35, 0 :: v_dual_mov_b32 v28, 0
	v_dual_mov_b32 v33, 0 :: v_dual_mov_b32 v32, 0
	;; [unrolled: 1-line block ×5, first 2 shown]
	v_mov_b32_e32 v42, 0
	v_mov_b32_e32 v40, 0
	;; [unrolled: 1-line block ×3, first 2 shown]
	s_and_saveexec_b32 s3, s2
	s_cbranch_execz .LBB175_36
; %bb.27:
	v_or_b32_e32 v9, 4, v0
	v_not_b32_e32 v13, v43
	v_sub_co_u32 v14, s2, v17, v0
	v_not_b32_e32 v11, v44
	s_delay_alu instid0(VALU_DEP_4)
	v_sub_co_u32 v9, vcc_lo, v9, v17
	s_wait_alu 0xfffd
	v_sub_co_ci_u32_e64 v10, null, 0, v18, vcc_lo
	s_wait_alu 0xf1ff
	v_subrev_co_ci_u32_e64 v15, null, 0, v18, s2
	v_add_co_u32 v9, vcc_lo, v9, v43
	s_wait_alu 0xfffd
	v_add_co_ci_u32_e64 v10, null, v10, v44, vcc_lo
	v_add_co_u32 v13, s2, v14, v13
	s_wait_alu 0xf1ff
	v_add_co_ci_u32_e64 v11, null, v15, v11, s2
	s_delay_alu instid0(VALU_DEP_3)
	v_cmp_gt_i64_e32 vcc_lo, v[9:10], v[23:24]
	v_dual_mov_b32 v12, 0 :: v_dual_mov_b32 v37, 0
	v_mov_b32_e32 v31, 0
	v_mov_b32_e32 v29, 0
	v_dual_mov_b32 v30, 0 :: v_dual_mov_b32 v35, 0
	s_wait_alu 0xfffd
	v_dual_cndmask_b32 v9, v23, v9 :: v_dual_cndmask_b32 v10, v24, v10
	v_dual_mov_b32 v36, 0 :: v_dual_mov_b32 v39, 0
	v_dual_mov_b32 v38, 0 :: v_dual_mov_b32 v41, 0
	s_delay_alu instid0(VALU_DEP_3)
	v_add_co_u32 v9, vcc_lo, v13, v9
	v_dual_mov_b32 v32, 0 :: v_dual_mov_b32 v33, 0
	v_dual_mov_b32 v27, 0 :: v_dual_mov_b32 v40, 0
	s_wait_alu 0xfffd
	v_add_co_ci_u32_e64 v10, null, v11, v10, vcc_lo
	v_dual_mov_b32 v42, 0 :: v_dual_and_b32 v11, 12, v9
	v_mov_b32_e32 v34, 0
	v_mov_b32_e32 v28, 0
	s_mov_b32 s6, exec_lo
	s_delay_alu instid0(VALU_DEP_3)
	v_cmpx_ne_u64_e32 12, v[11:12]
	s_cbranch_execz .LBB175_31
; %bb.28:
	v_lshrrev_b32_e32 v13, 2, v9
	v_mov_b32_e32 v31, 0
	v_mov_b32_e32 v32, 0
	v_lshlrev_b64_e32 v[11:12], 3, v[19:20]
	v_mov_b32_e32 v37, 0
	v_add_nc_u32_e32 v13, 1, v13
	v_mov_b32_e32 v27, 0
	v_dual_mov_b32 v28, 0 :: v_dual_mov_b32 v33, 0
	v_add_co_u32 v11, vcc_lo, s8, v11
	s_delay_alu instid0(VALU_DEP_4) | instskip(SKIP_3) | instid1(VALU_DEP_4)
	v_dual_mov_b32 v38, 0 :: v_dual_and_b32 v13, 3, v13
	v_mov_b32_e32 v41, 0
	v_mov_b32_e32 v39, 0
	;; [unrolled: 1-line block ×3, first 2 shown]
	v_sub_co_u32 v13, s2, 0, v13
	v_dual_mov_b32 v29, 0 :: v_dual_mov_b32 v34, 0
	s_wait_alu 0xfffd
	v_add_co_ci_u32_e64 v12, null, s9, v12, vcc_lo
	v_mov_b32_e32 v42, 0
	v_mov_b32_e32 v40, 0
	v_mov_b32_e32 v36, 0
	v_mov_b32_e32 v30, 0
	s_wait_alu 0xf1ff
	v_sub_co_ci_u32_e64 v14, null, 0, 0, s2
	s_mov_b32 s7, 0
.LBB175_29:                             ; =>This Inner Loop Header: Depth=1
	global_load_b64 v[15:16], v[11:12], off
	s_clause 0x1
	global_load_b128 v[43:46], v[25:26], off
	global_load_b128 v[47:50], v[25:26], off offset:16
	v_add_co_u32 v11, s2, v11, 32
	s_wait_alu 0xf1ff
	v_add_co_ci_u32_e64 v12, null, 0, v12, s2
	s_wait_loadcnt 0x2
	v_sub_co_u32 v15, vcc_lo, v15, v17
	s_wait_alu 0xfffd
	v_sub_co_ci_u32_e64 v16, null, v16, v18, vcc_lo
	s_wait_loadcnt 0x1
	v_cvt_f64_f32_e32 v[91:92], v45
	v_cvt_f64_f32_e32 v[45:46], v46
	s_wait_loadcnt 0x0
	v_cvt_f64_f32_e32 v[93:94], v47
	v_lshlrev_b64_e32 v[15:16], 6, v[15:16]
	v_cvt_f64_f32_e32 v[47:48], v48
	v_cvt_f64_f32_e32 v[95:96], v49
	;; [unrolled: 1-line block ×3, first 2 shown]
	s_wait_kmcnt 0x0
	s_delay_alu instid0(VALU_DEP_4)
	v_add_co_u32 v15, vcc_lo, s4, v15
	s_wait_alu 0xfffd
	v_add_co_ci_u32_e64 v16, null, s5, v16, vcc_lo
	s_clause 0x1
	global_load_b128 v[51:54], v[15:16], off
	global_load_b128 v[55:58], v[15:16], off offset:16
	s_clause 0x3
	global_load_b128 v[59:62], v[25:26], off offset:32
	global_load_b128 v[63:66], v[25:26], off offset:48
	;; [unrolled: 1-line block ×4, first 2 shown]
	s_clause 0x1
	global_load_b128 v[75:78], v[15:16], off offset:32
	global_load_b128 v[79:82], v[15:16], off offset:48
	s_clause 0x1
	global_load_b128 v[83:86], v[25:26], off offset:96
	global_load_b128 v[87:90], v[25:26], off offset:112
	v_cvt_f64_f32_e32 v[15:16], v43
	v_cvt_f64_f32_e32 v[43:44], v44
	v_add_co_u32 v25, vcc_lo, 0x200, v25
	s_wait_alu 0xfffd
	v_add_co_ci_u32_e64 v26, null, 0, v26, vcc_lo
	v_add_co_u32 v13, vcc_lo, v13, 1
	s_wait_alu 0xfffd
	v_add_co_ci_u32_e64 v14, null, 0, v14, vcc_lo
	;; [unrolled: 3-line block ×3, first 2 shown]
	s_delay_alu instid0(VALU_DEP_3)
	v_cmp_eq_u64_e32 vcc_lo, 0, v[13:14]
	s_wait_alu 0xfffe
	s_or_b32 s7, vcc_lo, s7
	s_wait_loadcnt 0x9
	v_fma_f64 v[33:34], v[15:16], v[51:52], v[33:34]
	v_fma_f64 v[27:28], v[43:44], v[51:52], v[27:28]
	;; [unrolled: 1-line block ×8, first 2 shown]
	s_wait_loadcnt 0x7
	v_cvt_f64_f32_e32 v[51:52], v59
	v_cvt_f64_f32_e32 v[59:60], v60
	;; [unrolled: 1-line block ×4, first 2 shown]
	s_wait_loadcnt 0x6
	v_cvt_f64_f32_e32 v[99:100], v63
	v_cvt_f64_f32_e32 v[63:64], v64
	;; [unrolled: 1-line block ×4, first 2 shown]
	v_fma_f64 v[33:34], -v[43:44], v[53:54], v[33:34]
	v_fma_f64 v[15:16], v[15:16], v[53:54], v[27:28]
	v_fma_f64 v[27:28], -v[45:46], v[53:54], v[41:42]
	v_fma_f64 v[31:32], v[91:92], v[53:54], v[31:32]
	;; [unrolled: 2-line block ×4, first 2 shown]
	s_wait_loadcnt 0x5
	v_cvt_f64_f32_e32 v[41:42], v67
	v_cvt_f64_f32_e32 v[43:44], v68
	;; [unrolled: 1-line block ×4, first 2 shown]
	s_wait_loadcnt 0x4
	v_cvt_f64_f32_e32 v[49:50], v71
	v_cvt_f64_f32_e32 v[53:54], v72
	;; [unrolled: 1-line block ×3, first 2 shown]
	s_wait_loadcnt 0x0
	v_cvt_f64_f32_e32 v[69:70], v89
	v_cvt_f64_f32_e32 v[71:72], v90
	v_fma_f64 v[33:34], v[51:52], v[55:56], v[33:34]
	v_fma_f64 v[15:16], v[59:60], v[55:56], v[15:16]
	;; [unrolled: 1-line block ×8, first 2 shown]
	v_cvt_f64_f32_e32 v[55:56], v73
	v_fma_f64 v[33:34], -v[59:60], v[57:58], v[33:34]
	v_fma_f64 v[15:16], v[51:52], v[57:58], v[15:16]
	v_fma_f64 v[27:28], -v[61:62], v[57:58], v[27:28]
	v_fma_f64 v[31:32], v[97:98], v[57:58], v[31:32]
	;; [unrolled: 2-line block ×4, first 2 shown]
	v_cvt_f64_f32_e32 v[51:52], v83
	v_cvt_f64_f32_e32 v[57:58], v84
	;; [unrolled: 1-line block ×6, first 2 shown]
	v_fma_f64 v[33:34], v[41:42], v[75:76], v[33:34]
	v_fma_f64 v[15:16], v[43:44], v[75:76], v[15:16]
	;; [unrolled: 1-line block ×8, first 2 shown]
	v_fma_f64 v[33:34], -v[43:44], v[77:78], v[33:34]
	v_fma_f64 v[15:16], v[41:42], v[77:78], v[15:16]
	v_fma_f64 v[27:28], -v[47:48], v[77:78], v[27:28]
	v_fma_f64 v[31:32], v[45:46], v[77:78], v[31:32]
	;; [unrolled: 2-line block ×4, first 2 shown]
	v_fma_f64 v[33:34], v[51:52], v[79:80], v[33:34]
	v_fma_f64 v[15:16], v[57:58], v[79:80], v[15:16]
	;; [unrolled: 1-line block ×8, first 2 shown]
	v_fma_f64 v[33:34], -v[57:58], v[81:82], v[33:34]
	v_fma_f64 v[27:28], v[51:52], v[81:82], v[15:16]
	v_fma_f64 v[41:42], -v[61:62], v[81:82], v[41:42]
	v_fma_f64 v[31:32], v[59:60], v[81:82], v[31:32]
	;; [unrolled: 2-line block ×4, first 2 shown]
	s_wait_alu 0xfffe
	s_and_not1_b32 exec_lo, exec_lo, s7
	s_cbranch_execnz .LBB175_29
; %bb.30:
	s_or_b32 exec_lo, exec_lo, s7
.LBB175_31:
	s_wait_alu 0xfffe
	s_or_b32 exec_lo, exec_lo, s6
	s_delay_alu instid0(SALU_CYCLE_1)
	s_mov_b32 s6, exec_lo
	v_cmpx_lt_u64_e32 11, v[9:10]
	s_cbranch_execz .LBB175_35
; %bb.32:
	v_lshlrev_b64_e32 v[9:10], 3, v[19:20]
	s_mov_b32 s7, 0
	s_delay_alu instid0(VALU_DEP_1) | instskip(SKIP_1) | instid1(VALU_DEP_2)
	v_add_co_u32 v9, vcc_lo, s8, v9
	s_wait_alu 0xfffd
	v_add_co_ci_u32_e64 v10, null, s9, v10, vcc_lo
	s_delay_alu instid0(VALU_DEP_2) | instskip(SKIP_1) | instid1(VALU_DEP_2)
	v_add_co_u32 v9, vcc_lo, v9, 64
	s_wait_alu 0xfffd
	v_add_co_ci_u32_e64 v10, null, 0, v10, vcc_lo
.LBB175_33:                             ; =>This Inner Loop Header: Depth=1
	global_load_b64 v[15:16], v[9:10], off offset:-64
	s_clause 0x1
	global_load_b128 v[11:14], v[25:26], off
	global_load_b128 v[43:46], v[25:26], off offset:16
	s_clause 0x2
	global_load_b64 v[95:96], v[9:10], off offset:-32
	global_load_b64 v[97:98], v[9:10], off
	global_load_b64 v[99:100], v[9:10], off offset:32
	v_add_co_u32 v9, s2, 0x80, v9
	s_wait_alu 0xf1ff
	v_add_co_ci_u32_e64 v10, null, 0, v10, s2
	s_wait_loadcnt 0x5
	v_sub_co_u32 v15, vcc_lo, v15, v17
	s_wait_alu 0xfffd
	v_sub_co_ci_u32_e64 v16, null, v16, v18, vcc_lo
	s_wait_loadcnt 0x4
	v_cvt_f64_f32_e32 v[101:102], v12
	v_cvt_f64_f32_e32 v[103:104], v13
	;; [unrolled: 1-line block ×3, first 2 shown]
	v_lshlrev_b64_e32 v[15:16], 6, v[15:16]
	s_wait_loadcnt 0x3
	v_cvt_f64_f32_e32 v[107:108], v43
	v_cvt_f64_f32_e32 v[43:44], v44
	s_wait_kmcnt 0x0
	s_delay_alu instid0(VALU_DEP_3)
	v_add_co_u32 v15, vcc_lo, s4, v15
	s_wait_alu 0xfffd
	v_add_co_ci_u32_e64 v16, null, s5, v16, vcc_lo
	global_load_b128 v[47:50], v[15:16], off
	s_clause 0x1
	global_load_b128 v[51:54], v[25:26], off offset:32
	global_load_b128 v[55:58], v[25:26], off offset:48
	global_load_b128 v[59:62], v[15:16], off offset:16
	s_clause 0x1
	global_load_b128 v[63:66], v[25:26], off offset:64
	global_load_b128 v[67:70], v[25:26], off offset:80
	global_load_b128 v[71:74], v[15:16], off offset:32
	;; [unrolled: 4-line block ×3, first 2 shown]
	s_clause 0x1
	global_load_b128 v[87:90], v[25:26], off offset:512
	global_load_b128 v[91:94], v[25:26], off offset:528
	v_cvt_f64_f32_e32 v[15:16], v11
	s_wait_loadcnt 0xe
	v_sub_co_u32 v11, vcc_lo, v95, v17
	s_wait_alu 0xfffd
	v_sub_co_ci_u32_e64 v12, null, v96, v18, vcc_lo
	v_cvt_f64_f32_e32 v[95:96], v45
	v_cvt_f64_f32_e32 v[45:46], v46
	s_delay_alu instid0(VALU_DEP_3) | instskip(NEXT) | instid1(VALU_DEP_1)
	v_lshlrev_b64_e32 v[11:12], 6, v[11:12]
	v_add_co_u32 v109, vcc_lo, s4, v11
	s_wait_alu 0xfffd
	s_delay_alu instid0(VALU_DEP_2)
	v_add_co_ci_u32_e64 v110, null, s5, v12, vcc_lo
	global_load_b128 v[11:14], v[109:110], off
	s_wait_loadcnt 0xc
	v_fma_f64 v[111:112], v[15:16], v[47:48], v[33:34]
	v_fma_f64 v[113:114], v[101:102], v[47:48], v[27:28]
	;; [unrolled: 1-line block ×8, first 2 shown]
	s_clause 0x1
	global_load_b128 v[27:30], v[25:26], off offset:544
	global_load_b128 v[31:34], v[25:26], off offset:560
	s_wait_loadcnt 0xd
	v_cvt_f64_f32_e32 v[47:48], v51
	v_cvt_f64_f32_e32 v[51:52], v52
	;; [unrolled: 1-line block ×4, first 2 shown]
	s_wait_loadcnt 0xc
	v_cvt_f64_f32_e32 v[121:122], v55
	v_cvt_f64_f32_e32 v[55:56], v56
	;; [unrolled: 1-line block ×4, first 2 shown]
	s_wait_loadcnt 0x9
	v_cvt_f64_f32_e32 v[125:126], v69
	v_cvt_f64_f32_e32 v[69:70], v70
	v_fma_f64 v[101:102], -v[101:102], v[49:50], v[111:112]
	v_fma_f64 v[15:16], v[15:16], v[49:50], v[113:114]
	v_fma_f64 v[41:42], -v[105:106], v[49:50], v[41:42]
	v_fma_f64 v[103:104], v[103:104], v[49:50], v[115:116]
	v_fma_f64 v[39:40], -v[43:44], v[49:50], v[39:40]
	v_fma_f64 v[43:44], v[107:108], v[49:50], v[37:38]
	v_fma_f64 v[45:46], -v[45:46], v[49:50], v[117:118]
	v_fma_f64 v[49:50], v[95:96], v[49:50], v[35:36]
	global_load_b128 v[35:38], v[109:110], off offset:16
	v_cvt_f64_f32_e32 v[113:114], v63
	v_cvt_f64_f32_e32 v[63:64], v64
	;; [unrolled: 1-line block ×6, first 2 shown]
	v_fma_f64 v[95:96], v[47:48], v[59:60], v[101:102]
	v_fma_f64 v[15:16], v[51:52], v[59:60], v[15:16]
	;; [unrolled: 1-line block ×8, first 2 shown]
	s_clause 0x1
	global_load_b128 v[39:42], v[25:26], off offset:576
	global_load_b128 v[43:46], v[25:26], off offset:592
	v_fma_f64 v[59:60], -v[51:52], v[61:62], v[95:96]
	v_fma_f64 v[15:16], v[47:48], v[61:62], v[15:16]
	v_fma_f64 v[95:96], -v[53:54], v[61:62], v[101:102]
	v_fma_f64 v[101:102], v[119:120], v[61:62], v[103:104]
	;; [unrolled: 2-line block ×4, first 2 shown]
	s_clause 0x1
	global_load_b128 v[47:50], v[109:110], off offset:32
	global_load_b128 v[51:54], v[109:110], off offset:48
	s_wait_loadcnt 0xc
	v_cvt_f64_f32_e32 v[111:112], v75
	v_cvt_f64_f32_e32 v[75:76], v76
	;; [unrolled: 1-line block ×4, first 2 shown]
	s_wait_loadcnt 0xb
	v_cvt_f64_f32_e32 v[121:122], v79
	v_cvt_f64_f32_e32 v[79:80], v80
	;; [unrolled: 1-line block ×4, first 2 shown]
	v_fma_f64 v[105:106], v[113:114], v[71:72], v[59:60]
	v_fma_f64 v[15:16], v[63:64], v[71:72], v[15:16]
	;; [unrolled: 1-line block ×8, first 2 shown]
	s_clause 0x1
	global_load_b128 v[55:58], v[25:26], off offset:608
	global_load_b128 v[59:62], v[25:26], off offset:624
	v_fma_f64 v[63:64], -v[63:64], v[73:74], v[105:106]
	v_fma_f64 v[15:16], v[113:114], v[73:74], v[15:16]
	v_fma_f64 v[65:66], -v[65:66], v[73:74], v[95:96]
	v_fma_f64 v[95:96], v[115:116], v[73:74], v[101:102]
	;; [unrolled: 2-line block ×4, first 2 shown]
	s_wait_loadcnt 0xb
	v_cvt_f64_f32_e32 v[109:110], v87
	v_cvt_f64_f32_e32 v[87:88], v88
	;; [unrolled: 1-line block ×4, first 2 shown]
	s_wait_loadcnt 0xa
	v_cvt_f64_f32_e32 v[115:116], v91
	v_cvt_f64_f32_e32 v[91:92], v92
	;; [unrolled: 1-line block ×4, first 2 shown]
	v_fma_f64 v[73:74], v[111:112], v[83:84], v[63:64]
	v_fma_f64 v[15:16], v[75:76], v[83:84], v[15:16]
	;; [unrolled: 1-line block ×8, first 2 shown]
	s_clause 0x1
	global_load_b128 v[63:66], v[25:26], off offset:1024
	global_load_b128 v[67:70], v[25:26], off offset:1040
	v_sub_co_u32 v83, vcc_lo, v97, v17
	s_wait_alu 0xfffd
	v_sub_co_ci_u32_e64 v84, null, v98, v18, vcc_lo
	v_fma_f64 v[125:126], -v[75:76], v[85:86], v[73:74]
	v_fma_f64 v[15:16], v[111:112], v[85:86], v[15:16]
	v_fma_f64 v[103:104], -v[77:78], v[85:86], v[103:104]
	v_fma_f64 v[95:96], v[119:120], v[85:86], v[95:96]
	;; [unrolled: 2-line block ×4, first 2 shown]
	v_lshlrev_b64_e32 v[71:72], 6, v[83:84]
	s_delay_alu instid0(VALU_DEP_1) | instskip(SKIP_1) | instid1(VALU_DEP_2)
	v_add_co_u32 v97, vcc_lo, s4, v71
	s_wait_alu 0xfffd
	v_add_co_ci_u32_e64 v98, null, s5, v72, vcc_lo
	s_clause 0x1
	global_load_b128 v[71:74], v[97:98], off
	global_load_b128 v[75:78], v[97:98], off offset:16
	s_wait_loadcnt 0xd
	v_fma_f64 v[105:106], v[109:110], v[11:12], v[125:126]
	v_fma_f64 v[15:16], v[87:88], v[11:12], v[15:16]
	;; [unrolled: 1-line block ×8, first 2 shown]
	s_clause 0x1
	global_load_b128 v[79:82], v[25:26], off offset:1056
	global_load_b128 v[83:86], v[25:26], off offset:1072
	s_wait_loadcnt 0xe
	v_cvt_f64_f32_e32 v[119:120], v27
	v_cvt_f64_f32_e32 v[121:122], v28
	;; [unrolled: 1-line block ×4, first 2 shown]
	s_wait_loadcnt 0xd
	v_cvt_f64_f32_e32 v[127:128], v31
	v_cvt_f64_f32_e32 v[31:32], v32
	;; [unrolled: 1-line block ×4, first 2 shown]
	v_fma_f64 v[27:28], -v[87:88], v[13:14], v[105:106]
	v_fma_f64 v[15:16], v[109:110], v[13:14], v[15:16]
	v_fma_f64 v[29:30], -v[89:90], v[13:14], v[103:104]
	v_fma_f64 v[87:88], v[113:114], v[13:14], v[95:96]
	;; [unrolled: 2-line block ×4, first 2 shown]
	s_wait_loadcnt 0xc
	v_fma_f64 v[95:96], v[119:120], v[35:36], v[27:28]
	v_fma_f64 v[15:16], v[121:122], v[35:36], v[15:16]
	;; [unrolled: 1-line block ×8, first 2 shown]
	s_clause 0x1
	global_load_b128 v[11:14], v[25:26], off offset:1088
	global_load_b128 v[27:30], v[25:26], off offset:1104
	s_wait_loadcnt 0xd
	v_cvt_f64_f32_e32 v[103:104], v39
	v_cvt_f64_f32_e32 v[105:106], v40
	;; [unrolled: 1-line block ×4, first 2 shown]
	s_wait_loadcnt 0xc
	v_cvt_f64_f32_e32 v[111:112], v43
	v_cvt_f64_f32_e32 v[43:44], v44
	;; [unrolled: 1-line block ×4, first 2 shown]
	v_fma_f64 v[39:40], -v[121:122], v[37:38], v[95:96]
	v_fma_f64 v[15:16], v[119:120], v[37:38], v[15:16]
	v_fma_f64 v[41:42], -v[125:126], v[37:38], v[101:102]
	v_fma_f64 v[87:88], v[123:124], v[37:38], v[87:88]
	;; [unrolled: 2-line block ×4, first 2 shown]
	global_load_b128 v[31:34], v[97:98], off offset:32
	s_wait_loadcnt 0xc
	v_fma_f64 v[95:96], v[103:104], v[47:48], v[39:40]
	v_fma_f64 v[15:16], v[105:106], v[47:48], v[15:16]
	;; [unrolled: 1-line block ×8, first 2 shown]
	s_clause 0x1
	global_load_b128 v[35:38], v[25:26], off offset:1120
	global_load_b128 v[39:42], v[25:26], off offset:1136
	s_wait_loadcnt 0xc
	v_cvt_f64_f32_e32 v[115:116], v55
	v_cvt_f64_f32_e32 v[117:118], v56
	;; [unrolled: 1-line block ×4, first 2 shown]
	s_wait_loadcnt 0xb
	v_cvt_f64_f32_e32 v[123:124], v59
	v_cvt_f64_f32_e32 v[59:60], v60
	;; [unrolled: 1-line block ×4, first 2 shown]
	v_fma_f64 v[55:56], -v[105:106], v[49:50], v[95:96]
	v_fma_f64 v[15:16], v[103:104], v[49:50], v[15:16]
	v_fma_f64 v[57:58], -v[109:110], v[49:50], v[101:102]
	v_fma_f64 v[87:88], v[107:108], v[49:50], v[87:88]
	;; [unrolled: 2-line block ×4, first 2 shown]
	global_load_b128 v[43:46], v[97:98], off offset:48
	v_fma_f64 v[95:96], v[115:116], v[51:52], v[55:56]
	v_fma_f64 v[15:16], v[117:118], v[51:52], v[15:16]
	;; [unrolled: 1-line block ×8, first 2 shown]
	s_clause 0x1
	global_load_b128 v[47:50], v[25:26], off offset:1536
	global_load_b128 v[55:58], v[25:26], off offset:1552
	s_wait_loadcnt 0xd
	v_cvt_f64_f32_e32 v[101:102], v63
	v_cvt_f64_f32_e32 v[103:104], v64
	;; [unrolled: 1-line block ×4, first 2 shown]
	s_wait_loadcnt 0xc
	v_cvt_f64_f32_e32 v[109:110], v67
	v_cvt_f64_f32_e32 v[67:68], v68
	;; [unrolled: 1-line block ×4, first 2 shown]
	v_sub_co_u32 v63, vcc_lo, v99, v17
	s_wait_alu 0xfffd
	v_sub_co_ci_u32_e64 v64, null, v100, v18, vcc_lo
	v_fma_f64 v[65:66], -v[117:118], v[53:54], v[95:96]
	v_fma_f64 v[15:16], v[115:116], v[53:54], v[15:16]
	v_fma_f64 v[95:96], -v[121:122], v[53:54], v[97:98]
	v_fma_f64 v[87:88], v[119:120], v[53:54], v[87:88]
	;; [unrolled: 2-line block ×4, first 2 shown]
	v_lshlrev_b64_e32 v[51:52], 6, v[63:64]
	s_delay_alu instid0(VALU_DEP_1) | instskip(SKIP_1) | instid1(VALU_DEP_2)
	v_add_co_u32 v93, vcc_lo, s4, v51
	s_wait_alu 0xfffd
	v_add_co_ci_u32_e64 v94, null, s5, v52, vcc_lo
	v_add_co_u32 v19, vcc_lo, v19, 16
	s_wait_alu 0xfffd
	v_add_co_ci_u32_e64 v20, null, 0, v20, vcc_lo
	global_load_b128 v[51:54], v[93:94], off
	s_wait_loadcnt 0xc
	v_fma_f64 v[97:98], v[101:102], v[71:72], v[65:66]
	v_fma_f64 v[15:16], v[103:104], v[71:72], v[15:16]
	;; [unrolled: 1-line block ×8, first 2 shown]
	s_clause 0x1
	global_load_b128 v[59:62], v[25:26], off offset:1568
	global_load_b128 v[63:66], v[25:26], off offset:1584
	s_wait_loadcnt 0xc
	v_cvt_f64_f32_e32 v[91:92], v79
	v_cvt_f64_f32_e32 v[115:116], v80
	;; [unrolled: 1-line block ×4, first 2 shown]
	s_wait_loadcnt 0xb
	v_cvt_f64_f32_e32 v[121:122], v83
	v_cvt_f64_f32_e32 v[83:84], v84
	;; [unrolled: 1-line block ×4, first 2 shown]
	v_fma_f64 v[79:80], -v[103:104], v[73:74], v[97:98]
	v_fma_f64 v[15:16], v[101:102], v[73:74], v[15:16]
	v_fma_f64 v[81:82], -v[107:108], v[73:74], v[95:96]
	v_fma_f64 v[87:88], v[105:106], v[73:74], v[87:88]
	;; [unrolled: 2-line block ×4, first 2 shown]
	global_load_b128 v[67:70], v[93:94], off offset:16
	v_fma_f64 v[99:100], v[91:92], v[75:76], v[79:80]
	v_fma_f64 v[15:16], v[115:116], v[75:76], v[15:16]
	;; [unrolled: 1-line block ×8, first 2 shown]
	s_clause 0x1
	global_load_b128 v[71:74], v[25:26], off offset:1600
	global_load_b128 v[79:82], v[25:26], off offset:1616
	s_wait_loadcnt 0xd
	v_cvt_f64_f32_e32 v[103:104], v11
	v_cvt_f64_f32_e32 v[105:106], v12
	;; [unrolled: 1-line block ×4, first 2 shown]
	s_wait_loadcnt 0xc
	v_cvt_f64_f32_e32 v[111:112], v27
	v_cvt_f64_f32_e32 v[113:114], v28
	;; [unrolled: 1-line block ×4, first 2 shown]
	global_load_b128 v[11:14], v[93:94], off offset:32
	v_fma_f64 v[27:28], -v[115:116], v[77:78], v[99:100]
	v_fma_f64 v[15:16], v[91:92], v[77:78], v[15:16]
	v_fma_f64 v[29:30], -v[119:120], v[77:78], v[101:102]
	v_fma_f64 v[87:88], v[117:118], v[77:78], v[87:88]
	;; [unrolled: 2-line block ×4, first 2 shown]
	s_wait_loadcnt 0xc
	v_fma_f64 v[91:92], v[103:104], v[31:32], v[27:28]
	v_fma_f64 v[15:16], v[105:106], v[31:32], v[15:16]
	;; [unrolled: 1-line block ×8, first 2 shown]
	s_clause 0x1
	global_load_b128 v[27:30], v[25:26], off offset:1632
	global_load_b128 v[75:78], v[25:26], off offset:1648
	v_add_co_u32 v25, vcc_lo, 0x800, v25
	s_wait_alu 0xfffd
	v_add_co_ci_u32_e64 v26, null, 0, v26, vcc_lo
	v_cmp_ge_i64_e32 vcc_lo, v[19:20], v[23:24]
	s_wait_alu 0xfffe
	s_or_b32 s7, vcc_lo, s7
	s_wait_loadcnt 0xd
	v_cvt_f64_f32_e32 v[97:98], v35
	v_cvt_f64_f32_e32 v[99:100], v36
	v_cvt_f64_f32_e32 v[101:102], v37
	v_cvt_f64_f32_e32 v[37:38], v38
	s_wait_loadcnt 0xc
	v_cvt_f64_f32_e32 v[115:116], v39
	v_cvt_f64_f32_e32 v[39:40], v40
	;; [unrolled: 1-line block ×4, first 2 shown]
	v_fma_f64 v[91:92], -v[105:106], v[33:34], v[91:92]
	v_fma_f64 v[15:16], v[103:104], v[33:34], v[15:16]
	v_fma_f64 v[95:96], -v[109:110], v[33:34], v[95:96]
	v_fma_f64 v[87:88], v[107:108], v[33:34], v[87:88]
	;; [unrolled: 2-line block ×4, first 2 shown]
	global_load_b128 v[33:36], v[93:94], off offset:48
	s_wait_loadcnt 0xc
	v_fma_f64 v[91:92], v[97:98], v[43:44], v[91:92]
	v_fma_f64 v[15:16], v[99:100], v[43:44], v[15:16]
	v_fma_f64 v[93:94], v[101:102], v[43:44], v[95:96]
	v_fma_f64 v[87:88], v[37:38], v[43:44], v[87:88]
	v_fma_f64 v[83:84], v[115:116], v[43:44], v[83:84]
	v_fma_f64 v[89:90], v[39:40], v[43:44], v[89:90]
	v_fma_f64 v[85:86], v[117:118], v[43:44], v[85:86]
	v_fma_f64 v[31:32], v[41:42], v[43:44], v[31:32]
	s_wait_loadcnt 0xb
	v_cvt_f64_f32_e32 v[43:44], v47
	v_cvt_f64_f32_e32 v[47:48], v48
	v_cvt_f64_f32_e32 v[95:96], v49
	v_cvt_f64_f32_e32 v[49:50], v50
	s_wait_loadcnt 0xa
	v_cvt_f64_f32_e32 v[103:104], v55
	v_cvt_f64_f32_e32 v[55:56], v56
	v_cvt_f64_f32_e32 v[105:106], v57
	v_cvt_f64_f32_e32 v[57:58], v58
	v_fma_f64 v[91:92], -v[99:100], v[45:46], v[91:92]
	v_fma_f64 v[15:16], v[97:98], v[45:46], v[15:16]
	v_fma_f64 v[37:38], -v[37:38], v[45:46], v[93:94]
	v_fma_f64 v[87:88], v[101:102], v[45:46], v[87:88]
	v_fma_f64 v[39:40], -v[39:40], v[45:46], v[83:84]
	v_fma_f64 v[83:84], v[115:116], v[45:46], v[89:90]
	v_fma_f64 v[41:42], -v[41:42], v[45:46], v[85:86]
	v_fma_f64 v[31:32], v[117:118], v[45:46], v[31:32]
	s_wait_loadcnt 0x9
	v_fma_f64 v[45:46], v[43:44], v[51:52], v[91:92]
	v_fma_f64 v[15:16], v[47:48], v[51:52], v[15:16]
	v_fma_f64 v[37:38], v[95:96], v[51:52], v[37:38]
	v_fma_f64 v[85:86], v[49:50], v[51:52], v[87:88]
	v_fma_f64 v[39:40], v[103:104], v[51:52], v[39:40]
	v_fma_f64 v[83:84], v[55:56], v[51:52], v[83:84]
	v_fma_f64 v[41:42], v[105:106], v[51:52], v[41:42]
	v_fma_f64 v[31:32], v[57:58], v[51:52], v[31:32]
	s_wait_loadcnt 0x8
	v_cvt_f64_f32_e32 v[51:52], v59
	v_cvt_f64_f32_e32 v[59:60], v60
	v_cvt_f64_f32_e32 v[87:88], v61
	v_cvt_f64_f32_e32 v[61:62], v62
	s_wait_loadcnt 0x7
	v_cvt_f64_f32_e32 v[89:90], v63
	v_cvt_f64_f32_e32 v[63:64], v64
	v_cvt_f64_f32_e32 v[91:92], v65
	v_cvt_f64_f32_e32 v[65:66], v66
	v_fma_f64 v[45:46], -v[47:48], v[53:54], v[45:46]
	v_fma_f64 v[15:16], v[43:44], v[53:54], v[15:16]
	v_fma_f64 v[37:38], -v[49:50], v[53:54], v[37:38]
	v_fma_f64 v[43:44], v[95:96], v[53:54], v[85:86]
	v_fma_f64 v[39:40], -v[55:56], v[53:54], v[39:40]
	v_fma_f64 v[47:48], v[103:104], v[53:54], v[83:84]
	v_fma_f64 v[41:42], -v[57:58], v[53:54], v[41:42]
	v_fma_f64 v[31:32], v[105:106], v[53:54], v[31:32]
	;; [unrolled: 27-line block ×4, first 2 shown]
	s_wait_loadcnt 0x0
	v_fma_f64 v[13:14], v[31:32], v[33:34], v[45:46]
	v_fma_f64 v[15:16], v[27:28], v[33:34], v[15:16]
	;; [unrolled: 1-line block ×8, first 2 shown]
	v_fma_f64 v[33:34], -v[27:28], v[35:36], v[13:14]
	v_fma_f64 v[27:28], v[31:32], v[35:36], v[15:16]
	v_fma_f64 v[41:42], -v[29:30], v[35:36], v[37:38]
	v_fma_f64 v[31:32], v[51:52], v[35:36], v[43:44]
	;; [unrolled: 2-line block ×4, first 2 shown]
	s_wait_alu 0xfffe
	s_and_not1_b32 exec_lo, exec_lo, s7
	s_cbranch_execnz .LBB175_33
; %bb.34:
	s_or_b32 exec_lo, exec_lo, s7
.LBB175_35:
	s_wait_alu 0xfffe
	s_or_b32 exec_lo, exec_lo, s6
.LBB175_36:
	s_wait_alu 0xfffe
	s_or_b32 exec_lo, exec_lo, s3
.LBB175_37:
	v_mbcnt_lo_u32_b32 v45, -1, 0
	s_delay_alu instid0(VALU_DEP_1) | instskip(NEXT) | instid1(VALU_DEP_1)
	v_xor_b32_e32 v9, 2, v45
	v_cmp_gt_i32_e32 vcc_lo, 32, v9
	s_wait_alu 0xfffd
	v_cndmask_b32_e32 v9, v45, v9, vcc_lo
	s_delay_alu instid0(VALU_DEP_1)
	v_lshlrev_b32_e32 v25, 2, v9
	ds_bpermute_b32 v9, v25, v33
	ds_bpermute_b32 v10, v25, v34
	;; [unrolled: 1-line block ×16, first 2 shown]
	s_wait_dscnt 0xe
	v_add_f64_e32 v[9:10], v[33:34], v[9:10]
	s_wait_dscnt 0xc
	v_add_f64_e32 v[33:34], v[27:28], v[11:12]
	;; [unrolled: 2-line block ×7, first 2 shown]
	v_xor_b32_e32 v23, 1, v45
	s_wait_dscnt 0x0
	v_add_f64_e32 v[17:18], v[35:36], v[43:44]
	s_delay_alu instid0(VALU_DEP_2) | instskip(SKIP_3) | instid1(VALU_DEP_2)
	v_cmp_gt_i32_e32 vcc_lo, 32, v23
	s_wait_alu 0xfffd
	v_cndmask_b32_e32 v23, v45, v23, vcc_lo
	v_cmp_eq_u32_e32 vcc_lo, 3, v0
	v_lshlrev_b32_e32 v36, 2, v23
	ds_bpermute_b32 v23, v36, v9
	ds_bpermute_b32 v24, v36, v10
	ds_bpermute_b32 v41, v36, v33
	ds_bpermute_b32 v42, v36, v34
	ds_bpermute_b32 v27, v36, v11
	ds_bpermute_b32 v28, v36, v12
	ds_bpermute_b32 v39, v36, v25
	ds_bpermute_b32 v40, v36, v26
	ds_bpermute_b32 v29, v36, v13
	ds_bpermute_b32 v30, v36, v14
	ds_bpermute_b32 v37, v36, v19
	ds_bpermute_b32 v38, v36, v20
	ds_bpermute_b32 v31, v36, v15
	ds_bpermute_b32 v32, v36, v16
	ds_bpermute_b32 v35, v36, v17
	ds_bpermute_b32 v36, v36, v18
	s_and_b32 exec_lo, exec_lo, vcc_lo
	s_cbranch_execz .LBB175_8
; %bb.38:
	s_wait_dscnt 0xc
	v_add_f64_e32 v[33:34], v[33:34], v[41:42]
	s_wait_dscnt 0x8
	v_add_f64_e32 v[25:26], v[25:26], v[39:40]
	;; [unrolled: 2-line block ×4, first 2 shown]
	v_add_f64_e32 v[9:10], v[9:10], v[23:24]
	v_add_f64_e32 v[11:12], v[11:12], v[27:28]
	;; [unrolled: 1-line block ×4, first 2 shown]
	v_cmp_eq_f64_e32 vcc_lo, 0, v[1:2]
	v_cmp_eq_f64_e64 s2, 0, v[3:4]
	s_load_b64 s[0:1], s[0:1], 0x68
	v_lshlrev_b64_e32 v[21:22], 6, v[21:22]
	v_mul_f64_e64 v[13:14], v[33:34], -v[7:8]
	v_mul_f64_e32 v[15:16], v[5:6], v[33:34]
	v_mul_f64_e64 v[29:30], v[25:26], -v[7:8]
	v_mul_f64_e32 v[25:26], v[5:6], v[25:26]
	;; [unrolled: 2-line block ×4, first 2 shown]
	s_and_b32 s2, vcc_lo, s2
	v_fma_f64 v[17:18], v[5:6], v[9:10], v[13:14]
	v_fma_f64 v[19:20], v[7:8], v[9:10], v[15:16]
	;; [unrolled: 1-line block ×8, first 2 shown]
	s_wait_alu 0xfffe
	s_and_saveexec_b32 s3, s2
	s_wait_alu 0xfffe
	s_xor_b32 s2, exec_lo, s3
	s_cbranch_execz .LBB175_40
; %bb.39:
	s_wait_kmcnt 0x0
	v_add_co_u32 v0, vcc_lo, s0, v21
	s_wait_alu 0xfffd
	v_add_co_ci_u32_e64 v1, null, s1, v22, vcc_lo
                                        ; implicit-def: $vgpr21_vgpr22
	s_clause 0x3
	global_store_b128 v[0:1], v[17:20], off
	global_store_b128 v[0:1], v[13:16], off offset:16
	global_store_b128 v[0:1], v[9:12], off offset:32
	;; [unrolled: 1-line block ×3, first 2 shown]
                                        ; implicit-def: $vgpr3_vgpr4
                                        ; implicit-def: $vgpr17_vgpr18
                                        ; implicit-def: $vgpr13_vgpr14
                                        ; implicit-def: $vgpr9_vgpr10
                                        ; implicit-def: $vgpr5_vgpr6
.LBB175_40:
	s_wait_alu 0xfffe
	s_and_not1_saveexec_b32 s2, s2
	s_cbranch_execz .LBB175_8
; %bb.41:
	s_wait_kmcnt 0x0
	v_add_co_u32 v37, vcc_lo, s0, v21
	s_wait_alu 0xfffd
	v_add_co_ci_u32_e64 v38, null, s1, v22, vcc_lo
	s_clause 0x3
	global_load_b128 v[21:24], v[37:38], off
	global_load_b128 v[25:28], v[37:38], off offset:16
	global_load_b128 v[29:32], v[37:38], off offset:32
	;; [unrolled: 1-line block ×3, first 2 shown]
	s_wait_loadcnt 0x3
	v_fma_f64 v[17:18], v[1:2], v[21:22], v[17:18]
	v_fma_f64 v[19:20], v[3:4], v[21:22], v[19:20]
	s_wait_loadcnt 0x2
	v_fma_f64 v[13:14], v[1:2], v[25:26], v[13:14]
	v_fma_f64 v[15:16], v[3:4], v[25:26], v[15:16]
	;; [unrolled: 3-line block ×4, first 2 shown]
	v_fma_f64 v[5:6], -v[3:4], v[23:24], v[17:18]
	v_fma_f64 v[7:8], v[1:2], v[23:24], v[19:20]
	v_fma_f64 v[9:10], -v[3:4], v[27:28], v[13:14]
	v_fma_f64 v[11:12], v[1:2], v[27:28], v[15:16]
	;; [unrolled: 2-line block ×4, first 2 shown]
	s_clause 0x3
	global_store_b128 v[37:38], v[5:8], off
	global_store_b128 v[37:38], v[9:12], off offset:16
	global_store_b128 v[37:38], v[13:16], off offset:32
	;; [unrolled: 1-line block ×3, first 2 shown]
	s_nop 0
	s_sendmsg sendmsg(MSG_DEALLOC_VGPRS)
	s_endpgm
	.section	.rodata,"a",@progbits
	.p2align	6, 0x0
	.amdhsa_kernel _ZN9rocsparseL18bsrxmvn_4x4_kernelILj128ELj4E21rocsparse_complex_numIdEllS1_IfES2_S2_EEvT3_20rocsparse_direction_NS_24const_host_device_scalarIT1_EES4_PKS4_PKT2_SD_SA_PKT4_PKT5_S8_PT6_21rocsparse_index_base_b
		.amdhsa_group_segment_fixed_size 0
		.amdhsa_private_segment_fixed_size 0
		.amdhsa_kernarg_size 120
		.amdhsa_user_sgpr_count 2
		.amdhsa_user_sgpr_dispatch_ptr 0
		.amdhsa_user_sgpr_queue_ptr 0
		.amdhsa_user_sgpr_kernarg_segment_ptr 1
		.amdhsa_user_sgpr_dispatch_id 0
		.amdhsa_user_sgpr_private_segment_size 0
		.amdhsa_wavefront_size32 1
		.amdhsa_uses_dynamic_stack 0
		.amdhsa_enable_private_segment 0
		.amdhsa_system_sgpr_workgroup_id_x 1
		.amdhsa_system_sgpr_workgroup_id_y 0
		.amdhsa_system_sgpr_workgroup_id_z 0
		.amdhsa_system_sgpr_workgroup_info 0
		.amdhsa_system_vgpr_workitem_id 0
		.amdhsa_next_free_vgpr 139
		.amdhsa_next_free_sgpr 12
		.amdhsa_reserve_vcc 1
		.amdhsa_float_round_mode_32 0
		.amdhsa_float_round_mode_16_64 0
		.amdhsa_float_denorm_mode_32 3
		.amdhsa_float_denorm_mode_16_64 3
		.amdhsa_fp16_overflow 0
		.amdhsa_workgroup_processor_mode 1
		.amdhsa_memory_ordered 1
		.amdhsa_forward_progress 1
		.amdhsa_inst_pref_size 96
		.amdhsa_round_robin_scheduling 0
		.amdhsa_exception_fp_ieee_invalid_op 0
		.amdhsa_exception_fp_denorm_src 0
		.amdhsa_exception_fp_ieee_div_zero 0
		.amdhsa_exception_fp_ieee_overflow 0
		.amdhsa_exception_fp_ieee_underflow 0
		.amdhsa_exception_fp_ieee_inexact 0
		.amdhsa_exception_int_div_zero 0
	.end_amdhsa_kernel
	.section	.text._ZN9rocsparseL18bsrxmvn_4x4_kernelILj128ELj4E21rocsparse_complex_numIdEllS1_IfES2_S2_EEvT3_20rocsparse_direction_NS_24const_host_device_scalarIT1_EES4_PKS4_PKT2_SD_SA_PKT4_PKT5_S8_PT6_21rocsparse_index_base_b,"axG",@progbits,_ZN9rocsparseL18bsrxmvn_4x4_kernelILj128ELj4E21rocsparse_complex_numIdEllS1_IfES2_S2_EEvT3_20rocsparse_direction_NS_24const_host_device_scalarIT1_EES4_PKS4_PKT2_SD_SA_PKT4_PKT5_S8_PT6_21rocsparse_index_base_b,comdat
.Lfunc_end175:
	.size	_ZN9rocsparseL18bsrxmvn_4x4_kernelILj128ELj4E21rocsparse_complex_numIdEllS1_IfES2_S2_EEvT3_20rocsparse_direction_NS_24const_host_device_scalarIT1_EES4_PKS4_PKT2_SD_SA_PKT4_PKT5_S8_PT6_21rocsparse_index_base_b, .Lfunc_end175-_ZN9rocsparseL18bsrxmvn_4x4_kernelILj128ELj4E21rocsparse_complex_numIdEllS1_IfES2_S2_EEvT3_20rocsparse_direction_NS_24const_host_device_scalarIT1_EES4_PKS4_PKT2_SD_SA_PKT4_PKT5_S8_PT6_21rocsparse_index_base_b
                                        ; -- End function
	.set _ZN9rocsparseL18bsrxmvn_4x4_kernelILj128ELj4E21rocsparse_complex_numIdEllS1_IfES2_S2_EEvT3_20rocsparse_direction_NS_24const_host_device_scalarIT1_EES4_PKS4_PKT2_SD_SA_PKT4_PKT5_S8_PT6_21rocsparse_index_base_b.num_vgpr, 139
	.set _ZN9rocsparseL18bsrxmvn_4x4_kernelILj128ELj4E21rocsparse_complex_numIdEllS1_IfES2_S2_EEvT3_20rocsparse_direction_NS_24const_host_device_scalarIT1_EES4_PKS4_PKT2_SD_SA_PKT4_PKT5_S8_PT6_21rocsparse_index_base_b.num_agpr, 0
	.set _ZN9rocsparseL18bsrxmvn_4x4_kernelILj128ELj4E21rocsparse_complex_numIdEllS1_IfES2_S2_EEvT3_20rocsparse_direction_NS_24const_host_device_scalarIT1_EES4_PKS4_PKT2_SD_SA_PKT4_PKT5_S8_PT6_21rocsparse_index_base_b.numbered_sgpr, 12
	.set _ZN9rocsparseL18bsrxmvn_4x4_kernelILj128ELj4E21rocsparse_complex_numIdEllS1_IfES2_S2_EEvT3_20rocsparse_direction_NS_24const_host_device_scalarIT1_EES4_PKS4_PKT2_SD_SA_PKT4_PKT5_S8_PT6_21rocsparse_index_base_b.num_named_barrier, 0
	.set _ZN9rocsparseL18bsrxmvn_4x4_kernelILj128ELj4E21rocsparse_complex_numIdEllS1_IfES2_S2_EEvT3_20rocsparse_direction_NS_24const_host_device_scalarIT1_EES4_PKS4_PKT2_SD_SA_PKT4_PKT5_S8_PT6_21rocsparse_index_base_b.private_seg_size, 0
	.set _ZN9rocsparseL18bsrxmvn_4x4_kernelILj128ELj4E21rocsparse_complex_numIdEllS1_IfES2_S2_EEvT3_20rocsparse_direction_NS_24const_host_device_scalarIT1_EES4_PKS4_PKT2_SD_SA_PKT4_PKT5_S8_PT6_21rocsparse_index_base_b.uses_vcc, 1
	.set _ZN9rocsparseL18bsrxmvn_4x4_kernelILj128ELj4E21rocsparse_complex_numIdEllS1_IfES2_S2_EEvT3_20rocsparse_direction_NS_24const_host_device_scalarIT1_EES4_PKS4_PKT2_SD_SA_PKT4_PKT5_S8_PT6_21rocsparse_index_base_b.uses_flat_scratch, 0
	.set _ZN9rocsparseL18bsrxmvn_4x4_kernelILj128ELj4E21rocsparse_complex_numIdEllS1_IfES2_S2_EEvT3_20rocsparse_direction_NS_24const_host_device_scalarIT1_EES4_PKS4_PKT2_SD_SA_PKT4_PKT5_S8_PT6_21rocsparse_index_base_b.has_dyn_sized_stack, 0
	.set _ZN9rocsparseL18bsrxmvn_4x4_kernelILj128ELj4E21rocsparse_complex_numIdEllS1_IfES2_S2_EEvT3_20rocsparse_direction_NS_24const_host_device_scalarIT1_EES4_PKS4_PKT2_SD_SA_PKT4_PKT5_S8_PT6_21rocsparse_index_base_b.has_recursion, 0
	.set _ZN9rocsparseL18bsrxmvn_4x4_kernelILj128ELj4E21rocsparse_complex_numIdEllS1_IfES2_S2_EEvT3_20rocsparse_direction_NS_24const_host_device_scalarIT1_EES4_PKS4_PKT2_SD_SA_PKT4_PKT5_S8_PT6_21rocsparse_index_base_b.has_indirect_call, 0
	.section	.AMDGPU.csdata,"",@progbits
; Kernel info:
; codeLenInByte = 12252
; TotalNumSgprs: 14
; NumVgprs: 139
; ScratchSize: 0
; MemoryBound: 0
; FloatMode: 240
; IeeeMode: 1
; LDSByteSize: 0 bytes/workgroup (compile time only)
; SGPRBlocks: 0
; VGPRBlocks: 17
; NumSGPRsForWavesPerEU: 14
; NumVGPRsForWavesPerEU: 139
; Occupancy: 10
; WaveLimiterHint : 1
; COMPUTE_PGM_RSRC2:SCRATCH_EN: 0
; COMPUTE_PGM_RSRC2:USER_SGPR: 2
; COMPUTE_PGM_RSRC2:TRAP_HANDLER: 0
; COMPUTE_PGM_RSRC2:TGID_X_EN: 1
; COMPUTE_PGM_RSRC2:TGID_Y_EN: 0
; COMPUTE_PGM_RSRC2:TGID_Z_EN: 0
; COMPUTE_PGM_RSRC2:TIDIG_COMP_CNT: 0
	.section	.text._ZN9rocsparseL18bsrxmvn_4x4_kernelILj128ELj8E21rocsparse_complex_numIdEllS1_IfES2_S2_EEvT3_20rocsparse_direction_NS_24const_host_device_scalarIT1_EES4_PKS4_PKT2_SD_SA_PKT4_PKT5_S8_PT6_21rocsparse_index_base_b,"axG",@progbits,_ZN9rocsparseL18bsrxmvn_4x4_kernelILj128ELj8E21rocsparse_complex_numIdEllS1_IfES2_S2_EEvT3_20rocsparse_direction_NS_24const_host_device_scalarIT1_EES4_PKS4_PKT2_SD_SA_PKT4_PKT5_S8_PT6_21rocsparse_index_base_b,comdat
	.globl	_ZN9rocsparseL18bsrxmvn_4x4_kernelILj128ELj8E21rocsparse_complex_numIdEllS1_IfES2_S2_EEvT3_20rocsparse_direction_NS_24const_host_device_scalarIT1_EES4_PKS4_PKT2_SD_SA_PKT4_PKT5_S8_PT6_21rocsparse_index_base_b ; -- Begin function _ZN9rocsparseL18bsrxmvn_4x4_kernelILj128ELj8E21rocsparse_complex_numIdEllS1_IfES2_S2_EEvT3_20rocsparse_direction_NS_24const_host_device_scalarIT1_EES4_PKS4_PKT2_SD_SA_PKT4_PKT5_S8_PT6_21rocsparse_index_base_b
	.p2align	8
	.type	_ZN9rocsparseL18bsrxmvn_4x4_kernelILj128ELj8E21rocsparse_complex_numIdEllS1_IfES2_S2_EEvT3_20rocsparse_direction_NS_24const_host_device_scalarIT1_EES4_PKS4_PKT2_SD_SA_PKT4_PKT5_S8_PT6_21rocsparse_index_base_b,@function
_ZN9rocsparseL18bsrxmvn_4x4_kernelILj128ELj8E21rocsparse_complex_numIdEllS1_IfES2_S2_EEvT3_20rocsparse_direction_NS_24const_host_device_scalarIT1_EES4_PKS4_PKT2_SD_SA_PKT4_PKT5_S8_PT6_21rocsparse_index_base_b: ; @_ZN9rocsparseL18bsrxmvn_4x4_kernelILj128ELj8E21rocsparse_complex_numIdEllS1_IfES2_S2_EEvT3_20rocsparse_direction_NS_24const_host_device_scalarIT1_EES4_PKS4_PKT2_SD_SA_PKT4_PKT5_S8_PT6_21rocsparse_index_base_b
; %bb.0:
	s_clause 0x1
	s_load_b64 s[4:5], s[0:1], 0x70
	s_load_b64 s[2:3], s[0:1], 0x10
	s_add_nc_u64 s[6:7], s[0:1], 16
	s_load_b64 s[8:9], s[0:1], 0x58
	s_wait_kmcnt 0x0
	s_bitcmp1_b32 s5, 0
	s_cselect_b32 s2, s6, s2
	s_cselect_b32 s3, s7, s3
	s_delay_alu instid0(SALU_CYCLE_1)
	v_dual_mov_b32 v1, s2 :: v_dual_mov_b32 v2, s3
	s_add_nc_u64 s[2:3], s[0:1], 0x58
	s_wait_alu 0xfffe
	s_cselect_b32 s2, s2, s8
	s_cselect_b32 s3, s3, s9
	flat_load_b128 v[5:8], v[1:2]
	s_wait_alu 0xfffe
	v_dual_mov_b32 v1, s2 :: v_dual_mov_b32 v2, s3
	flat_load_b128 v[1:4], v[1:2]
	s_wait_loadcnt_dscnt 0x101
	v_cmp_eq_f64_e32 vcc_lo, 0, v[5:6]
	v_cmp_eq_f64_e64 s2, 0, v[7:8]
	s_and_b32 s5, vcc_lo, s2
	s_mov_b32 s2, -1
	s_and_saveexec_b32 s3, s5
	s_cbranch_execz .LBB176_2
; %bb.1:
	s_wait_loadcnt_dscnt 0x0
	v_cmp_neq_f64_e32 vcc_lo, 1.0, v[1:2]
	v_cmp_neq_f64_e64 s2, 0, v[3:4]
	s_wait_alu 0xfffe
	s_or_b32 s2, vcc_lo, s2
	s_wait_alu 0xfffe
	s_or_not1_b32 s2, s2, exec_lo
.LBB176_2:
	s_wait_alu 0xfffe
	s_or_b32 exec_lo, exec_lo, s3
	s_and_saveexec_b32 s3, s2
	s_cbranch_execz .LBB176_8
; %bb.3:
	s_load_b64 s[2:3], s[0:1], 0x28
	v_lshrrev_b32_e32 v9, 3, v0
	v_mov_b32_e32 v10, 0
	s_delay_alu instid0(VALU_DEP_2)
	v_lshl_or_b32 v9, ttmp9, 4, v9
	s_wait_kmcnt 0x0
	s_cmp_lg_u64 s[2:3], 0
	s_cbranch_scc0 .LBB176_9
; %bb.4:
	s_load_b64 s[6:7], s[0:1], 0x20
                                        ; implicit-def: $vgpr21_vgpr22
                                        ; implicit-def: $vgpr17_vgpr18
	s_wait_kmcnt 0x0
	v_cmp_gt_i64_e32 vcc_lo, s[6:7], v[9:10]
	s_mov_b32 s7, 0
	s_mov_b32 s6, 0
	s_and_saveexec_b32 s5, vcc_lo
	s_delay_alu instid0(SALU_CYCLE_1)
	s_xor_b32 s8, exec_lo, s5
	s_cbranch_execz .LBB176_6
; %bb.5:
	v_lshlrev_b64_e32 v[11:12], 3, v[9:10]
	s_mov_b32 s5, 0
	s_mov_b32 s6, exec_lo
	v_dual_mov_b32 v18, s5 :: v_dual_mov_b32 v17, s4
	s_delay_alu instid0(VALU_DEP_2) | instskip(NEXT) | instid1(VALU_DEP_1)
	v_add_co_u32 v11, vcc_lo, s2, v11
	v_add_co_ci_u32_e64 v12, null, s3, v12, vcc_lo
	global_load_b64 v[11:12], v[11:12], off
	s_wait_loadcnt 0x0
	v_sub_co_u32 v21, vcc_lo, v11, s4
	s_wait_alu 0xfffd
	v_subrev_co_ci_u32_e64 v22, null, 0, v12, vcc_lo
.LBB176_6:
	s_or_b32 exec_lo, exec_lo, s8
	s_wait_alu 0xfffe
	s_and_b32 vcc_lo, exec_lo, s7
	s_wait_alu 0xfffe
	s_cbranch_vccnz .LBB176_10
.LBB176_7:
	s_and_b32 exec_lo, exec_lo, s6
	s_cbranch_execnz .LBB176_13
.LBB176_8:
	s_nop 0
	s_sendmsg sendmsg(MSG_DEALLOC_VGPRS)
	s_endpgm
.LBB176_9:
	s_mov_b32 s6, 0
                                        ; implicit-def: $vgpr21_vgpr22
                                        ; implicit-def: $vgpr17_vgpr18
	s_cbranch_execz .LBB176_7
.LBB176_10:
	s_load_b64 s[2:3], s[0:1], 0x0
	s_wait_kmcnt 0x0
	v_cmp_gt_i64_e32 vcc_lo, s[2:3], v[9:10]
	s_and_saveexec_b32 s2, vcc_lo
; %bb.11:
	s_mov_b32 s5, 0
	s_or_b32 s6, s6, exec_lo
; %bb.12:
	s_wait_alu 0xfffe
	s_or_b32 exec_lo, exec_lo, s2
	v_dual_mov_b32 v18, s5 :: v_dual_mov_b32 v17, s4
	v_dual_mov_b32 v22, v10 :: v_dual_mov_b32 v21, v9
	s_and_b32 exec_lo, exec_lo, s6
	s_cbranch_execz .LBB176_8
.LBB176_13:
	s_load_b256 s[4:11], s[0:1], 0x30
	s_delay_alu instid0(VALU_DEP_1) | instskip(SKIP_3) | instid1(VALU_DEP_2)
	v_lshlrev_b64_e32 v[9:10], 3, v[21:22]
	v_and_b32_e32 v0, 7, v0
	s_load_b32 s3, s[0:1], 0x8
	s_wait_kmcnt 0x0
	v_add_co_u32 v11, vcc_lo, s4, v9
	s_wait_alu 0xfffd
	v_add_co_ci_u32_e64 v12, null, s5, v10, vcc_lo
	v_add_co_u32 v9, vcc_lo, s6, v9
	s_wait_alu 0xfffd
	v_add_co_ci_u32_e64 v10, null, s7, v10, vcc_lo
	v_add_co_u32 v13, vcc_lo, v11, 8
	s_wait_alu 0xfffd
	v_add_co_ci_u32_e64 v14, null, 0, v12, vcc_lo
	global_load_b64 v[43:44], v[11:12], off
	s_cmp_eq_u64 s[6:7], 0
	s_load_b64 s[4:5], s[0:1], 0x50
	s_cselect_b32 vcc_lo, -1, 0
	s_cmp_eq_u32 s3, 1
	s_wait_alu 0xfffe
	v_dual_cndmask_b32 v10, v10, v14 :: v_dual_cndmask_b32 v9, v9, v13
	global_load_b64 v[9:10], v[9:10], off
	s_wait_loadcnt 0x1
	v_sub_co_u32 v11, vcc_lo, v43, v17
	s_wait_alu 0xfffd
	v_sub_co_ci_u32_e64 v12, null, v44, v18, vcc_lo
	s_delay_alu instid0(VALU_DEP_2) | instskip(SKIP_1) | instid1(VALU_DEP_2)
	v_add_co_u32 v19, vcc_lo, v11, v0
	s_wait_alu 0xfffd
	v_add_co_ci_u32_e64 v20, null, 0, v12, vcc_lo
	s_wait_loadcnt 0x0
	v_sub_co_u32 v23, vcc_lo, v9, v17
	s_wait_alu 0xfffd
	v_sub_co_ci_u32_e64 v24, null, v10, v18, vcc_lo
	v_lshlrev_b64_e32 v[9:10], 7, v[19:20]
	s_delay_alu instid0(VALU_DEP_2) | instskip(NEXT) | instid1(VALU_DEP_2)
	v_cmp_lt_i64_e64 s2, v[19:20], v[23:24]
	v_add_co_u32 v25, vcc_lo, s10, v9
	s_wait_alu 0xfffd
	s_delay_alu instid0(VALU_DEP_3)
	v_add_co_ci_u32_e64 v26, null, s11, v10, vcc_lo
	s_cbranch_scc1 .LBB176_25
; %bb.14:
	v_mov_b32_e32 v27, 0
	v_mov_b32_e32 v31, 0
	;; [unrolled: 1-line block ×3, first 2 shown]
	v_dual_mov_b32 v35, 0 :: v_dual_mov_b32 v28, 0
	v_dual_mov_b32 v33, 0 :: v_dual_mov_b32 v32, 0
	;; [unrolled: 1-line block ×5, first 2 shown]
	v_mov_b32_e32 v42, 0
	v_mov_b32_e32 v40, 0
	;; [unrolled: 1-line block ×3, first 2 shown]
	s_and_saveexec_b32 s6, s2
	s_cbranch_execz .LBB176_24
; %bb.15:
	v_or_b32_e32 v9, 8, v0
	v_not_b32_e32 v13, v43
	v_dual_mov_b32 v12, 0 :: v_dual_mov_b32 v29, 0
	v_not_b32_e32 v11, v44
	s_delay_alu instid0(VALU_DEP_4) | instskip(SKIP_3) | instid1(VALU_DEP_3)
	v_sub_co_u32 v9, vcc_lo, v9, v17
	s_wait_alu 0xfffd
	v_sub_co_ci_u32_e64 v10, null, 0, v18, vcc_lo
	v_mov_b32_e32 v41, 0
	v_add_co_u32 v9, vcc_lo, v9, v43
	s_wait_alu 0xfffd
	s_delay_alu instid0(VALU_DEP_3) | instskip(SKIP_3) | instid1(VALU_DEP_3)
	v_add_co_ci_u32_e64 v10, null, v10, v44, vcc_lo
	v_sub_co_u32 v14, vcc_lo, v17, v0
	s_wait_alu 0xfffd
	v_subrev_co_ci_u32_e64 v15, null, 0, v18, vcc_lo
	v_cmp_gt_i64_e32 vcc_lo, v[9:10], v[23:24]
	v_mov_b32_e32 v30, 0
	v_add_co_u32 v13, s3, v14, v13
	s_wait_alu 0xf1ff
	v_add_co_ci_u32_e64 v11, null, v15, v11, s3
	s_wait_alu 0xfffd
	v_dual_cndmask_b32 v9, v23, v9 :: v_dual_cndmask_b32 v10, v24, v10
	v_mov_b32_e32 v35, 0
	v_dual_mov_b32 v36, 0 :: v_dual_mov_b32 v39, 0
	s_delay_alu instid0(VALU_DEP_3)
	v_add_co_u32 v9, vcc_lo, v13, v9
	v_dual_mov_b32 v33, 0 :: v_dual_mov_b32 v40, 0
	v_dual_mov_b32 v37, 0 :: v_dual_mov_b32 v42, 0
	;; [unrolled: 1-line block ×4, first 2 shown]
	s_wait_alu 0xfffd
	v_add_co_ci_u32_e64 v10, null, v11, v10, vcc_lo
	v_dual_mov_b32 v32, 0 :: v_dual_and_b32 v11, 24, v9
	v_mov_b32_e32 v28, 0
	v_dual_mov_b32 v48, v26 :: v_dual_mov_b32 v47, v25
	v_dual_mov_b32 v46, v20 :: v_dual_mov_b32 v45, v19
	s_mov_b32 s7, exec_lo
	v_cmpx_ne_u64_e32 24, v[11:12]
	s_cbranch_execz .LBB176_19
; %bb.16:
	v_lshrrev_b32_e32 v13, 3, v9
	v_lshlrev_b64_e32 v[11:12], 3, v[19:20]
	v_dual_mov_b32 v27, 0 :: v_dual_mov_b32 v46, v20
	v_mov_b32_e32 v37, 0
	s_delay_alu instid0(VALU_DEP_4) | instskip(NEXT) | instid1(VALU_DEP_4)
	v_dual_mov_b32 v28, 0 :: v_dual_add_nc_u32 v13, 1, v13
	v_add_co_u32 v11, vcc_lo, s8, v11
	v_mov_b32_e32 v33, 0
	s_delay_alu instid0(VALU_DEP_3) | instskip(SKIP_3) | instid1(VALU_DEP_4)
	v_dual_mov_b32 v38, 0 :: v_dual_and_b32 v13, 3, v13
	v_mov_b32_e32 v31, 0
	v_mov_b32_e32 v41, 0
	;; [unrolled: 1-line block ×3, first 2 shown]
	v_sub_co_u32 v13, s3, 0, v13
	v_dual_mov_b32 v35, 0 :: v_dual_mov_b32 v48, v26
	v_mov_b32_e32 v29, 0
	v_dual_mov_b32 v45, v19 :: v_dual_mov_b32 v34, 0
	v_mov_b32_e32 v32, 0
	s_wait_alu 0xfffd
	v_add_co_ci_u32_e64 v12, null, s9, v12, vcc_lo
	s_wait_alu 0xf1ff
	v_sub_co_ci_u32_e64 v14, null, 0, 0, s3
	v_mov_b32_e32 v42, 0
	v_mov_b32_e32 v40, 0
	;; [unrolled: 1-line block ×3, first 2 shown]
	v_dual_mov_b32 v30, 0 :: v_dual_mov_b32 v47, v25
	s_mov_b32 s10, 0
.LBB176_17:                             ; =>This Inner Loop Header: Depth=1
	global_load_b64 v[15:16], v[11:12], off
	s_clause 0x3
	global_load_b128 v[49:52], v[47:48], off
	global_load_b128 v[53:56], v[47:48], off offset:32
	global_load_b128 v[57:60], v[47:48], off offset:64
	;; [unrolled: 1-line block ×3, first 2 shown]
	v_add_co_u32 v11, s3, v11, 64
	s_wait_alu 0xf1ff
	v_add_co_ci_u32_e64 v12, null, 0, v12, s3
	s_wait_loadcnt 0x4
	v_sub_co_u32 v15, vcc_lo, v15, v17
	s_wait_alu 0xfffd
	v_sub_co_ci_u32_e64 v16, null, v16, v18, vcc_lo
	s_wait_loadcnt 0x2
	v_cvt_f64_f32_e32 v[97:98], v53
	v_cvt_f64_f32_e32 v[53:54], v54
	s_wait_loadcnt 0x1
	v_cvt_f64_f32_e32 v[99:100], v57
	v_lshlrev_b64_e32 v[15:16], 6, v[15:16]
	v_cvt_f64_f32_e32 v[57:58], v58
	s_wait_loadcnt 0x0
	v_cvt_f64_f32_e32 v[101:102], v61
	v_cvt_f64_f32_e32 v[61:62], v62
	;; [unrolled: 1-line block ×4, first 2 shown]
	s_wait_kmcnt 0x0
	v_add_co_u32 v15, vcc_lo, s4, v15
	s_wait_alu 0xfffd
	v_add_co_ci_u32_e64 v16, null, s5, v16, vcc_lo
	v_cvt_f64_f32_e32 v[105:106], v59
	v_cvt_f64_f32_e32 v[59:60], v60
	;; [unrolled: 1-line block ×3, first 2 shown]
	s_clause 0x1
	global_load_b128 v[65:68], v[15:16], off
	global_load_b128 v[69:72], v[15:16], off offset:16
	s_clause 0x3
	global_load_b128 v[73:76], v[47:48], off offset:16
	global_load_b128 v[77:80], v[47:48], off offset:48
	;; [unrolled: 1-line block ×4, first 2 shown]
	s_clause 0x1
	global_load_b128 v[89:92], v[15:16], off offset:32
	global_load_b128 v[93:96], v[15:16], off offset:48
	v_cvt_f64_f32_e32 v[15:16], v49
	v_cvt_f64_f32_e32 v[49:50], v50
	;; [unrolled: 1-line block ×3, first 2 shown]
	v_add_co_u32 v47, vcc_lo, 0x400, v47
	s_wait_alu 0xfffd
	v_add_co_ci_u32_e64 v48, null, 0, v48, vcc_lo
	v_add_co_u32 v13, vcc_lo, v13, 1
	s_wait_alu 0xfffd
	v_add_co_ci_u32_e64 v14, null, 0, v14, vcc_lo
	v_add_co_u32 v45, vcc_lo, v45, 8
	s_wait_alu 0xfffd
	v_add_co_ci_u32_e64 v46, null, 0, v46, vcc_lo
	s_delay_alu instid0(VALU_DEP_3)
	v_cmp_eq_u64_e32 vcc_lo, 0, v[13:14]
	s_wait_alu 0xfffe
	s_or_b32 s10, vcc_lo, s10
	s_wait_loadcnt 0x7
	v_fma_f64 v[33:34], v[15:16], v[65:66], v[33:34]
	v_fma_f64 v[27:28], v[49:50], v[65:66], v[27:28]
	v_fma_f64 v[41:42], v[97:98], v[65:66], v[41:42]
	v_fma_f64 v[31:32], v[53:54], v[65:66], v[31:32]
	v_fma_f64 v[39:40], v[99:100], v[65:66], v[39:40]
	v_fma_f64 v[37:38], v[57:58], v[65:66], v[37:38]
	v_fma_f64 v[29:30], v[101:102], v[65:66], v[29:30]
	v_fma_f64 v[35:36], v[61:62], v[65:66], v[35:36]
	v_cvt_f64_f32_e32 v[65:66], v51
	v_cvt_f64_f32_e32 v[51:52], v52
	v_fma_f64 v[33:34], -v[49:50], v[67:68], v[33:34]
	v_fma_f64 v[15:16], v[15:16], v[67:68], v[27:28]
	v_fma_f64 v[27:28], -v[53:54], v[67:68], v[41:42]
	v_fma_f64 v[31:32], v[97:98], v[67:68], v[31:32]
	;; [unrolled: 2-line block ×4, first 2 shown]
	s_wait_loadcnt 0x5
	v_cvt_f64_f32_e32 v[41:42], v73
	v_cvt_f64_f32_e32 v[49:50], v74
	s_wait_loadcnt 0x4
	v_cvt_f64_f32_e32 v[53:54], v77
	v_cvt_f64_f32_e32 v[57:58], v78
	;; [unrolled: 3-line block ×4, first 2 shown]
	v_fma_f64 v[33:34], v[65:66], v[69:70], v[33:34]
	v_fma_f64 v[15:16], v[51:52], v[69:70], v[15:16]
	;; [unrolled: 1-line block ×8, first 2 shown]
	v_cvt_f64_f32_e32 v[69:70], v85
	v_fma_f64 v[33:34], -v[51:52], v[71:72], v[33:34]
	v_fma_f64 v[15:16], v[65:66], v[71:72], v[15:16]
	v_fma_f64 v[27:28], -v[55:56], v[71:72], v[27:28]
	v_fma_f64 v[31:32], v[103:104], v[71:72], v[31:32]
	;; [unrolled: 2-line block ×4, first 2 shown]
	v_cvt_f64_f32_e32 v[51:52], v75
	v_cvt_f64_f32_e32 v[55:56], v76
	;; [unrolled: 1-line block ×7, first 2 shown]
	s_wait_loadcnt 0x1
	v_fma_f64 v[33:34], v[41:42], v[89:90], v[33:34]
	v_fma_f64 v[15:16], v[49:50], v[89:90], v[15:16]
	;; [unrolled: 1-line block ×8, first 2 shown]
	v_fma_f64 v[33:34], -v[49:50], v[91:92], v[33:34]
	v_fma_f64 v[15:16], v[41:42], v[91:92], v[15:16]
	v_fma_f64 v[27:28], -v[57:58], v[91:92], v[27:28]
	v_fma_f64 v[31:32], v[53:54], v[91:92], v[31:32]
	;; [unrolled: 2-line block ×4, first 2 shown]
	s_wait_loadcnt 0x0
	v_fma_f64 v[33:34], v[51:52], v[93:94], v[33:34]
	v_fma_f64 v[15:16], v[55:56], v[93:94], v[15:16]
	;; [unrolled: 1-line block ×8, first 2 shown]
	v_fma_f64 v[33:34], -v[55:56], v[95:96], v[33:34]
	v_fma_f64 v[27:28], v[51:52], v[95:96], v[15:16]
	v_fma_f64 v[41:42], -v[63:64], v[95:96], v[41:42]
	v_fma_f64 v[31:32], v[59:60], v[95:96], v[31:32]
	;; [unrolled: 2-line block ×4, first 2 shown]
	s_wait_alu 0xfffe
	s_and_not1_b32 exec_lo, exec_lo, s10
	s_cbranch_execnz .LBB176_17
; %bb.18:
	s_or_b32 exec_lo, exec_lo, s10
.LBB176_19:
	s_wait_alu 0xfffe
	s_or_b32 exec_lo, exec_lo, s7
	s_delay_alu instid0(SALU_CYCLE_1)
	s_mov_b32 s7, exec_lo
	v_cmpx_lt_u64_e32 23, v[9:10]
	s_cbranch_execz .LBB176_23
; %bb.20:
	v_lshlrev_b64_e32 v[9:10], 3, v[45:46]
	s_mov_b32 s10, 0
	s_delay_alu instid0(VALU_DEP_1) | instskip(SKIP_1) | instid1(VALU_DEP_2)
	v_add_co_u32 v9, vcc_lo, s8, v9
	s_wait_alu 0xfffd
	v_add_co_ci_u32_e64 v10, null, s9, v10, vcc_lo
	s_delay_alu instid0(VALU_DEP_2) | instskip(SKIP_1) | instid1(VALU_DEP_2)
	v_add_co_u32 v49, vcc_lo, 0x80, v9
	s_wait_alu 0xfffd
	v_add_co_ci_u32_e64 v50, null, 0, v10, vcc_lo
.LBB176_21:                             ; =>This Inner Loop Header: Depth=1
	global_load_b64 v[51:52], v[49:50], off offset:-128
	s_clause 0x3
	global_load_b128 v[13:16], v[47:48], off
	global_load_b128 v[9:12], v[47:48], off offset:32
	global_load_b128 v[53:56], v[47:48], off offset:64
	;; [unrolled: 1-line block ×3, first 2 shown]
	s_clause 0x2
	global_load_b64 v[109:110], v[49:50], off offset:-64
	global_load_b64 v[111:112], v[49:50], off
	global_load_b64 v[113:114], v[49:50], off offset:64
	v_add_co_u32 v49, s3, 0x100, v49
	s_wait_alu 0xf1ff
	v_add_co_ci_u32_e64 v50, null, 0, v50, s3
	s_wait_loadcnt 0x7
	v_sub_co_u32 v51, vcc_lo, v51, v17
	s_wait_alu 0xfffd
	v_sub_co_ci_u32_e64 v52, null, v52, v18, vcc_lo
	s_wait_loadcnt 0x6
	v_cvt_f64_f32_e32 v[115:116], v13
	v_cvt_f64_f32_e32 v[13:14], v14
	s_wait_loadcnt 0x5
	v_cvt_f64_f32_e32 v[117:118], v9
	v_lshlrev_b64_e32 v[51:52], 6, v[51:52]
	v_cvt_f64_f32_e32 v[9:10], v10
	s_wait_loadcnt 0x4
	v_cvt_f64_f32_e32 v[119:120], v53
	s_wait_loadcnt 0x3
	v_cvt_f64_f32_e32 v[121:122], v57
	v_cvt_f64_f32_e32 v[57:58], v58
	;; [unrolled: 1-line block ×3, first 2 shown]
	s_wait_kmcnt 0x0
	v_add_co_u32 v51, vcc_lo, s4, v51
	s_wait_alu 0xfffd
	v_add_co_ci_u32_e64 v52, null, s5, v52, vcc_lo
	v_cvt_f64_f32_e32 v[127:128], v11
	v_cvt_f64_f32_e32 v[129:130], v12
	;; [unrolled: 1-line block ×3, first 2 shown]
	s_clause 0x1
	global_load_b128 v[61:64], v[51:52], off
	global_load_b128 v[65:68], v[51:52], off offset:16
	s_clause 0x3
	global_load_b128 v[69:72], v[47:48], off offset:16
	global_load_b128 v[73:76], v[47:48], off offset:48
	;; [unrolled: 1-line block ×4, first 2 shown]
	s_clause 0x1
	global_load_b128 v[85:88], v[51:52], off offset:32
	global_load_b128 v[89:92], v[51:52], off offset:48
	s_clause 0x3
	global_load_b128 v[93:96], v[47:48], off offset:1024
	global_load_b128 v[97:100], v[47:48], off offset:1056
	;; [unrolled: 1-line block ×4, first 2 shown]
	s_wait_loadcnt 0xe
	v_sub_co_u32 v51, vcc_lo, v109, v17
	s_wait_alu 0xfffd
	v_sub_co_ci_u32_e64 v52, null, v110, v18, vcc_lo
	v_cvt_f64_f32_e32 v[109:110], v54
	v_cvt_f64_f32_e32 v[55:56], v56
	;; [unrolled: 1-line block ×3, first 2 shown]
	s_delay_alu instid0(VALU_DEP_4) | instskip(SKIP_1) | instid1(VALU_DEP_2)
	v_lshlrev_b64_e32 v[51:52], 6, v[51:52]
	v_cvt_f64_f32_e32 v[59:60], v60
	v_add_co_u32 v123, vcc_lo, s4, v51
	s_wait_alu 0xfffd
	s_delay_alu instid0(VALU_DEP_3)
	v_add_co_ci_u32_e64 v124, null, s5, v52, vcc_lo
	s_wait_loadcnt 0xd
	v_sub_co_u32 v111, vcc_lo, v111, v17
	s_wait_alu 0xfffd
	v_sub_co_ci_u32_e64 v112, null, v112, v18, vcc_lo
	global_load_b128 v[51:54], v[123:124], off
	s_wait_loadcnt 0xc
	v_fma_f64 v[33:34], v[115:116], v[61:62], v[33:34]
	v_fma_f64 v[27:28], v[13:14], v[61:62], v[27:28]
	;; [unrolled: 1-line block ×8, first 2 shown]
	v_cvt_f64_f32_e32 v[61:62], v15
	s_wait_loadcnt 0x8
	v_cvt_f64_f32_e32 v[135:136], v77
	v_cvt_f64_f32_e32 v[77:78], v78
	s_wait_loadcnt 0x7
	v_cvt_f64_f32_e32 v[137:138], v81
	v_cvt_f64_f32_e32 v[81:82], v82
	v_fma_f64 v[13:14], -v[13:14], v[63:64], v[33:34]
	v_fma_f64 v[15:16], v[115:116], v[63:64], v[27:28]
	v_fma_f64 v[27:28], -v[9:10], v[63:64], v[41:42]
	v_fma_f64 v[31:32], v[117:118], v[63:64], v[31:32]
	;; [unrolled: 2-line block ×4, first 2 shown]
	global_load_b128 v[9:12], v[123:124], off offset:16
	v_cvt_f64_f32_e32 v[119:120], v69
	v_cvt_f64_f32_e32 v[69:70], v70
	;; [unrolled: 1-line block ×4, first 2 shown]
	v_fma_f64 v[39:40], v[61:62], v[65:66], v[13:14]
	v_fma_f64 v[41:42], v[125:126], v[65:66], v[15:16]
	;; [unrolled: 1-line block ×8, first 2 shown]
	s_clause 0x3
	global_load_b128 v[13:16], v[47:48], off offset:1040
	global_load_b128 v[27:30], v[47:48], off offset:1072
	;; [unrolled: 1-line block ×4, first 2 shown]
	v_fma_f64 v[125:126], -v[125:126], v[67:68], v[39:40]
	v_fma_f64 v[61:62], v[61:62], v[67:68], v[41:42]
	v_fma_f64 v[57:58], -v[129:130], v[67:68], v[57:58]
	v_fma_f64 v[63:64], v[127:128], v[67:68], v[63:64]
	;; [unrolled: 2-line block ×4, first 2 shown]
	global_load_b128 v[39:42], v[123:124], off offset:32
	v_cvt_f64_f32_e32 v[115:116], v72
	v_cvt_f64_f32_e32 v[117:118], v75
	;; [unrolled: 1-line block ×5, first 2 shown]
	s_wait_loadcnt 0xa
	v_cvt_f64_f32_e32 v[129:130], v93
	v_cvt_f64_f32_e32 v[93:94], v94
	s_wait_loadcnt 0x9
	v_cvt_f64_f32_e32 v[131:132], v97
	v_cvt_f64_f32_e32 v[97:98], v98
	s_wait_loadcnt 0x8
	v_cvt_f64_f32_e32 v[133:134], v101
	v_cvt_f64_f32_e32 v[101:102], v102
	v_fma_f64 v[67:68], v[119:120], v[85:86], v[125:126]
	v_fma_f64 v[61:62], v[69:70], v[85:86], v[61:62]
	;; [unrolled: 1-line block ×8, first 2 shown]
	v_cvt_f64_f32_e32 v[85:86], v71
	v_cvt_f64_f32_e32 v[125:126], v79
	;; [unrolled: 1-line block ×3, first 2 shown]
	v_fma_f64 v[67:68], -v[69:70], v[87:88], v[67:68]
	v_fma_f64 v[61:62], v[119:120], v[87:88], v[61:62]
	v_fma_f64 v[69:70], -v[73:74], v[87:88], v[57:58]
	v_fma_f64 v[63:64], v[121:122], v[87:88], v[63:64]
	;; [unrolled: 2-line block ×4, first 2 shown]
	global_load_b128 v[55:58], v[123:124], off offset:48
	s_wait_loadcnt 0x8
	v_cvt_f64_f32_e32 v[135:136], v105
	v_cvt_f64_f32_e32 v[105:106], v106
	v_fma_f64 v[77:78], v[85:86], v[89:90], v[67:68]
	v_fma_f64 v[81:82], v[115:116], v[89:90], v[61:62]
	;; [unrolled: 1-line block ×8, first 2 shown]
	s_clause 0x3
	global_load_b128 v[59:62], v[47:48], off offset:2048
	global_load_b128 v[63:66], v[47:48], off offset:2080
	;; [unrolled: 1-line block ×4, first 2 shown]
	v_fma_f64 v[115:116], -v[115:116], v[91:92], v[77:78]
	v_fma_f64 v[81:82], v[85:86], v[91:92], v[81:82]
	v_fma_f64 v[85:86], -v[75:76], v[91:92], v[87:88]
	v_fma_f64 v[87:88], v[117:118], v[91:92], v[109:110]
	;; [unrolled: 2-line block ×4, first 2 shown]
	v_lshlrev_b64_e32 v[75:76], 6, v[111:112]
	v_cvt_f64_f32_e32 v[117:118], v99
	v_cvt_f64_f32_e32 v[99:100], v100
	;; [unrolled: 1-line block ×5, first 2 shown]
	v_add_co_u32 v111, vcc_lo, s4, v75
	s_wait_alu 0xfffd
	v_add_co_ci_u32_e64 v112, null, s5, v76, vcc_lo
	v_cvt_f64_f32_e32 v[107:108], v108
	v_sub_co_u32 v113, vcc_lo, v113, v17
	global_load_b128 v[75:78], v[111:112], off
	s_wait_alu 0xfffd
	v_sub_co_ci_u32_e64 v114, null, v114, v18, vcc_lo
	s_wait_loadcnt 0xc
	v_fma_f64 v[91:92], v[129:130], v[51:52], v[115:116]
	v_fma_f64 v[81:82], v[93:94], v[51:52], v[81:82]
	;; [unrolled: 1-line block ×8, first 2 shown]
	v_cvt_f64_f32_e32 v[115:116], v95
	v_cvt_f64_f32_e32 v[95:96], v96
	v_fma_f64 v[89:90], -v[93:94], v[53:54], v[91:92]
	v_fma_f64 v[81:82], v[129:130], v[53:54], v[81:82]
	v_fma_f64 v[85:86], -v[97:98], v[53:54], v[85:86]
	v_fma_f64 v[87:88], v[131:132], v[53:54], v[87:88]
	;; [unrolled: 2-line block ×4, first 2 shown]
	global_load_b128 v[51:54], v[111:112], off offset:16
	s_wait_loadcnt 0xc
	v_fma_f64 v[97:98], v[115:116], v[9:10], v[89:90]
	v_fma_f64 v[101:102], v[95:96], v[9:10], v[81:82]
	;; [unrolled: 1-line block ×8, first 2 shown]
	s_clause 0x3
	global_load_b128 v[79:82], v[47:48], off offset:2064
	global_load_b128 v[83:86], v[47:48], off offset:2096
	;; [unrolled: 1-line block ×4, first 2 shown]
	s_wait_loadcnt 0xf
	v_cvt_f64_f32_e32 v[129:130], v13
	v_cvt_f64_f32_e32 v[13:14], v14
	s_wait_loadcnt 0xe
	v_cvt_f64_f32_e32 v[131:132], v27
	v_cvt_f64_f32_e32 v[27:28], v28
	;; [unrolled: 3-line block ×4, first 2 shown]
	v_fma_f64 v[95:96], -v[95:96], v[11:12], v[97:98]
	v_fma_f64 v[97:98], v[115:116], v[11:12], v[101:102]
	v_fma_f64 v[99:100], -v[99:100], v[11:12], v[105:106]
	v_fma_f64 v[101:102], v[117:118], v[11:12], v[109:110]
	;; [unrolled: 2-line block ×4, first 2 shown]
	global_load_b128 v[9:12], v[111:112], off offset:32
	v_cvt_f64_f32_e32 v[115:116], v16
	v_cvt_f64_f32_e32 v[117:118], v29
	v_cvt_f64_f32_e32 v[119:120], v30
	v_cvt_f64_f32_e32 v[121:122], v33
	v_cvt_f64_f32_e32 v[123:124], v34
	v_cvt_f64_f32_e32 v[125:126], v37
	v_cvt_f64_f32_e32 v[127:128], v38
	s_wait_loadcnt 0xc
	v_fma_f64 v[95:96], v[129:130], v[39:40], v[95:96]
	v_fma_f64 v[97:98], v[13:14], v[39:40], v[97:98]
	;; [unrolled: 1-line block ×8, first 2 shown]
	v_cvt_f64_f32_e32 v[109:110], v15
	v_fma_f64 v[29:30], -v[13:14], v[41:42], v[95:96]
	v_fma_f64 v[33:34], v[129:130], v[41:42], v[97:98]
	v_fma_f64 v[27:28], -v[27:28], v[41:42], v[99:100]
	v_fma_f64 v[37:38], v[131:132], v[41:42], v[101:102]
	;; [unrolled: 2-line block ×4, first 2 shown]
	global_load_b128 v[13:16], v[111:112], off offset:48
	s_wait_loadcnt 0xc
	v_fma_f64 v[97:98], v[109:110], v[55:56], v[29:30]
	v_fma_f64 v[99:100], v[115:116], v[55:56], v[33:34]
	;; [unrolled: 1-line block ×8, first 2 shown]
	s_clause 0x3
	global_load_b128 v[27:30], v[47:48], off offset:3072
	global_load_b128 v[31:34], v[47:48], off offset:3104
	;; [unrolled: 1-line block ×4, first 2 shown]
	s_wait_loadcnt 0xf
	v_cvt_f64_f32_e32 v[111:112], v59
	v_cvt_f64_f32_e32 v[59:60], v60
	s_wait_loadcnt 0xe
	v_cvt_f64_f32_e32 v[129:130], v63
	v_cvt_f64_f32_e32 v[63:64], v64
	;; [unrolled: 3-line block ×4, first 2 shown]
	v_fma_f64 v[97:98], -v[115:116], v[57:58], v[97:98]
	v_fma_f64 v[99:100], v[109:110], v[57:58], v[99:100]
	v_fma_f64 v[101:102], -v[119:120], v[57:58], v[101:102]
	v_fma_f64 v[103:104], v[117:118], v[57:58], v[103:104]
	;; [unrolled: 2-line block ×4, first 2 shown]
	v_lshlrev_b64_e32 v[55:56], 6, v[113:114]
	v_cvt_f64_f32_e32 v[115:116], v62
	v_cvt_f64_f32_e32 v[117:118], v65
	;; [unrolled: 1-line block ×5, first 2 shown]
	v_add_co_u32 v113, vcc_lo, s4, v55
	s_wait_alu 0xfffd
	v_add_co_ci_u32_e64 v114, null, s5, v56, vcc_lo
	v_cvt_f64_f32_e32 v[125:126], v73
	v_cvt_f64_f32_e32 v[127:128], v74
	v_add_co_u32 v45, vcc_lo, v45, 32
	global_load_b128 v[55:58], v[113:114], off
	s_wait_alu 0xfffd
	v_add_co_ci_u32_e64 v46, null, 0, v46, vcc_lo
	s_wait_loadcnt 0xc
	v_fma_f64 v[97:98], v[111:112], v[75:76], v[97:98]
	v_fma_f64 v[99:100], v[59:60], v[75:76], v[99:100]
	;; [unrolled: 1-line block ×8, first 2 shown]
	v_cvt_f64_f32_e32 v[109:110], v61
	v_fma_f64 v[65:66], -v[59:60], v[77:78], v[97:98]
	v_fma_f64 v[69:70], v[111:112], v[77:78], v[99:100]
	v_fma_f64 v[63:64], -v[63:64], v[77:78], v[101:102]
	v_fma_f64 v[73:74], v[129:130], v[77:78], v[103:104]
	;; [unrolled: 2-line block ×4, first 2 shown]
	global_load_b128 v[59:62], v[113:114], off offset:16
	s_wait_loadcnt 0xc
	v_fma_f64 v[97:98], v[109:110], v[51:52], v[65:66]
	v_fma_f64 v[99:100], v[115:116], v[51:52], v[69:70]
	;; [unrolled: 1-line block ×8, first 2 shown]
	s_clause 0x3
	global_load_b128 v[63:66], v[47:48], off offset:3088
	global_load_b128 v[67:70], v[47:48], off offset:3120
	;; [unrolled: 1-line block ×4, first 2 shown]
	v_add_co_u32 v47, vcc_lo, 0x1000, v47
	s_wait_alu 0xfffd
	v_add_co_ci_u32_e64 v48, null, 0, v48, vcc_lo
	v_cmp_ge_i64_e32 vcc_lo, v[45:46], v[23:24]
	s_wait_alu 0xfffe
	s_or_b32 s10, vcc_lo, s10
	s_wait_loadcnt 0xf
	v_cvt_f64_f32_e32 v[111:112], v79
	v_cvt_f64_f32_e32 v[79:80], v80
	s_wait_loadcnt 0xe
	v_cvt_f64_f32_e32 v[129:130], v83
	v_cvt_f64_f32_e32 v[83:84], v84
	;; [unrolled: 3-line block ×4, first 2 shown]
	v_fma_f64 v[97:98], -v[115:116], v[53:54], v[97:98]
	v_fma_f64 v[99:100], v[109:110], v[53:54], v[99:100]
	v_fma_f64 v[101:102], -v[119:120], v[53:54], v[101:102]
	v_fma_f64 v[103:104], v[117:118], v[53:54], v[103:104]
	;; [unrolled: 2-line block ×4, first 2 shown]
	global_load_b128 v[51:54], v[113:114], off offset:32
	v_cvt_f64_f32_e32 v[115:116], v85
	v_cvt_f64_f32_e32 v[85:86], v86
	;; [unrolled: 1-line block ×6, first 2 shown]
	s_wait_loadcnt 0xc
	v_fma_f64 v[97:98], v[111:112], v[9:10], v[97:98]
	v_fma_f64 v[99:100], v[79:80], v[9:10], v[99:100]
	;; [unrolled: 1-line block ×8, first 2 shown]
	v_cvt_f64_f32_e32 v[109:110], v81
	v_cvt_f64_f32_e32 v[81:82], v82
	v_fma_f64 v[79:80], -v[79:80], v[11:12], v[97:98]
	v_fma_f64 v[97:98], v[111:112], v[11:12], v[99:100]
	v_fma_f64 v[83:84], -v[83:84], v[11:12], v[101:102]
	v_fma_f64 v[99:100], v[129:130], v[11:12], v[103:104]
	;; [unrolled: 2-line block ×4, first 2 shown]
	global_load_b128 v[9:12], v[113:114], off offset:48
	s_wait_loadcnt 0xc
	v_fma_f64 v[79:80], v[109:110], v[13:14], v[79:80]
	v_fma_f64 v[97:98], v[81:82], v[13:14], v[97:98]
	;; [unrolled: 1-line block ×8, first 2 shown]
	s_wait_loadcnt 0xb
	v_cvt_f64_f32_e32 v[101:102], v27
	v_cvt_f64_f32_e32 v[27:28], v28
	s_wait_loadcnt 0xa
	v_cvt_f64_f32_e32 v[103:104], v31
	v_cvt_f64_f32_e32 v[31:32], v32
	;; [unrolled: 3-line block ×4, first 2 shown]
	v_fma_f64 v[79:80], -v[81:82], v[15:16], v[79:80]
	v_fma_f64 v[81:82], v[109:110], v[15:16], v[97:98]
	v_fma_f64 v[83:84], -v[85:86], v[15:16], v[83:84]
	v_fma_f64 v[85:86], v[115:116], v[15:16], v[99:100]
	;; [unrolled: 2-line block ×4, first 2 shown]
	v_cvt_f64_f32_e32 v[93:94], v37
	v_cvt_f64_f32_e32 v[37:38], v38
	;; [unrolled: 1-line block ×4, first 2 shown]
	s_wait_loadcnt 0x7
	v_fma_f64 v[15:16], v[101:102], v[55:56], v[79:80]
	v_fma_f64 v[79:80], v[27:28], v[55:56], v[81:82]
	;; [unrolled: 1-line block ×8, first 2 shown]
	v_cvt_f64_f32_e32 v[55:56], v29
	v_cvt_f64_f32_e32 v[29:30], v30
	;; [unrolled: 1-line block ×4, first 2 shown]
	v_fma_f64 v[15:16], -v[27:28], v[57:58], v[15:16]
	v_fma_f64 v[27:28], v[101:102], v[57:58], v[79:80]
	v_fma_f64 v[31:32], -v[31:32], v[57:58], v[81:82]
	v_fma_f64 v[79:80], v[103:104], v[57:58], v[83:84]
	;; [unrolled: 2-line block ×4, first 2 shown]
	s_wait_loadcnt 0x6
	v_fma_f64 v[15:16], v[55:56], v[59:60], v[15:16]
	v_fma_f64 v[27:28], v[29:30], v[59:60], v[27:28]
	;; [unrolled: 1-line block ×8, first 2 shown]
	s_wait_loadcnt 0x5
	v_cvt_f64_f32_e32 v[59:60], v63
	v_cvt_f64_f32_e32 v[63:64], v64
	s_wait_loadcnt 0x4
	v_cvt_f64_f32_e32 v[81:82], v67
	v_cvt_f64_f32_e32 v[67:68], v68
	;; [unrolled: 3-line block ×4, first 2 shown]
	v_fma_f64 v[15:16], -v[29:30], v[61:62], v[15:16]
	v_fma_f64 v[27:28], v[55:56], v[61:62], v[27:28]
	v_fma_f64 v[29:30], -v[33:34], v[61:62], v[31:32]
	v_fma_f64 v[31:32], v[91:92], v[61:62], v[57:58]
	;; [unrolled: 2-line block ×4, first 2 shown]
	v_cvt_f64_f32_e32 v[39:40], v65
	v_cvt_f64_f32_e32 v[41:42], v66
	;; [unrolled: 1-line block ×6, first 2 shown]
	s_wait_loadcnt 0x1
	v_fma_f64 v[15:16], v[59:60], v[51:52], v[15:16]
	v_fma_f64 v[27:28], v[63:64], v[51:52], v[27:28]
	;; [unrolled: 1-line block ×8, first 2 shown]
	v_cvt_f64_f32_e32 v[51:52], v69
	v_cvt_f64_f32_e32 v[69:70], v78
	v_fma_f64 v[15:16], -v[63:64], v[53:54], v[15:16]
	v_fma_f64 v[27:28], v[59:60], v[53:54], v[27:28]
	v_fma_f64 v[29:30], -v[67:68], v[53:54], v[29:30]
	v_fma_f64 v[31:32], v[81:82], v[53:54], v[31:32]
	;; [unrolled: 2-line block ×4, first 2 shown]
	s_wait_loadcnt 0x0
	v_fma_f64 v[15:16], v[39:40], v[9:10], v[15:16]
	v_fma_f64 v[27:28], v[41:42], v[9:10], v[27:28]
	;; [unrolled: 1-line block ×8, first 2 shown]
	v_fma_f64 v[33:34], -v[41:42], v[11:12], v[15:16]
	v_fma_f64 v[27:28], v[39:40], v[11:12], v[27:28]
	v_fma_f64 v[41:42], -v[55:56], v[11:12], v[29:30]
	v_fma_f64 v[31:32], v[51:52], v[11:12], v[31:32]
	;; [unrolled: 2-line block ×4, first 2 shown]
	s_wait_alu 0xfffe
	s_and_not1_b32 exec_lo, exec_lo, s10
	s_cbranch_execnz .LBB176_21
; %bb.22:
	s_or_b32 exec_lo, exec_lo, s10
.LBB176_23:
	s_wait_alu 0xfffe
	s_or_b32 exec_lo, exec_lo, s7
.LBB176_24:
	s_wait_alu 0xfffe
	s_or_b32 exec_lo, exec_lo, s6
	s_cbranch_execz .LBB176_26
	s_branch .LBB176_37
.LBB176_25:
                                        ; implicit-def: $vgpr27_vgpr28
                                        ; implicit-def: $vgpr33_vgpr34
                                        ; implicit-def: $vgpr31_vgpr32
                                        ; implicit-def: $vgpr41_vgpr42
                                        ; implicit-def: $vgpr37_vgpr38
                                        ; implicit-def: $vgpr39_vgpr40
                                        ; implicit-def: $vgpr35_vgpr36
                                        ; implicit-def: $vgpr29_vgpr30
.LBB176_26:
	v_mov_b32_e32 v27, 0
	v_mov_b32_e32 v31, 0
	;; [unrolled: 1-line block ×3, first 2 shown]
	v_dual_mov_b32 v35, 0 :: v_dual_mov_b32 v28, 0
	v_dual_mov_b32 v33, 0 :: v_dual_mov_b32 v32, 0
	;; [unrolled: 1-line block ×5, first 2 shown]
	v_mov_b32_e32 v42, 0
	v_mov_b32_e32 v40, 0
	;; [unrolled: 1-line block ×3, first 2 shown]
	s_and_saveexec_b32 s3, s2
	s_cbranch_execz .LBB176_36
; %bb.27:
	v_or_b32_e32 v9, 8, v0
	v_not_b32_e32 v13, v43
	v_sub_co_u32 v14, s2, v17, v0
	v_not_b32_e32 v11, v44
	s_delay_alu instid0(VALU_DEP_4)
	v_sub_co_u32 v9, vcc_lo, v9, v17
	s_wait_alu 0xfffd
	v_sub_co_ci_u32_e64 v10, null, 0, v18, vcc_lo
	s_wait_alu 0xf1ff
	v_subrev_co_ci_u32_e64 v15, null, 0, v18, s2
	v_add_co_u32 v9, vcc_lo, v9, v43
	s_wait_alu 0xfffd
	v_add_co_ci_u32_e64 v10, null, v10, v44, vcc_lo
	v_add_co_u32 v13, s2, v14, v13
	s_wait_alu 0xf1ff
	v_add_co_ci_u32_e64 v11, null, v15, v11, s2
	s_delay_alu instid0(VALU_DEP_3)
	v_cmp_gt_i64_e32 vcc_lo, v[9:10], v[23:24]
	v_dual_mov_b32 v12, 0 :: v_dual_mov_b32 v37, 0
	v_mov_b32_e32 v31, 0
	v_mov_b32_e32 v29, 0
	v_dual_mov_b32 v30, 0 :: v_dual_mov_b32 v35, 0
	s_wait_alu 0xfffd
	v_dual_cndmask_b32 v9, v23, v9 :: v_dual_cndmask_b32 v10, v24, v10
	v_dual_mov_b32 v36, 0 :: v_dual_mov_b32 v39, 0
	v_dual_mov_b32 v38, 0 :: v_dual_mov_b32 v41, 0
	s_delay_alu instid0(VALU_DEP_3)
	v_add_co_u32 v9, vcc_lo, v13, v9
	v_dual_mov_b32 v32, 0 :: v_dual_mov_b32 v33, 0
	v_dual_mov_b32 v27, 0 :: v_dual_mov_b32 v40, 0
	s_wait_alu 0xfffd
	v_add_co_ci_u32_e64 v10, null, v11, v10, vcc_lo
	v_dual_mov_b32 v42, 0 :: v_dual_and_b32 v11, 24, v9
	v_mov_b32_e32 v34, 0
	v_mov_b32_e32 v28, 0
	s_mov_b32 s6, exec_lo
	s_delay_alu instid0(VALU_DEP_3)
	v_cmpx_ne_u64_e32 24, v[11:12]
	s_cbranch_execz .LBB176_31
; %bb.28:
	v_lshrrev_b32_e32 v13, 3, v9
	v_mov_b32_e32 v31, 0
	v_mov_b32_e32 v32, 0
	v_lshlrev_b64_e32 v[11:12], 3, v[19:20]
	v_mov_b32_e32 v37, 0
	v_add_nc_u32_e32 v13, 1, v13
	v_mov_b32_e32 v27, 0
	v_dual_mov_b32 v28, 0 :: v_dual_mov_b32 v33, 0
	v_add_co_u32 v11, vcc_lo, s8, v11
	s_delay_alu instid0(VALU_DEP_4) | instskip(SKIP_3) | instid1(VALU_DEP_4)
	v_dual_mov_b32 v38, 0 :: v_dual_and_b32 v13, 3, v13
	v_mov_b32_e32 v41, 0
	v_mov_b32_e32 v39, 0
	;; [unrolled: 1-line block ×3, first 2 shown]
	v_sub_co_u32 v13, s2, 0, v13
	v_dual_mov_b32 v29, 0 :: v_dual_mov_b32 v34, 0
	s_wait_alu 0xfffd
	v_add_co_ci_u32_e64 v12, null, s9, v12, vcc_lo
	v_mov_b32_e32 v42, 0
	v_mov_b32_e32 v40, 0
	;; [unrolled: 1-line block ×4, first 2 shown]
	s_wait_alu 0xf1ff
	v_sub_co_ci_u32_e64 v14, null, 0, 0, s2
	s_mov_b32 s7, 0
.LBB176_29:                             ; =>This Inner Loop Header: Depth=1
	global_load_b64 v[15:16], v[11:12], off
	s_clause 0x1
	global_load_b128 v[43:46], v[25:26], off
	global_load_b128 v[47:50], v[25:26], off offset:16
	v_add_co_u32 v11, s2, v11, 64
	s_wait_alu 0xf1ff
	v_add_co_ci_u32_e64 v12, null, 0, v12, s2
	s_wait_loadcnt 0x2
	v_sub_co_u32 v15, vcc_lo, v15, v17
	s_wait_alu 0xfffd
	v_sub_co_ci_u32_e64 v16, null, v16, v18, vcc_lo
	s_wait_loadcnt 0x1
	v_cvt_f64_f32_e32 v[91:92], v45
	v_cvt_f64_f32_e32 v[45:46], v46
	s_wait_loadcnt 0x0
	v_cvt_f64_f32_e32 v[93:94], v47
	v_lshlrev_b64_e32 v[15:16], 6, v[15:16]
	v_cvt_f64_f32_e32 v[47:48], v48
	v_cvt_f64_f32_e32 v[95:96], v49
	;; [unrolled: 1-line block ×3, first 2 shown]
	s_wait_kmcnt 0x0
	s_delay_alu instid0(VALU_DEP_4)
	v_add_co_u32 v15, vcc_lo, s4, v15
	s_wait_alu 0xfffd
	v_add_co_ci_u32_e64 v16, null, s5, v16, vcc_lo
	s_clause 0x1
	global_load_b128 v[51:54], v[15:16], off
	global_load_b128 v[55:58], v[15:16], off offset:16
	s_clause 0x3
	global_load_b128 v[59:62], v[25:26], off offset:32
	global_load_b128 v[63:66], v[25:26], off offset:48
	;; [unrolled: 1-line block ×4, first 2 shown]
	s_clause 0x1
	global_load_b128 v[75:78], v[15:16], off offset:32
	global_load_b128 v[79:82], v[15:16], off offset:48
	s_clause 0x1
	global_load_b128 v[83:86], v[25:26], off offset:96
	global_load_b128 v[87:90], v[25:26], off offset:112
	v_cvt_f64_f32_e32 v[15:16], v43
	v_cvt_f64_f32_e32 v[43:44], v44
	v_add_co_u32 v25, vcc_lo, 0x400, v25
	s_wait_alu 0xfffd
	v_add_co_ci_u32_e64 v26, null, 0, v26, vcc_lo
	v_add_co_u32 v13, vcc_lo, v13, 1
	s_wait_alu 0xfffd
	v_add_co_ci_u32_e64 v14, null, 0, v14, vcc_lo
	;; [unrolled: 3-line block ×3, first 2 shown]
	s_delay_alu instid0(VALU_DEP_3)
	v_cmp_eq_u64_e32 vcc_lo, 0, v[13:14]
	s_wait_alu 0xfffe
	s_or_b32 s7, vcc_lo, s7
	s_wait_loadcnt 0x9
	v_fma_f64 v[33:34], v[15:16], v[51:52], v[33:34]
	v_fma_f64 v[27:28], v[43:44], v[51:52], v[27:28]
	;; [unrolled: 1-line block ×8, first 2 shown]
	s_wait_loadcnt 0x7
	v_cvt_f64_f32_e32 v[51:52], v59
	v_cvt_f64_f32_e32 v[59:60], v60
	;; [unrolled: 1-line block ×4, first 2 shown]
	s_wait_loadcnt 0x6
	v_cvt_f64_f32_e32 v[99:100], v63
	v_cvt_f64_f32_e32 v[63:64], v64
	;; [unrolled: 1-line block ×4, first 2 shown]
	v_fma_f64 v[33:34], -v[43:44], v[53:54], v[33:34]
	v_fma_f64 v[15:16], v[15:16], v[53:54], v[27:28]
	v_fma_f64 v[27:28], -v[45:46], v[53:54], v[41:42]
	v_fma_f64 v[31:32], v[91:92], v[53:54], v[31:32]
	;; [unrolled: 2-line block ×4, first 2 shown]
	s_wait_loadcnt 0x5
	v_cvt_f64_f32_e32 v[41:42], v67
	v_cvt_f64_f32_e32 v[43:44], v68
	v_cvt_f64_f32_e32 v[45:46], v69
	v_cvt_f64_f32_e32 v[47:48], v70
	s_wait_loadcnt 0x4
	v_cvt_f64_f32_e32 v[49:50], v71
	v_cvt_f64_f32_e32 v[53:54], v72
	;; [unrolled: 1-line block ×3, first 2 shown]
	s_wait_loadcnt 0x0
	v_cvt_f64_f32_e32 v[69:70], v89
	v_cvt_f64_f32_e32 v[71:72], v90
	v_fma_f64 v[33:34], v[51:52], v[55:56], v[33:34]
	v_fma_f64 v[15:16], v[59:60], v[55:56], v[15:16]
	;; [unrolled: 1-line block ×8, first 2 shown]
	v_cvt_f64_f32_e32 v[55:56], v73
	v_fma_f64 v[33:34], -v[59:60], v[57:58], v[33:34]
	v_fma_f64 v[15:16], v[51:52], v[57:58], v[15:16]
	v_fma_f64 v[27:28], -v[61:62], v[57:58], v[27:28]
	v_fma_f64 v[31:32], v[97:98], v[57:58], v[31:32]
	;; [unrolled: 2-line block ×4, first 2 shown]
	v_cvt_f64_f32_e32 v[51:52], v83
	v_cvt_f64_f32_e32 v[57:58], v84
	;; [unrolled: 1-line block ×6, first 2 shown]
	v_fma_f64 v[33:34], v[41:42], v[75:76], v[33:34]
	v_fma_f64 v[15:16], v[43:44], v[75:76], v[15:16]
	;; [unrolled: 1-line block ×8, first 2 shown]
	v_fma_f64 v[33:34], -v[43:44], v[77:78], v[33:34]
	v_fma_f64 v[15:16], v[41:42], v[77:78], v[15:16]
	v_fma_f64 v[27:28], -v[47:48], v[77:78], v[27:28]
	v_fma_f64 v[31:32], v[45:46], v[77:78], v[31:32]
	;; [unrolled: 2-line block ×4, first 2 shown]
	v_fma_f64 v[33:34], v[51:52], v[79:80], v[33:34]
	v_fma_f64 v[15:16], v[57:58], v[79:80], v[15:16]
	;; [unrolled: 1-line block ×8, first 2 shown]
	v_fma_f64 v[33:34], -v[57:58], v[81:82], v[33:34]
	v_fma_f64 v[27:28], v[51:52], v[81:82], v[15:16]
	v_fma_f64 v[41:42], -v[61:62], v[81:82], v[41:42]
	v_fma_f64 v[31:32], v[59:60], v[81:82], v[31:32]
	;; [unrolled: 2-line block ×4, first 2 shown]
	s_wait_alu 0xfffe
	s_and_not1_b32 exec_lo, exec_lo, s7
	s_cbranch_execnz .LBB176_29
; %bb.30:
	s_or_b32 exec_lo, exec_lo, s7
.LBB176_31:
	s_wait_alu 0xfffe
	s_or_b32 exec_lo, exec_lo, s6
	s_delay_alu instid0(SALU_CYCLE_1)
	s_mov_b32 s6, exec_lo
	v_cmpx_lt_u64_e32 23, v[9:10]
	s_cbranch_execz .LBB176_35
; %bb.32:
	v_lshlrev_b64_e32 v[9:10], 3, v[19:20]
	s_mov_b32 s7, 0
	s_delay_alu instid0(VALU_DEP_1) | instskip(SKIP_1) | instid1(VALU_DEP_2)
	v_add_co_u32 v9, vcc_lo, s8, v9
	s_wait_alu 0xfffd
	v_add_co_ci_u32_e64 v10, null, s9, v10, vcc_lo
	s_delay_alu instid0(VALU_DEP_2) | instskip(SKIP_1) | instid1(VALU_DEP_2)
	v_add_co_u32 v9, vcc_lo, 0x80, v9
	s_wait_alu 0xfffd
	v_add_co_ci_u32_e64 v10, null, 0, v10, vcc_lo
.LBB176_33:                             ; =>This Inner Loop Header: Depth=1
	global_load_b64 v[15:16], v[9:10], off offset:-128
	s_clause 0x1
	global_load_b128 v[11:14], v[25:26], off
	global_load_b128 v[43:46], v[25:26], off offset:16
	s_clause 0x2
	global_load_b64 v[95:96], v[9:10], off offset:-64
	global_load_b64 v[97:98], v[9:10], off
	global_load_b64 v[99:100], v[9:10], off offset:64
	v_add_co_u32 v9, s2, 0x100, v9
	s_wait_alu 0xf1ff
	v_add_co_ci_u32_e64 v10, null, 0, v10, s2
	s_wait_loadcnt 0x5
	v_sub_co_u32 v15, vcc_lo, v15, v17
	s_wait_alu 0xfffd
	v_sub_co_ci_u32_e64 v16, null, v16, v18, vcc_lo
	s_wait_loadcnt 0x4
	v_cvt_f64_f32_e32 v[101:102], v12
	v_cvt_f64_f32_e32 v[103:104], v13
	;; [unrolled: 1-line block ×3, first 2 shown]
	v_lshlrev_b64_e32 v[15:16], 6, v[15:16]
	s_wait_loadcnt 0x3
	v_cvt_f64_f32_e32 v[107:108], v43
	v_cvt_f64_f32_e32 v[43:44], v44
	s_wait_kmcnt 0x0
	s_delay_alu instid0(VALU_DEP_3)
	v_add_co_u32 v15, vcc_lo, s4, v15
	s_wait_alu 0xfffd
	v_add_co_ci_u32_e64 v16, null, s5, v16, vcc_lo
	global_load_b128 v[47:50], v[15:16], off
	s_clause 0x1
	global_load_b128 v[51:54], v[25:26], off offset:32
	global_load_b128 v[55:58], v[25:26], off offset:48
	global_load_b128 v[59:62], v[15:16], off offset:16
	s_clause 0x1
	global_load_b128 v[63:66], v[25:26], off offset:64
	global_load_b128 v[67:70], v[25:26], off offset:80
	global_load_b128 v[71:74], v[15:16], off offset:32
	;; [unrolled: 4-line block ×3, first 2 shown]
	s_clause 0x1
	global_load_b128 v[87:90], v[25:26], off offset:1024
	global_load_b128 v[91:94], v[25:26], off offset:1040
	v_cvt_f64_f32_e32 v[15:16], v11
	s_wait_loadcnt 0xe
	v_sub_co_u32 v11, vcc_lo, v95, v17
	s_wait_alu 0xfffd
	v_sub_co_ci_u32_e64 v12, null, v96, v18, vcc_lo
	v_cvt_f64_f32_e32 v[95:96], v45
	v_cvt_f64_f32_e32 v[45:46], v46
	s_delay_alu instid0(VALU_DEP_3) | instskip(NEXT) | instid1(VALU_DEP_1)
	v_lshlrev_b64_e32 v[11:12], 6, v[11:12]
	v_add_co_u32 v109, vcc_lo, s4, v11
	s_wait_alu 0xfffd
	s_delay_alu instid0(VALU_DEP_2)
	v_add_co_ci_u32_e64 v110, null, s5, v12, vcc_lo
	global_load_b128 v[11:14], v[109:110], off
	s_wait_loadcnt 0xc
	v_fma_f64 v[111:112], v[15:16], v[47:48], v[33:34]
	v_fma_f64 v[113:114], v[101:102], v[47:48], v[27:28]
	;; [unrolled: 1-line block ×8, first 2 shown]
	s_clause 0x1
	global_load_b128 v[27:30], v[25:26], off offset:1056
	global_load_b128 v[31:34], v[25:26], off offset:1072
	s_wait_loadcnt 0xd
	v_cvt_f64_f32_e32 v[47:48], v51
	v_cvt_f64_f32_e32 v[51:52], v52
	;; [unrolled: 1-line block ×4, first 2 shown]
	s_wait_loadcnt 0xc
	v_cvt_f64_f32_e32 v[121:122], v55
	v_cvt_f64_f32_e32 v[55:56], v56
	;; [unrolled: 1-line block ×4, first 2 shown]
	s_wait_loadcnt 0x9
	v_cvt_f64_f32_e32 v[125:126], v69
	v_cvt_f64_f32_e32 v[69:70], v70
	v_fma_f64 v[101:102], -v[101:102], v[49:50], v[111:112]
	v_fma_f64 v[15:16], v[15:16], v[49:50], v[113:114]
	v_fma_f64 v[41:42], -v[105:106], v[49:50], v[41:42]
	v_fma_f64 v[103:104], v[103:104], v[49:50], v[115:116]
	;; [unrolled: 2-line block ×4, first 2 shown]
	global_load_b128 v[35:38], v[109:110], off offset:16
	v_cvt_f64_f32_e32 v[113:114], v63
	v_cvt_f64_f32_e32 v[63:64], v64
	v_cvt_f64_f32_e32 v[115:116], v65
	v_cvt_f64_f32_e32 v[65:66], v66
	v_cvt_f64_f32_e32 v[117:118], v67
	v_cvt_f64_f32_e32 v[67:68], v68
	v_fma_f64 v[95:96], v[47:48], v[59:60], v[101:102]
	v_fma_f64 v[15:16], v[51:52], v[59:60], v[15:16]
	;; [unrolled: 1-line block ×8, first 2 shown]
	s_clause 0x1
	global_load_b128 v[39:42], v[25:26], off offset:1088
	global_load_b128 v[43:46], v[25:26], off offset:1104
	v_fma_f64 v[59:60], -v[51:52], v[61:62], v[95:96]
	v_fma_f64 v[15:16], v[47:48], v[61:62], v[15:16]
	v_fma_f64 v[95:96], -v[53:54], v[61:62], v[101:102]
	v_fma_f64 v[101:102], v[119:120], v[61:62], v[103:104]
	;; [unrolled: 2-line block ×4, first 2 shown]
	s_clause 0x1
	global_load_b128 v[47:50], v[109:110], off offset:32
	global_load_b128 v[51:54], v[109:110], off offset:48
	s_wait_loadcnt 0xc
	v_cvt_f64_f32_e32 v[111:112], v75
	v_cvt_f64_f32_e32 v[75:76], v76
	;; [unrolled: 1-line block ×4, first 2 shown]
	s_wait_loadcnt 0xb
	v_cvt_f64_f32_e32 v[121:122], v79
	v_cvt_f64_f32_e32 v[79:80], v80
	;; [unrolled: 1-line block ×4, first 2 shown]
	v_fma_f64 v[105:106], v[113:114], v[71:72], v[59:60]
	v_fma_f64 v[15:16], v[63:64], v[71:72], v[15:16]
	;; [unrolled: 1-line block ×8, first 2 shown]
	s_clause 0x1
	global_load_b128 v[55:58], v[25:26], off offset:1120
	global_load_b128 v[59:62], v[25:26], off offset:1136
	v_fma_f64 v[63:64], -v[63:64], v[73:74], v[105:106]
	v_fma_f64 v[15:16], v[113:114], v[73:74], v[15:16]
	v_fma_f64 v[65:66], -v[65:66], v[73:74], v[95:96]
	v_fma_f64 v[95:96], v[115:116], v[73:74], v[101:102]
	;; [unrolled: 2-line block ×4, first 2 shown]
	s_wait_loadcnt 0xb
	v_cvt_f64_f32_e32 v[109:110], v87
	v_cvt_f64_f32_e32 v[87:88], v88
	;; [unrolled: 1-line block ×4, first 2 shown]
	s_wait_loadcnt 0xa
	v_cvt_f64_f32_e32 v[115:116], v91
	v_cvt_f64_f32_e32 v[91:92], v92
	;; [unrolled: 1-line block ×4, first 2 shown]
	v_fma_f64 v[73:74], v[111:112], v[83:84], v[63:64]
	v_fma_f64 v[15:16], v[75:76], v[83:84], v[15:16]
	;; [unrolled: 1-line block ×8, first 2 shown]
	s_clause 0x1
	global_load_b128 v[63:66], v[25:26], off offset:2048
	global_load_b128 v[67:70], v[25:26], off offset:2064
	v_sub_co_u32 v83, vcc_lo, v97, v17
	s_wait_alu 0xfffd
	v_sub_co_ci_u32_e64 v84, null, v98, v18, vcc_lo
	v_fma_f64 v[125:126], -v[75:76], v[85:86], v[73:74]
	v_fma_f64 v[15:16], v[111:112], v[85:86], v[15:16]
	v_fma_f64 v[103:104], -v[77:78], v[85:86], v[103:104]
	v_fma_f64 v[95:96], v[119:120], v[85:86], v[95:96]
	;; [unrolled: 2-line block ×4, first 2 shown]
	v_lshlrev_b64_e32 v[71:72], 6, v[83:84]
	s_delay_alu instid0(VALU_DEP_1) | instskip(SKIP_1) | instid1(VALU_DEP_2)
	v_add_co_u32 v97, vcc_lo, s4, v71
	s_wait_alu 0xfffd
	v_add_co_ci_u32_e64 v98, null, s5, v72, vcc_lo
	s_clause 0x1
	global_load_b128 v[71:74], v[97:98], off
	global_load_b128 v[75:78], v[97:98], off offset:16
	s_wait_loadcnt 0xd
	v_fma_f64 v[105:106], v[109:110], v[11:12], v[125:126]
	v_fma_f64 v[15:16], v[87:88], v[11:12], v[15:16]
	;; [unrolled: 1-line block ×8, first 2 shown]
	s_clause 0x1
	global_load_b128 v[79:82], v[25:26], off offset:2080
	global_load_b128 v[83:86], v[25:26], off offset:2096
	s_wait_loadcnt 0xe
	v_cvt_f64_f32_e32 v[119:120], v27
	v_cvt_f64_f32_e32 v[121:122], v28
	;; [unrolled: 1-line block ×4, first 2 shown]
	s_wait_loadcnt 0xd
	v_cvt_f64_f32_e32 v[127:128], v31
	v_cvt_f64_f32_e32 v[31:32], v32
	;; [unrolled: 1-line block ×4, first 2 shown]
	v_fma_f64 v[27:28], -v[87:88], v[13:14], v[105:106]
	v_fma_f64 v[15:16], v[109:110], v[13:14], v[15:16]
	v_fma_f64 v[29:30], -v[89:90], v[13:14], v[103:104]
	v_fma_f64 v[87:88], v[113:114], v[13:14], v[95:96]
	;; [unrolled: 2-line block ×4, first 2 shown]
	s_wait_loadcnt 0xc
	v_fma_f64 v[95:96], v[119:120], v[35:36], v[27:28]
	v_fma_f64 v[15:16], v[121:122], v[35:36], v[15:16]
	v_fma_f64 v[101:102], v[123:124], v[35:36], v[29:30]
	v_fma_f64 v[87:88], v[125:126], v[35:36], v[87:88]
	v_fma_f64 v[89:90], v[127:128], v[35:36], v[89:90]
	v_fma_f64 v[91:92], v[31:32], v[35:36], v[91:92]
	v_fma_f64 v[93:94], v[129:130], v[35:36], v[93:94]
	v_fma_f64 v[35:36], v[33:34], v[35:36], v[11:12]
	s_clause 0x1
	global_load_b128 v[11:14], v[25:26], off offset:2112
	global_load_b128 v[27:30], v[25:26], off offset:2128
	s_wait_loadcnt 0xd
	v_cvt_f64_f32_e32 v[103:104], v39
	v_cvt_f64_f32_e32 v[105:106], v40
	;; [unrolled: 1-line block ×4, first 2 shown]
	s_wait_loadcnt 0xc
	v_cvt_f64_f32_e32 v[111:112], v43
	v_cvt_f64_f32_e32 v[43:44], v44
	;; [unrolled: 1-line block ×4, first 2 shown]
	v_fma_f64 v[39:40], -v[121:122], v[37:38], v[95:96]
	v_fma_f64 v[15:16], v[119:120], v[37:38], v[15:16]
	v_fma_f64 v[41:42], -v[125:126], v[37:38], v[101:102]
	v_fma_f64 v[87:88], v[123:124], v[37:38], v[87:88]
	;; [unrolled: 2-line block ×4, first 2 shown]
	global_load_b128 v[31:34], v[97:98], off offset:32
	s_wait_loadcnt 0xc
	v_fma_f64 v[95:96], v[103:104], v[47:48], v[39:40]
	v_fma_f64 v[15:16], v[105:106], v[47:48], v[15:16]
	;; [unrolled: 1-line block ×8, first 2 shown]
	s_clause 0x1
	global_load_b128 v[35:38], v[25:26], off offset:2144
	global_load_b128 v[39:42], v[25:26], off offset:2160
	s_wait_loadcnt 0xc
	v_cvt_f64_f32_e32 v[115:116], v55
	v_cvt_f64_f32_e32 v[117:118], v56
	v_cvt_f64_f32_e32 v[119:120], v57
	v_cvt_f64_f32_e32 v[121:122], v58
	s_wait_loadcnt 0xb
	v_cvt_f64_f32_e32 v[123:124], v59
	v_cvt_f64_f32_e32 v[59:60], v60
	;; [unrolled: 1-line block ×4, first 2 shown]
	v_fma_f64 v[55:56], -v[105:106], v[49:50], v[95:96]
	v_fma_f64 v[15:16], v[103:104], v[49:50], v[15:16]
	v_fma_f64 v[57:58], -v[109:110], v[49:50], v[101:102]
	v_fma_f64 v[87:88], v[107:108], v[49:50], v[87:88]
	;; [unrolled: 2-line block ×4, first 2 shown]
	global_load_b128 v[43:46], v[97:98], off offset:48
	v_fma_f64 v[95:96], v[115:116], v[51:52], v[55:56]
	v_fma_f64 v[15:16], v[117:118], v[51:52], v[15:16]
	;; [unrolled: 1-line block ×8, first 2 shown]
	s_clause 0x1
	global_load_b128 v[47:50], v[25:26], off offset:3072
	global_load_b128 v[55:58], v[25:26], off offset:3088
	s_wait_loadcnt 0xd
	v_cvt_f64_f32_e32 v[101:102], v63
	v_cvt_f64_f32_e32 v[103:104], v64
	;; [unrolled: 1-line block ×4, first 2 shown]
	s_wait_loadcnt 0xc
	v_cvt_f64_f32_e32 v[109:110], v67
	v_cvt_f64_f32_e32 v[67:68], v68
	v_cvt_f64_f32_e32 v[111:112], v69
	v_cvt_f64_f32_e32 v[69:70], v70
	v_sub_co_u32 v63, vcc_lo, v99, v17
	s_wait_alu 0xfffd
	v_sub_co_ci_u32_e64 v64, null, v100, v18, vcc_lo
	v_fma_f64 v[65:66], -v[117:118], v[53:54], v[95:96]
	v_fma_f64 v[15:16], v[115:116], v[53:54], v[15:16]
	v_fma_f64 v[95:96], -v[121:122], v[53:54], v[97:98]
	v_fma_f64 v[87:88], v[119:120], v[53:54], v[87:88]
	;; [unrolled: 2-line block ×4, first 2 shown]
	v_lshlrev_b64_e32 v[51:52], 6, v[63:64]
	s_delay_alu instid0(VALU_DEP_1) | instskip(SKIP_1) | instid1(VALU_DEP_2)
	v_add_co_u32 v93, vcc_lo, s4, v51
	s_wait_alu 0xfffd
	v_add_co_ci_u32_e64 v94, null, s5, v52, vcc_lo
	v_add_co_u32 v19, vcc_lo, v19, 32
	s_wait_alu 0xfffd
	v_add_co_ci_u32_e64 v20, null, 0, v20, vcc_lo
	global_load_b128 v[51:54], v[93:94], off
	s_wait_loadcnt 0xc
	v_fma_f64 v[97:98], v[101:102], v[71:72], v[65:66]
	v_fma_f64 v[15:16], v[103:104], v[71:72], v[15:16]
	;; [unrolled: 1-line block ×8, first 2 shown]
	s_clause 0x1
	global_load_b128 v[59:62], v[25:26], off offset:3104
	global_load_b128 v[63:66], v[25:26], off offset:3120
	s_wait_loadcnt 0xc
	v_cvt_f64_f32_e32 v[91:92], v79
	v_cvt_f64_f32_e32 v[115:116], v80
	;; [unrolled: 1-line block ×4, first 2 shown]
	s_wait_loadcnt 0xb
	v_cvt_f64_f32_e32 v[121:122], v83
	v_cvt_f64_f32_e32 v[83:84], v84
	;; [unrolled: 1-line block ×4, first 2 shown]
	v_fma_f64 v[79:80], -v[103:104], v[73:74], v[97:98]
	v_fma_f64 v[15:16], v[101:102], v[73:74], v[15:16]
	v_fma_f64 v[81:82], -v[107:108], v[73:74], v[95:96]
	v_fma_f64 v[87:88], v[105:106], v[73:74], v[87:88]
	;; [unrolled: 2-line block ×4, first 2 shown]
	global_load_b128 v[67:70], v[93:94], off offset:16
	v_fma_f64 v[99:100], v[91:92], v[75:76], v[79:80]
	v_fma_f64 v[15:16], v[115:116], v[75:76], v[15:16]
	;; [unrolled: 1-line block ×8, first 2 shown]
	s_clause 0x1
	global_load_b128 v[71:74], v[25:26], off offset:3136
	global_load_b128 v[79:82], v[25:26], off offset:3152
	s_wait_loadcnt 0xd
	v_cvt_f64_f32_e32 v[103:104], v11
	v_cvt_f64_f32_e32 v[105:106], v12
	;; [unrolled: 1-line block ×4, first 2 shown]
	s_wait_loadcnt 0xc
	v_cvt_f64_f32_e32 v[111:112], v27
	v_cvt_f64_f32_e32 v[113:114], v28
	;; [unrolled: 1-line block ×4, first 2 shown]
	global_load_b128 v[11:14], v[93:94], off offset:32
	v_fma_f64 v[27:28], -v[115:116], v[77:78], v[99:100]
	v_fma_f64 v[15:16], v[91:92], v[77:78], v[15:16]
	v_fma_f64 v[29:30], -v[119:120], v[77:78], v[101:102]
	v_fma_f64 v[87:88], v[117:118], v[77:78], v[87:88]
	;; [unrolled: 2-line block ×4, first 2 shown]
	s_wait_loadcnt 0xc
	v_fma_f64 v[91:92], v[103:104], v[31:32], v[27:28]
	v_fma_f64 v[15:16], v[105:106], v[31:32], v[15:16]
	;; [unrolled: 1-line block ×8, first 2 shown]
	s_clause 0x1
	global_load_b128 v[27:30], v[25:26], off offset:3168
	global_load_b128 v[75:78], v[25:26], off offset:3184
	v_add_co_u32 v25, vcc_lo, 0x1000, v25
	s_wait_alu 0xfffd
	v_add_co_ci_u32_e64 v26, null, 0, v26, vcc_lo
	v_cmp_ge_i64_e32 vcc_lo, v[19:20], v[23:24]
	s_wait_alu 0xfffe
	s_or_b32 s7, vcc_lo, s7
	s_wait_loadcnt 0xd
	v_cvt_f64_f32_e32 v[97:98], v35
	v_cvt_f64_f32_e32 v[99:100], v36
	;; [unrolled: 1-line block ×4, first 2 shown]
	s_wait_loadcnt 0xc
	v_cvt_f64_f32_e32 v[115:116], v39
	v_cvt_f64_f32_e32 v[39:40], v40
	;; [unrolled: 1-line block ×4, first 2 shown]
	v_fma_f64 v[91:92], -v[105:106], v[33:34], v[91:92]
	v_fma_f64 v[15:16], v[103:104], v[33:34], v[15:16]
	v_fma_f64 v[95:96], -v[109:110], v[33:34], v[95:96]
	v_fma_f64 v[87:88], v[107:108], v[33:34], v[87:88]
	;; [unrolled: 2-line block ×4, first 2 shown]
	global_load_b128 v[33:36], v[93:94], off offset:48
	s_wait_loadcnt 0xc
	v_fma_f64 v[91:92], v[97:98], v[43:44], v[91:92]
	v_fma_f64 v[15:16], v[99:100], v[43:44], v[15:16]
	v_fma_f64 v[93:94], v[101:102], v[43:44], v[95:96]
	v_fma_f64 v[87:88], v[37:38], v[43:44], v[87:88]
	v_fma_f64 v[83:84], v[115:116], v[43:44], v[83:84]
	v_fma_f64 v[89:90], v[39:40], v[43:44], v[89:90]
	v_fma_f64 v[85:86], v[117:118], v[43:44], v[85:86]
	v_fma_f64 v[31:32], v[41:42], v[43:44], v[31:32]
	s_wait_loadcnt 0xb
	v_cvt_f64_f32_e32 v[43:44], v47
	v_cvt_f64_f32_e32 v[47:48], v48
	v_cvt_f64_f32_e32 v[95:96], v49
	v_cvt_f64_f32_e32 v[49:50], v50
	s_wait_loadcnt 0xa
	v_cvt_f64_f32_e32 v[103:104], v55
	v_cvt_f64_f32_e32 v[55:56], v56
	v_cvt_f64_f32_e32 v[105:106], v57
	v_cvt_f64_f32_e32 v[57:58], v58
	v_fma_f64 v[91:92], -v[99:100], v[45:46], v[91:92]
	v_fma_f64 v[15:16], v[97:98], v[45:46], v[15:16]
	v_fma_f64 v[37:38], -v[37:38], v[45:46], v[93:94]
	v_fma_f64 v[87:88], v[101:102], v[45:46], v[87:88]
	v_fma_f64 v[39:40], -v[39:40], v[45:46], v[83:84]
	v_fma_f64 v[83:84], v[115:116], v[45:46], v[89:90]
	v_fma_f64 v[41:42], -v[41:42], v[45:46], v[85:86]
	v_fma_f64 v[31:32], v[117:118], v[45:46], v[31:32]
	s_wait_loadcnt 0x9
	v_fma_f64 v[45:46], v[43:44], v[51:52], v[91:92]
	v_fma_f64 v[15:16], v[47:48], v[51:52], v[15:16]
	v_fma_f64 v[37:38], v[95:96], v[51:52], v[37:38]
	v_fma_f64 v[85:86], v[49:50], v[51:52], v[87:88]
	v_fma_f64 v[39:40], v[103:104], v[51:52], v[39:40]
	v_fma_f64 v[83:84], v[55:56], v[51:52], v[83:84]
	v_fma_f64 v[41:42], v[105:106], v[51:52], v[41:42]
	v_fma_f64 v[31:32], v[57:58], v[51:52], v[31:32]
	s_wait_loadcnt 0x8
	v_cvt_f64_f32_e32 v[51:52], v59
	v_cvt_f64_f32_e32 v[59:60], v60
	v_cvt_f64_f32_e32 v[87:88], v61
	v_cvt_f64_f32_e32 v[61:62], v62
	s_wait_loadcnt 0x7
	v_cvt_f64_f32_e32 v[89:90], v63
	v_cvt_f64_f32_e32 v[63:64], v64
	v_cvt_f64_f32_e32 v[91:92], v65
	v_cvt_f64_f32_e32 v[65:66], v66
	v_fma_f64 v[45:46], -v[47:48], v[53:54], v[45:46]
	v_fma_f64 v[15:16], v[43:44], v[53:54], v[15:16]
	v_fma_f64 v[37:38], -v[49:50], v[53:54], v[37:38]
	v_fma_f64 v[43:44], v[95:96], v[53:54], v[85:86]
	v_fma_f64 v[39:40], -v[55:56], v[53:54], v[39:40]
	v_fma_f64 v[47:48], v[103:104], v[53:54], v[83:84]
	v_fma_f64 v[41:42], -v[57:58], v[53:54], v[41:42]
	v_fma_f64 v[31:32], v[105:106], v[53:54], v[31:32]
	;; [unrolled: 27-line block ×4, first 2 shown]
	s_wait_loadcnt 0x0
	v_fma_f64 v[13:14], v[31:32], v[33:34], v[45:46]
	v_fma_f64 v[15:16], v[27:28], v[33:34], v[15:16]
	;; [unrolled: 1-line block ×8, first 2 shown]
	v_fma_f64 v[33:34], -v[27:28], v[35:36], v[13:14]
	v_fma_f64 v[27:28], v[31:32], v[35:36], v[15:16]
	v_fma_f64 v[41:42], -v[29:30], v[35:36], v[37:38]
	v_fma_f64 v[31:32], v[51:52], v[35:36], v[43:44]
	;; [unrolled: 2-line block ×4, first 2 shown]
	s_wait_alu 0xfffe
	s_and_not1_b32 exec_lo, exec_lo, s7
	s_cbranch_execnz .LBB176_33
; %bb.34:
	s_or_b32 exec_lo, exec_lo, s7
.LBB176_35:
	s_wait_alu 0xfffe
	s_or_b32 exec_lo, exec_lo, s6
.LBB176_36:
	s_wait_alu 0xfffe
	s_or_b32 exec_lo, exec_lo, s3
.LBB176_37:
	v_mbcnt_lo_u32_b32 v43, -1, 0
	s_delay_alu instid0(VALU_DEP_1) | instskip(NEXT) | instid1(VALU_DEP_1)
	v_xor_b32_e32 v9, 4, v43
	v_cmp_gt_i32_e32 vcc_lo, 32, v9
	s_wait_alu 0xfffd
	v_cndmask_b32_e32 v9, v43, v9, vcc_lo
	s_delay_alu instid0(VALU_DEP_1)
	v_lshlrev_b32_e32 v26, 2, v9
	ds_bpermute_b32 v9, v26, v33
	ds_bpermute_b32 v10, v26, v34
	;; [unrolled: 1-line block ×16, first 2 shown]
	s_wait_dscnt 0xe
	v_add_f64_e32 v[9:10], v[33:34], v[9:10]
	s_wait_dscnt 0xc
	v_add_f64_e32 v[11:12], v[27:28], v[11:12]
	;; [unrolled: 2-line block ×8, first 2 shown]
	v_xor_b32_e32 v25, 2, v43
	s_delay_alu instid0(VALU_DEP_1) | instskip(SKIP_2) | instid1(VALU_DEP_1)
	v_cmp_gt_i32_e32 vcc_lo, 32, v25
	s_wait_alu 0xfffd
	v_cndmask_b32_e32 v25, v43, v25, vcc_lo
	v_lshlrev_b32_e32 v42, 2, v25
	ds_bpermute_b32 v25, v42, v9
	ds_bpermute_b32 v26, v42, v10
	;; [unrolled: 1-line block ×16, first 2 shown]
	s_wait_dscnt 0xe
	v_add_f64_e32 v[9:10], v[9:10], v[25:26]
	s_wait_dscnt 0xc
	v_add_f64_e32 v[29:30], v[11:12], v[29:30]
	;; [unrolled: 2-line block ×7, first 2 shown]
	v_xor_b32_e32 v23, 1, v43
	s_wait_dscnt 0x0
	v_add_f64_e32 v[17:18], v[27:28], v[41:42]
	s_delay_alu instid0(VALU_DEP_2) | instskip(SKIP_3) | instid1(VALU_DEP_2)
	v_cmp_gt_i32_e32 vcc_lo, 32, v23
	s_wait_alu 0xfffd
	v_cndmask_b32_e32 v23, v43, v23, vcc_lo
	v_cmp_eq_u32_e32 vcc_lo, 7, v0
	v_lshlrev_b32_e32 v36, 2, v23
	ds_bpermute_b32 v23, v36, v9
	ds_bpermute_b32 v24, v36, v10
	;; [unrolled: 1-line block ×16, first 2 shown]
	s_and_b32 exec_lo, exec_lo, vcc_lo
	s_cbranch_execz .LBB176_8
; %bb.38:
	s_wait_dscnt 0xc
	v_add_f64_e32 v[29:30], v[29:30], v[41:42]
	s_wait_dscnt 0x8
	v_add_f64_e32 v[25:26], v[25:26], v[39:40]
	;; [unrolled: 2-line block ×4, first 2 shown]
	v_add_f64_e32 v[9:10], v[9:10], v[23:24]
	v_add_f64_e32 v[11:12], v[11:12], v[27:28]
	;; [unrolled: 1-line block ×4, first 2 shown]
	v_cmp_eq_f64_e32 vcc_lo, 0, v[1:2]
	v_cmp_eq_f64_e64 s2, 0, v[3:4]
	s_load_b64 s[0:1], s[0:1], 0x68
	v_lshlrev_b64_e32 v[21:22], 6, v[21:22]
	v_mul_f64_e64 v[13:14], v[29:30], -v[7:8]
	v_mul_f64_e32 v[15:16], v[5:6], v[29:30]
	v_mul_f64_e64 v[29:30], v[25:26], -v[7:8]
	v_mul_f64_e32 v[25:26], v[5:6], v[25:26]
	;; [unrolled: 2-line block ×4, first 2 shown]
	s_and_b32 s2, vcc_lo, s2
	v_fma_f64 v[17:18], v[5:6], v[9:10], v[13:14]
	v_fma_f64 v[19:20], v[7:8], v[9:10], v[15:16]
	;; [unrolled: 1-line block ×8, first 2 shown]
	s_wait_alu 0xfffe
	s_and_saveexec_b32 s3, s2
	s_wait_alu 0xfffe
	s_xor_b32 s2, exec_lo, s3
	s_cbranch_execz .LBB176_40
; %bb.39:
	s_wait_kmcnt 0x0
	v_add_co_u32 v0, vcc_lo, s0, v21
	s_wait_alu 0xfffd
	v_add_co_ci_u32_e64 v1, null, s1, v22, vcc_lo
                                        ; implicit-def: $vgpr21_vgpr22
	s_clause 0x3
	global_store_b128 v[0:1], v[17:20], off
	global_store_b128 v[0:1], v[13:16], off offset:16
	global_store_b128 v[0:1], v[9:12], off offset:32
	;; [unrolled: 1-line block ×3, first 2 shown]
                                        ; implicit-def: $vgpr3_vgpr4
                                        ; implicit-def: $vgpr17_vgpr18
                                        ; implicit-def: $vgpr13_vgpr14
                                        ; implicit-def: $vgpr9_vgpr10
                                        ; implicit-def: $vgpr5_vgpr6
.LBB176_40:
	s_wait_alu 0xfffe
	s_and_not1_saveexec_b32 s2, s2
	s_cbranch_execz .LBB176_8
; %bb.41:
	s_wait_kmcnt 0x0
	v_add_co_u32 v37, vcc_lo, s0, v21
	s_wait_alu 0xfffd
	v_add_co_ci_u32_e64 v38, null, s1, v22, vcc_lo
	s_clause 0x3
	global_load_b128 v[21:24], v[37:38], off
	global_load_b128 v[25:28], v[37:38], off offset:16
	global_load_b128 v[29:32], v[37:38], off offset:32
	;; [unrolled: 1-line block ×3, first 2 shown]
	s_wait_loadcnt 0x3
	v_fma_f64 v[17:18], v[1:2], v[21:22], v[17:18]
	v_fma_f64 v[19:20], v[3:4], v[21:22], v[19:20]
	s_wait_loadcnt 0x2
	v_fma_f64 v[13:14], v[1:2], v[25:26], v[13:14]
	v_fma_f64 v[15:16], v[3:4], v[25:26], v[15:16]
	;; [unrolled: 3-line block ×4, first 2 shown]
	v_fma_f64 v[5:6], -v[3:4], v[23:24], v[17:18]
	v_fma_f64 v[7:8], v[1:2], v[23:24], v[19:20]
	v_fma_f64 v[9:10], -v[3:4], v[27:28], v[13:14]
	v_fma_f64 v[11:12], v[1:2], v[27:28], v[15:16]
	;; [unrolled: 2-line block ×4, first 2 shown]
	s_clause 0x3
	global_store_b128 v[37:38], v[5:8], off
	global_store_b128 v[37:38], v[9:12], off offset:16
	global_store_b128 v[37:38], v[13:16], off offset:32
	;; [unrolled: 1-line block ×3, first 2 shown]
	s_nop 0
	s_sendmsg sendmsg(MSG_DEALLOC_VGPRS)
	s_endpgm
	.section	.rodata,"a",@progbits
	.p2align	6, 0x0
	.amdhsa_kernel _ZN9rocsparseL18bsrxmvn_4x4_kernelILj128ELj8E21rocsparse_complex_numIdEllS1_IfES2_S2_EEvT3_20rocsparse_direction_NS_24const_host_device_scalarIT1_EES4_PKS4_PKT2_SD_SA_PKT4_PKT5_S8_PT6_21rocsparse_index_base_b
		.amdhsa_group_segment_fixed_size 0
		.amdhsa_private_segment_fixed_size 0
		.amdhsa_kernarg_size 120
		.amdhsa_user_sgpr_count 2
		.amdhsa_user_sgpr_dispatch_ptr 0
		.amdhsa_user_sgpr_queue_ptr 0
		.amdhsa_user_sgpr_kernarg_segment_ptr 1
		.amdhsa_user_sgpr_dispatch_id 0
		.amdhsa_user_sgpr_private_segment_size 0
		.amdhsa_wavefront_size32 1
		.amdhsa_uses_dynamic_stack 0
		.amdhsa_enable_private_segment 0
		.amdhsa_system_sgpr_workgroup_id_x 1
		.amdhsa_system_sgpr_workgroup_id_y 0
		.amdhsa_system_sgpr_workgroup_id_z 0
		.amdhsa_system_sgpr_workgroup_info 0
		.amdhsa_system_vgpr_workitem_id 0
		.amdhsa_next_free_vgpr 139
		.amdhsa_next_free_sgpr 12
		.amdhsa_reserve_vcc 1
		.amdhsa_float_round_mode_32 0
		.amdhsa_float_round_mode_16_64 0
		.amdhsa_float_denorm_mode_32 3
		.amdhsa_float_denorm_mode_16_64 3
		.amdhsa_fp16_overflow 0
		.amdhsa_workgroup_processor_mode 1
		.amdhsa_memory_ordered 1
		.amdhsa_forward_progress 1
		.amdhsa_inst_pref_size 98
		.amdhsa_round_robin_scheduling 0
		.amdhsa_exception_fp_ieee_invalid_op 0
		.amdhsa_exception_fp_denorm_src 0
		.amdhsa_exception_fp_ieee_div_zero 0
		.amdhsa_exception_fp_ieee_overflow 0
		.amdhsa_exception_fp_ieee_underflow 0
		.amdhsa_exception_fp_ieee_inexact 0
		.amdhsa_exception_int_div_zero 0
	.end_amdhsa_kernel
	.section	.text._ZN9rocsparseL18bsrxmvn_4x4_kernelILj128ELj8E21rocsparse_complex_numIdEllS1_IfES2_S2_EEvT3_20rocsparse_direction_NS_24const_host_device_scalarIT1_EES4_PKS4_PKT2_SD_SA_PKT4_PKT5_S8_PT6_21rocsparse_index_base_b,"axG",@progbits,_ZN9rocsparseL18bsrxmvn_4x4_kernelILj128ELj8E21rocsparse_complex_numIdEllS1_IfES2_S2_EEvT3_20rocsparse_direction_NS_24const_host_device_scalarIT1_EES4_PKS4_PKT2_SD_SA_PKT4_PKT5_S8_PT6_21rocsparse_index_base_b,comdat
.Lfunc_end176:
	.size	_ZN9rocsparseL18bsrxmvn_4x4_kernelILj128ELj8E21rocsparse_complex_numIdEllS1_IfES2_S2_EEvT3_20rocsparse_direction_NS_24const_host_device_scalarIT1_EES4_PKS4_PKT2_SD_SA_PKT4_PKT5_S8_PT6_21rocsparse_index_base_b, .Lfunc_end176-_ZN9rocsparseL18bsrxmvn_4x4_kernelILj128ELj8E21rocsparse_complex_numIdEllS1_IfES2_S2_EEvT3_20rocsparse_direction_NS_24const_host_device_scalarIT1_EES4_PKS4_PKT2_SD_SA_PKT4_PKT5_S8_PT6_21rocsparse_index_base_b
                                        ; -- End function
	.set _ZN9rocsparseL18bsrxmvn_4x4_kernelILj128ELj8E21rocsparse_complex_numIdEllS1_IfES2_S2_EEvT3_20rocsparse_direction_NS_24const_host_device_scalarIT1_EES4_PKS4_PKT2_SD_SA_PKT4_PKT5_S8_PT6_21rocsparse_index_base_b.num_vgpr, 139
	.set _ZN9rocsparseL18bsrxmvn_4x4_kernelILj128ELj8E21rocsparse_complex_numIdEllS1_IfES2_S2_EEvT3_20rocsparse_direction_NS_24const_host_device_scalarIT1_EES4_PKS4_PKT2_SD_SA_PKT4_PKT5_S8_PT6_21rocsparse_index_base_b.num_agpr, 0
	.set _ZN9rocsparseL18bsrxmvn_4x4_kernelILj128ELj8E21rocsparse_complex_numIdEllS1_IfES2_S2_EEvT3_20rocsparse_direction_NS_24const_host_device_scalarIT1_EES4_PKS4_PKT2_SD_SA_PKT4_PKT5_S8_PT6_21rocsparse_index_base_b.numbered_sgpr, 12
	.set _ZN9rocsparseL18bsrxmvn_4x4_kernelILj128ELj8E21rocsparse_complex_numIdEllS1_IfES2_S2_EEvT3_20rocsparse_direction_NS_24const_host_device_scalarIT1_EES4_PKS4_PKT2_SD_SA_PKT4_PKT5_S8_PT6_21rocsparse_index_base_b.num_named_barrier, 0
	.set _ZN9rocsparseL18bsrxmvn_4x4_kernelILj128ELj8E21rocsparse_complex_numIdEllS1_IfES2_S2_EEvT3_20rocsparse_direction_NS_24const_host_device_scalarIT1_EES4_PKS4_PKT2_SD_SA_PKT4_PKT5_S8_PT6_21rocsparse_index_base_b.private_seg_size, 0
	.set _ZN9rocsparseL18bsrxmvn_4x4_kernelILj128ELj8E21rocsparse_complex_numIdEllS1_IfES2_S2_EEvT3_20rocsparse_direction_NS_24const_host_device_scalarIT1_EES4_PKS4_PKT2_SD_SA_PKT4_PKT5_S8_PT6_21rocsparse_index_base_b.uses_vcc, 1
	.set _ZN9rocsparseL18bsrxmvn_4x4_kernelILj128ELj8E21rocsparse_complex_numIdEllS1_IfES2_S2_EEvT3_20rocsparse_direction_NS_24const_host_device_scalarIT1_EES4_PKS4_PKT2_SD_SA_PKT4_PKT5_S8_PT6_21rocsparse_index_base_b.uses_flat_scratch, 0
	.set _ZN9rocsparseL18bsrxmvn_4x4_kernelILj128ELj8E21rocsparse_complex_numIdEllS1_IfES2_S2_EEvT3_20rocsparse_direction_NS_24const_host_device_scalarIT1_EES4_PKS4_PKT2_SD_SA_PKT4_PKT5_S8_PT6_21rocsparse_index_base_b.has_dyn_sized_stack, 0
	.set _ZN9rocsparseL18bsrxmvn_4x4_kernelILj128ELj8E21rocsparse_complex_numIdEllS1_IfES2_S2_EEvT3_20rocsparse_direction_NS_24const_host_device_scalarIT1_EES4_PKS4_PKT2_SD_SA_PKT4_PKT5_S8_PT6_21rocsparse_index_base_b.has_recursion, 0
	.set _ZN9rocsparseL18bsrxmvn_4x4_kernelILj128ELj8E21rocsparse_complex_numIdEllS1_IfES2_S2_EEvT3_20rocsparse_direction_NS_24const_host_device_scalarIT1_EES4_PKS4_PKT2_SD_SA_PKT4_PKT5_S8_PT6_21rocsparse_index_base_b.has_indirect_call, 0
	.section	.AMDGPU.csdata,"",@progbits
; Kernel info:
; codeLenInByte = 12476
; TotalNumSgprs: 14
; NumVgprs: 139
; ScratchSize: 0
; MemoryBound: 0
; FloatMode: 240
; IeeeMode: 1
; LDSByteSize: 0 bytes/workgroup (compile time only)
; SGPRBlocks: 0
; VGPRBlocks: 17
; NumSGPRsForWavesPerEU: 14
; NumVGPRsForWavesPerEU: 139
; Occupancy: 10
; WaveLimiterHint : 1
; COMPUTE_PGM_RSRC2:SCRATCH_EN: 0
; COMPUTE_PGM_RSRC2:USER_SGPR: 2
; COMPUTE_PGM_RSRC2:TRAP_HANDLER: 0
; COMPUTE_PGM_RSRC2:TGID_X_EN: 1
; COMPUTE_PGM_RSRC2:TGID_Y_EN: 0
; COMPUTE_PGM_RSRC2:TGID_Z_EN: 0
; COMPUTE_PGM_RSRC2:TIDIG_COMP_CNT: 0
	.section	.text._ZN9rocsparseL18bsrxmvn_4x4_kernelILj128ELj16E21rocsparse_complex_numIdEllS1_IfES2_S2_EEvT3_20rocsparse_direction_NS_24const_host_device_scalarIT1_EES4_PKS4_PKT2_SD_SA_PKT4_PKT5_S8_PT6_21rocsparse_index_base_b,"axG",@progbits,_ZN9rocsparseL18bsrxmvn_4x4_kernelILj128ELj16E21rocsparse_complex_numIdEllS1_IfES2_S2_EEvT3_20rocsparse_direction_NS_24const_host_device_scalarIT1_EES4_PKS4_PKT2_SD_SA_PKT4_PKT5_S8_PT6_21rocsparse_index_base_b,comdat
	.globl	_ZN9rocsparseL18bsrxmvn_4x4_kernelILj128ELj16E21rocsparse_complex_numIdEllS1_IfES2_S2_EEvT3_20rocsparse_direction_NS_24const_host_device_scalarIT1_EES4_PKS4_PKT2_SD_SA_PKT4_PKT5_S8_PT6_21rocsparse_index_base_b ; -- Begin function _ZN9rocsparseL18bsrxmvn_4x4_kernelILj128ELj16E21rocsparse_complex_numIdEllS1_IfES2_S2_EEvT3_20rocsparse_direction_NS_24const_host_device_scalarIT1_EES4_PKS4_PKT2_SD_SA_PKT4_PKT5_S8_PT6_21rocsparse_index_base_b
	.p2align	8
	.type	_ZN9rocsparseL18bsrxmvn_4x4_kernelILj128ELj16E21rocsparse_complex_numIdEllS1_IfES2_S2_EEvT3_20rocsparse_direction_NS_24const_host_device_scalarIT1_EES4_PKS4_PKT2_SD_SA_PKT4_PKT5_S8_PT6_21rocsparse_index_base_b,@function
_ZN9rocsparseL18bsrxmvn_4x4_kernelILj128ELj16E21rocsparse_complex_numIdEllS1_IfES2_S2_EEvT3_20rocsparse_direction_NS_24const_host_device_scalarIT1_EES4_PKS4_PKT2_SD_SA_PKT4_PKT5_S8_PT6_21rocsparse_index_base_b: ; @_ZN9rocsparseL18bsrxmvn_4x4_kernelILj128ELj16E21rocsparse_complex_numIdEllS1_IfES2_S2_EEvT3_20rocsparse_direction_NS_24const_host_device_scalarIT1_EES4_PKS4_PKT2_SD_SA_PKT4_PKT5_S8_PT6_21rocsparse_index_base_b
; %bb.0:
	s_clause 0x1
	s_load_b64 s[4:5], s[0:1], 0x70
	s_load_b64 s[2:3], s[0:1], 0x10
	s_add_nc_u64 s[6:7], s[0:1], 16
	s_load_b64 s[8:9], s[0:1], 0x58
	s_wait_kmcnt 0x0
	s_bitcmp1_b32 s5, 0
	s_cselect_b32 s2, s6, s2
	s_cselect_b32 s3, s7, s3
	s_delay_alu instid0(SALU_CYCLE_1)
	v_dual_mov_b32 v1, s2 :: v_dual_mov_b32 v2, s3
	s_add_nc_u64 s[2:3], s[0:1], 0x58
	s_wait_alu 0xfffe
	s_cselect_b32 s2, s2, s8
	s_cselect_b32 s3, s3, s9
	flat_load_b128 v[5:8], v[1:2]
	s_wait_alu 0xfffe
	v_dual_mov_b32 v1, s2 :: v_dual_mov_b32 v2, s3
	flat_load_b128 v[1:4], v[1:2]
	s_wait_loadcnt_dscnt 0x101
	v_cmp_eq_f64_e32 vcc_lo, 0, v[5:6]
	v_cmp_eq_f64_e64 s2, 0, v[7:8]
	s_and_b32 s5, vcc_lo, s2
	s_mov_b32 s2, -1
	s_and_saveexec_b32 s3, s5
	s_cbranch_execz .LBB177_2
; %bb.1:
	s_wait_loadcnt_dscnt 0x0
	v_cmp_neq_f64_e32 vcc_lo, 1.0, v[1:2]
	v_cmp_neq_f64_e64 s2, 0, v[3:4]
	s_wait_alu 0xfffe
	s_or_b32 s2, vcc_lo, s2
	s_wait_alu 0xfffe
	s_or_not1_b32 s2, s2, exec_lo
.LBB177_2:
	s_wait_alu 0xfffe
	s_or_b32 exec_lo, exec_lo, s3
	s_and_saveexec_b32 s3, s2
	s_cbranch_execz .LBB177_8
; %bb.3:
	s_load_b64 s[2:3], s[0:1], 0x28
	v_lshrrev_b32_e32 v9, 4, v0
	v_mov_b32_e32 v10, 0
	s_delay_alu instid0(VALU_DEP_2)
	v_lshl_or_b32 v9, ttmp9, 3, v9
	s_wait_kmcnt 0x0
	s_cmp_lg_u64 s[2:3], 0
	s_cbranch_scc0 .LBB177_9
; %bb.4:
	s_load_b64 s[6:7], s[0:1], 0x20
                                        ; implicit-def: $vgpr21_vgpr22
                                        ; implicit-def: $vgpr17_vgpr18
	s_wait_kmcnt 0x0
	v_cmp_gt_i64_e32 vcc_lo, s[6:7], v[9:10]
	s_mov_b32 s7, 0
	s_mov_b32 s6, 0
	s_and_saveexec_b32 s5, vcc_lo
	s_delay_alu instid0(SALU_CYCLE_1)
	s_xor_b32 s8, exec_lo, s5
	s_cbranch_execz .LBB177_6
; %bb.5:
	v_lshlrev_b64_e32 v[11:12], 3, v[9:10]
	s_mov_b32 s5, 0
	s_mov_b32 s6, exec_lo
	v_dual_mov_b32 v18, s5 :: v_dual_mov_b32 v17, s4
	s_delay_alu instid0(VALU_DEP_2) | instskip(NEXT) | instid1(VALU_DEP_1)
	v_add_co_u32 v11, vcc_lo, s2, v11
	v_add_co_ci_u32_e64 v12, null, s3, v12, vcc_lo
	global_load_b64 v[11:12], v[11:12], off
	s_wait_loadcnt 0x0
	v_sub_co_u32 v21, vcc_lo, v11, s4
	s_wait_alu 0xfffd
	v_subrev_co_ci_u32_e64 v22, null, 0, v12, vcc_lo
.LBB177_6:
	s_or_b32 exec_lo, exec_lo, s8
	s_wait_alu 0xfffe
	s_and_b32 vcc_lo, exec_lo, s7
	s_wait_alu 0xfffe
	s_cbranch_vccnz .LBB177_10
.LBB177_7:
	s_and_b32 exec_lo, exec_lo, s6
	s_cbranch_execnz .LBB177_13
.LBB177_8:
	s_nop 0
	s_sendmsg sendmsg(MSG_DEALLOC_VGPRS)
	s_endpgm
.LBB177_9:
	s_mov_b32 s6, 0
                                        ; implicit-def: $vgpr21_vgpr22
                                        ; implicit-def: $vgpr17_vgpr18
	s_cbranch_execz .LBB177_7
.LBB177_10:
	s_load_b64 s[2:3], s[0:1], 0x0
	s_wait_kmcnt 0x0
	v_cmp_gt_i64_e32 vcc_lo, s[2:3], v[9:10]
	s_and_saveexec_b32 s2, vcc_lo
; %bb.11:
	s_mov_b32 s5, 0
	s_or_b32 s6, s6, exec_lo
; %bb.12:
	s_wait_alu 0xfffe
	s_or_b32 exec_lo, exec_lo, s2
	v_dual_mov_b32 v18, s5 :: v_dual_mov_b32 v17, s4
	v_dual_mov_b32 v22, v10 :: v_dual_mov_b32 v21, v9
	s_and_b32 exec_lo, exec_lo, s6
	s_cbranch_execz .LBB177_8
.LBB177_13:
	s_load_b256 s[4:11], s[0:1], 0x30
	s_delay_alu instid0(VALU_DEP_1) | instskip(SKIP_3) | instid1(VALU_DEP_2)
	v_lshlrev_b64_e32 v[9:10], 3, v[21:22]
	v_and_b32_e32 v0, 15, v0
	s_load_b32 s3, s[0:1], 0x8
	s_wait_kmcnt 0x0
	v_add_co_u32 v11, vcc_lo, s4, v9
	s_wait_alu 0xfffd
	v_add_co_ci_u32_e64 v12, null, s5, v10, vcc_lo
	v_add_co_u32 v9, vcc_lo, s6, v9
	s_wait_alu 0xfffd
	v_add_co_ci_u32_e64 v10, null, s7, v10, vcc_lo
	;; [unrolled: 3-line block ×3, first 2 shown]
	global_load_b64 v[43:44], v[11:12], off
	s_cmp_eq_u64 s[6:7], 0
	s_load_b64 s[4:5], s[0:1], 0x50
	s_cselect_b32 vcc_lo, -1, 0
	s_cmp_eq_u32 s3, 1
	s_wait_alu 0xfffe
	v_dual_cndmask_b32 v10, v10, v14 :: v_dual_cndmask_b32 v9, v9, v13
	global_load_b64 v[9:10], v[9:10], off
	s_wait_loadcnt 0x1
	v_sub_co_u32 v11, vcc_lo, v43, v17
	s_wait_alu 0xfffd
	v_sub_co_ci_u32_e64 v12, null, v44, v18, vcc_lo
	s_delay_alu instid0(VALU_DEP_2) | instskip(SKIP_1) | instid1(VALU_DEP_2)
	v_add_co_u32 v19, vcc_lo, v11, v0
	s_wait_alu 0xfffd
	v_add_co_ci_u32_e64 v20, null, 0, v12, vcc_lo
	s_wait_loadcnt 0x0
	v_sub_co_u32 v23, vcc_lo, v9, v17
	s_wait_alu 0xfffd
	v_sub_co_ci_u32_e64 v24, null, v10, v18, vcc_lo
	v_lshlrev_b64_e32 v[9:10], 7, v[19:20]
	s_delay_alu instid0(VALU_DEP_2) | instskip(NEXT) | instid1(VALU_DEP_2)
	v_cmp_lt_i64_e64 s2, v[19:20], v[23:24]
	v_add_co_u32 v25, vcc_lo, s10, v9
	s_wait_alu 0xfffd
	s_delay_alu instid0(VALU_DEP_3)
	v_add_co_ci_u32_e64 v26, null, s11, v10, vcc_lo
	s_cbranch_scc1 .LBB177_25
; %bb.14:
	v_mov_b32_e32 v27, 0
	v_mov_b32_e32 v31, 0
	;; [unrolled: 1-line block ×3, first 2 shown]
	v_dual_mov_b32 v35, 0 :: v_dual_mov_b32 v28, 0
	v_dual_mov_b32 v33, 0 :: v_dual_mov_b32 v32, 0
	;; [unrolled: 1-line block ×5, first 2 shown]
	v_mov_b32_e32 v42, 0
	v_mov_b32_e32 v40, 0
	;; [unrolled: 1-line block ×3, first 2 shown]
	s_and_saveexec_b32 s6, s2
	s_cbranch_execz .LBB177_24
; %bb.15:
	v_or_b32_e32 v9, 16, v0
	v_not_b32_e32 v13, v43
	v_dual_mov_b32 v12, 0 :: v_dual_mov_b32 v29, 0
	v_not_b32_e32 v11, v44
	s_delay_alu instid0(VALU_DEP_4) | instskip(SKIP_3) | instid1(VALU_DEP_3)
	v_sub_co_u32 v9, vcc_lo, v9, v17
	s_wait_alu 0xfffd
	v_sub_co_ci_u32_e64 v10, null, 0, v18, vcc_lo
	v_mov_b32_e32 v41, 0
	v_add_co_u32 v9, vcc_lo, v9, v43
	s_wait_alu 0xfffd
	s_delay_alu instid0(VALU_DEP_3) | instskip(SKIP_3) | instid1(VALU_DEP_3)
	v_add_co_ci_u32_e64 v10, null, v10, v44, vcc_lo
	v_sub_co_u32 v14, vcc_lo, v17, v0
	s_wait_alu 0xfffd
	v_subrev_co_ci_u32_e64 v15, null, 0, v18, vcc_lo
	v_cmp_gt_i64_e32 vcc_lo, v[9:10], v[23:24]
	v_mov_b32_e32 v30, 0
	v_add_co_u32 v13, s3, v14, v13
	s_wait_alu 0xf1ff
	v_add_co_ci_u32_e64 v11, null, v15, v11, s3
	s_wait_alu 0xfffd
	v_dual_cndmask_b32 v9, v23, v9 :: v_dual_cndmask_b32 v10, v24, v10
	v_mov_b32_e32 v35, 0
	v_dual_mov_b32 v36, 0 :: v_dual_mov_b32 v39, 0
	s_delay_alu instid0(VALU_DEP_3)
	v_add_co_u32 v9, vcc_lo, v13, v9
	v_dual_mov_b32 v33, 0 :: v_dual_mov_b32 v40, 0
	v_dual_mov_b32 v37, 0 :: v_dual_mov_b32 v42, 0
	;; [unrolled: 1-line block ×4, first 2 shown]
	s_wait_alu 0xfffd
	v_add_co_ci_u32_e64 v10, null, v11, v10, vcc_lo
	v_dual_mov_b32 v32, 0 :: v_dual_and_b32 v11, 48, v9
	v_mov_b32_e32 v28, 0
	v_dual_mov_b32 v48, v26 :: v_dual_mov_b32 v47, v25
	v_dual_mov_b32 v46, v20 :: v_dual_mov_b32 v45, v19
	s_mov_b32 s7, exec_lo
	v_cmpx_ne_u64_e32 48, v[11:12]
	s_cbranch_execz .LBB177_19
; %bb.16:
	v_lshrrev_b32_e32 v13, 4, v9
	v_lshlrev_b64_e32 v[11:12], 3, v[19:20]
	v_dual_mov_b32 v27, 0 :: v_dual_mov_b32 v46, v20
	v_mov_b32_e32 v37, 0
	s_delay_alu instid0(VALU_DEP_4) | instskip(NEXT) | instid1(VALU_DEP_4)
	v_dual_mov_b32 v28, 0 :: v_dual_add_nc_u32 v13, 1, v13
	v_add_co_u32 v11, vcc_lo, s8, v11
	v_mov_b32_e32 v33, 0
	s_delay_alu instid0(VALU_DEP_3) | instskip(SKIP_3) | instid1(VALU_DEP_4)
	v_dual_mov_b32 v38, 0 :: v_dual_and_b32 v13, 3, v13
	v_mov_b32_e32 v31, 0
	v_mov_b32_e32 v41, 0
	;; [unrolled: 1-line block ×3, first 2 shown]
	v_sub_co_u32 v13, s3, 0, v13
	v_dual_mov_b32 v35, 0 :: v_dual_mov_b32 v48, v26
	v_mov_b32_e32 v29, 0
	v_dual_mov_b32 v45, v19 :: v_dual_mov_b32 v34, 0
	v_mov_b32_e32 v32, 0
	s_wait_alu 0xfffd
	v_add_co_ci_u32_e64 v12, null, s9, v12, vcc_lo
	s_wait_alu 0xf1ff
	v_sub_co_ci_u32_e64 v14, null, 0, 0, s3
	v_mov_b32_e32 v42, 0
	v_mov_b32_e32 v40, 0
	;; [unrolled: 1-line block ×3, first 2 shown]
	v_dual_mov_b32 v30, 0 :: v_dual_mov_b32 v47, v25
	s_mov_b32 s10, 0
.LBB177_17:                             ; =>This Inner Loop Header: Depth=1
	global_load_b64 v[15:16], v[11:12], off
	s_clause 0x3
	global_load_b128 v[49:52], v[47:48], off
	global_load_b128 v[53:56], v[47:48], off offset:32
	global_load_b128 v[57:60], v[47:48], off offset:64
	;; [unrolled: 1-line block ×3, first 2 shown]
	v_add_co_u32 v11, s3, 0x80, v11
	s_wait_alu 0xf1ff
	v_add_co_ci_u32_e64 v12, null, 0, v12, s3
	s_wait_loadcnt 0x4
	v_sub_co_u32 v15, vcc_lo, v15, v17
	s_wait_alu 0xfffd
	v_sub_co_ci_u32_e64 v16, null, v16, v18, vcc_lo
	s_wait_loadcnt 0x2
	v_cvt_f64_f32_e32 v[97:98], v53
	v_cvt_f64_f32_e32 v[53:54], v54
	s_wait_loadcnt 0x1
	v_cvt_f64_f32_e32 v[99:100], v57
	v_lshlrev_b64_e32 v[15:16], 6, v[15:16]
	v_cvt_f64_f32_e32 v[57:58], v58
	s_wait_loadcnt 0x0
	v_cvt_f64_f32_e32 v[101:102], v61
	v_cvt_f64_f32_e32 v[61:62], v62
	;; [unrolled: 1-line block ×4, first 2 shown]
	s_wait_kmcnt 0x0
	v_add_co_u32 v15, vcc_lo, s4, v15
	s_wait_alu 0xfffd
	v_add_co_ci_u32_e64 v16, null, s5, v16, vcc_lo
	v_cvt_f64_f32_e32 v[105:106], v59
	v_cvt_f64_f32_e32 v[59:60], v60
	;; [unrolled: 1-line block ×3, first 2 shown]
	s_clause 0x1
	global_load_b128 v[65:68], v[15:16], off
	global_load_b128 v[69:72], v[15:16], off offset:16
	s_clause 0x3
	global_load_b128 v[73:76], v[47:48], off offset:16
	global_load_b128 v[77:80], v[47:48], off offset:48
	;; [unrolled: 1-line block ×4, first 2 shown]
	s_clause 0x1
	global_load_b128 v[89:92], v[15:16], off offset:32
	global_load_b128 v[93:96], v[15:16], off offset:48
	v_cvt_f64_f32_e32 v[15:16], v49
	v_cvt_f64_f32_e32 v[49:50], v50
	;; [unrolled: 1-line block ×3, first 2 shown]
	v_add_co_u32 v47, vcc_lo, 0x800, v47
	s_wait_alu 0xfffd
	v_add_co_ci_u32_e64 v48, null, 0, v48, vcc_lo
	v_add_co_u32 v13, vcc_lo, v13, 1
	s_wait_alu 0xfffd
	v_add_co_ci_u32_e64 v14, null, 0, v14, vcc_lo
	;; [unrolled: 3-line block ×3, first 2 shown]
	s_delay_alu instid0(VALU_DEP_3)
	v_cmp_eq_u64_e32 vcc_lo, 0, v[13:14]
	s_wait_alu 0xfffe
	s_or_b32 s10, vcc_lo, s10
	s_wait_loadcnt 0x7
	v_fma_f64 v[33:34], v[15:16], v[65:66], v[33:34]
	v_fma_f64 v[27:28], v[49:50], v[65:66], v[27:28]
	v_fma_f64 v[41:42], v[97:98], v[65:66], v[41:42]
	v_fma_f64 v[31:32], v[53:54], v[65:66], v[31:32]
	v_fma_f64 v[39:40], v[99:100], v[65:66], v[39:40]
	v_fma_f64 v[37:38], v[57:58], v[65:66], v[37:38]
	v_fma_f64 v[29:30], v[101:102], v[65:66], v[29:30]
	v_fma_f64 v[35:36], v[61:62], v[65:66], v[35:36]
	v_cvt_f64_f32_e32 v[65:66], v51
	v_cvt_f64_f32_e32 v[51:52], v52
	v_fma_f64 v[33:34], -v[49:50], v[67:68], v[33:34]
	v_fma_f64 v[15:16], v[15:16], v[67:68], v[27:28]
	v_fma_f64 v[27:28], -v[53:54], v[67:68], v[41:42]
	v_fma_f64 v[31:32], v[97:98], v[67:68], v[31:32]
	;; [unrolled: 2-line block ×4, first 2 shown]
	s_wait_loadcnt 0x5
	v_cvt_f64_f32_e32 v[41:42], v73
	v_cvt_f64_f32_e32 v[49:50], v74
	s_wait_loadcnt 0x4
	v_cvt_f64_f32_e32 v[53:54], v77
	v_cvt_f64_f32_e32 v[57:58], v78
	;; [unrolled: 3-line block ×4, first 2 shown]
	v_fma_f64 v[33:34], v[65:66], v[69:70], v[33:34]
	v_fma_f64 v[15:16], v[51:52], v[69:70], v[15:16]
	;; [unrolled: 1-line block ×8, first 2 shown]
	v_cvt_f64_f32_e32 v[69:70], v85
	v_fma_f64 v[33:34], -v[51:52], v[71:72], v[33:34]
	v_fma_f64 v[15:16], v[65:66], v[71:72], v[15:16]
	v_fma_f64 v[27:28], -v[55:56], v[71:72], v[27:28]
	v_fma_f64 v[31:32], v[103:104], v[71:72], v[31:32]
	;; [unrolled: 2-line block ×4, first 2 shown]
	v_cvt_f64_f32_e32 v[51:52], v75
	v_cvt_f64_f32_e32 v[55:56], v76
	;; [unrolled: 1-line block ×7, first 2 shown]
	s_wait_loadcnt 0x1
	v_fma_f64 v[33:34], v[41:42], v[89:90], v[33:34]
	v_fma_f64 v[15:16], v[49:50], v[89:90], v[15:16]
	;; [unrolled: 1-line block ×8, first 2 shown]
	v_fma_f64 v[33:34], -v[49:50], v[91:92], v[33:34]
	v_fma_f64 v[15:16], v[41:42], v[91:92], v[15:16]
	v_fma_f64 v[27:28], -v[57:58], v[91:92], v[27:28]
	v_fma_f64 v[31:32], v[53:54], v[91:92], v[31:32]
	;; [unrolled: 2-line block ×4, first 2 shown]
	s_wait_loadcnt 0x0
	v_fma_f64 v[33:34], v[51:52], v[93:94], v[33:34]
	v_fma_f64 v[15:16], v[55:56], v[93:94], v[15:16]
	;; [unrolled: 1-line block ×8, first 2 shown]
	v_fma_f64 v[33:34], -v[55:56], v[95:96], v[33:34]
	v_fma_f64 v[27:28], v[51:52], v[95:96], v[15:16]
	v_fma_f64 v[41:42], -v[63:64], v[95:96], v[41:42]
	v_fma_f64 v[31:32], v[59:60], v[95:96], v[31:32]
	;; [unrolled: 2-line block ×4, first 2 shown]
	s_wait_alu 0xfffe
	s_and_not1_b32 exec_lo, exec_lo, s10
	s_cbranch_execnz .LBB177_17
; %bb.18:
	s_or_b32 exec_lo, exec_lo, s10
.LBB177_19:
	s_wait_alu 0xfffe
	s_or_b32 exec_lo, exec_lo, s7
	s_delay_alu instid0(SALU_CYCLE_1)
	s_mov_b32 s7, exec_lo
	v_cmpx_lt_u64_e32 47, v[9:10]
	s_cbranch_execz .LBB177_23
; %bb.20:
	v_lshlrev_b64_e32 v[9:10], 3, v[45:46]
	s_mov_b32 s10, 0
	s_delay_alu instid0(VALU_DEP_1) | instskip(SKIP_1) | instid1(VALU_DEP_2)
	v_add_co_u32 v9, vcc_lo, s8, v9
	s_wait_alu 0xfffd
	v_add_co_ci_u32_e64 v10, null, s9, v10, vcc_lo
	s_delay_alu instid0(VALU_DEP_2) | instskip(SKIP_1) | instid1(VALU_DEP_2)
	v_add_co_u32 v49, vcc_lo, 0x100, v9
	s_wait_alu 0xfffd
	v_add_co_ci_u32_e64 v50, null, 0, v10, vcc_lo
.LBB177_21:                             ; =>This Inner Loop Header: Depth=1
	global_load_b64 v[51:52], v[49:50], off offset:-256
	s_clause 0x3
	global_load_b128 v[13:16], v[47:48], off
	global_load_b128 v[9:12], v[47:48], off offset:32
	global_load_b128 v[53:56], v[47:48], off offset:64
	;; [unrolled: 1-line block ×3, first 2 shown]
	s_clause 0x2
	global_load_b64 v[109:110], v[49:50], off offset:-128
	global_load_b64 v[111:112], v[49:50], off
	global_load_b64 v[113:114], v[49:50], off offset:128
	v_add_co_u32 v49, s3, 0x200, v49
	s_wait_alu 0xf1ff
	v_add_co_ci_u32_e64 v50, null, 0, v50, s3
	s_wait_loadcnt 0x7
	v_sub_co_u32 v51, vcc_lo, v51, v17
	s_wait_alu 0xfffd
	v_sub_co_ci_u32_e64 v52, null, v52, v18, vcc_lo
	s_wait_loadcnt 0x6
	v_cvt_f64_f32_e32 v[115:116], v13
	v_cvt_f64_f32_e32 v[13:14], v14
	s_wait_loadcnt 0x5
	v_cvt_f64_f32_e32 v[117:118], v9
	v_lshlrev_b64_e32 v[51:52], 6, v[51:52]
	v_cvt_f64_f32_e32 v[9:10], v10
	s_wait_loadcnt 0x4
	v_cvt_f64_f32_e32 v[119:120], v53
	s_wait_loadcnt 0x3
	v_cvt_f64_f32_e32 v[121:122], v57
	v_cvt_f64_f32_e32 v[57:58], v58
	v_cvt_f64_f32_e32 v[125:126], v16
	s_wait_kmcnt 0x0
	v_add_co_u32 v51, vcc_lo, s4, v51
	s_wait_alu 0xfffd
	v_add_co_ci_u32_e64 v52, null, s5, v52, vcc_lo
	v_cvt_f64_f32_e32 v[127:128], v11
	v_cvt_f64_f32_e32 v[129:130], v12
	;; [unrolled: 1-line block ×3, first 2 shown]
	s_clause 0x1
	global_load_b128 v[61:64], v[51:52], off
	global_load_b128 v[65:68], v[51:52], off offset:16
	s_clause 0x3
	global_load_b128 v[69:72], v[47:48], off offset:16
	global_load_b128 v[73:76], v[47:48], off offset:48
	;; [unrolled: 1-line block ×4, first 2 shown]
	s_clause 0x1
	global_load_b128 v[85:88], v[51:52], off offset:32
	global_load_b128 v[89:92], v[51:52], off offset:48
	s_clause 0x3
	global_load_b128 v[93:96], v[47:48], off offset:2048
	global_load_b128 v[97:100], v[47:48], off offset:2080
	;; [unrolled: 1-line block ×4, first 2 shown]
	s_wait_loadcnt 0xe
	v_sub_co_u32 v51, vcc_lo, v109, v17
	s_wait_alu 0xfffd
	v_sub_co_ci_u32_e64 v52, null, v110, v18, vcc_lo
	v_cvt_f64_f32_e32 v[109:110], v54
	v_cvt_f64_f32_e32 v[55:56], v56
	;; [unrolled: 1-line block ×3, first 2 shown]
	s_delay_alu instid0(VALU_DEP_4) | instskip(SKIP_1) | instid1(VALU_DEP_2)
	v_lshlrev_b64_e32 v[51:52], 6, v[51:52]
	v_cvt_f64_f32_e32 v[59:60], v60
	v_add_co_u32 v123, vcc_lo, s4, v51
	s_wait_alu 0xfffd
	s_delay_alu instid0(VALU_DEP_3)
	v_add_co_ci_u32_e64 v124, null, s5, v52, vcc_lo
	s_wait_loadcnt 0xd
	v_sub_co_u32 v111, vcc_lo, v111, v17
	s_wait_alu 0xfffd
	v_sub_co_ci_u32_e64 v112, null, v112, v18, vcc_lo
	global_load_b128 v[51:54], v[123:124], off
	s_wait_loadcnt 0xc
	v_fma_f64 v[33:34], v[115:116], v[61:62], v[33:34]
	v_fma_f64 v[27:28], v[13:14], v[61:62], v[27:28]
	;; [unrolled: 1-line block ×8, first 2 shown]
	v_cvt_f64_f32_e32 v[61:62], v15
	s_wait_loadcnt 0x8
	v_cvt_f64_f32_e32 v[135:136], v77
	v_cvt_f64_f32_e32 v[77:78], v78
	s_wait_loadcnt 0x7
	v_cvt_f64_f32_e32 v[137:138], v81
	v_cvt_f64_f32_e32 v[81:82], v82
	v_fma_f64 v[13:14], -v[13:14], v[63:64], v[33:34]
	v_fma_f64 v[15:16], v[115:116], v[63:64], v[27:28]
	v_fma_f64 v[27:28], -v[9:10], v[63:64], v[41:42]
	v_fma_f64 v[31:32], v[117:118], v[63:64], v[31:32]
	;; [unrolled: 2-line block ×4, first 2 shown]
	global_load_b128 v[9:12], v[123:124], off offset:16
	v_cvt_f64_f32_e32 v[119:120], v69
	v_cvt_f64_f32_e32 v[69:70], v70
	v_cvt_f64_f32_e32 v[121:122], v73
	v_cvt_f64_f32_e32 v[73:74], v74
	v_fma_f64 v[39:40], v[61:62], v[65:66], v[13:14]
	v_fma_f64 v[41:42], v[125:126], v[65:66], v[15:16]
	;; [unrolled: 1-line block ×8, first 2 shown]
	s_clause 0x3
	global_load_b128 v[13:16], v[47:48], off offset:2064
	global_load_b128 v[27:30], v[47:48], off offset:2096
	;; [unrolled: 1-line block ×4, first 2 shown]
	v_fma_f64 v[125:126], -v[125:126], v[67:68], v[39:40]
	v_fma_f64 v[61:62], v[61:62], v[67:68], v[41:42]
	v_fma_f64 v[57:58], -v[129:130], v[67:68], v[57:58]
	v_fma_f64 v[63:64], v[127:128], v[67:68], v[63:64]
	;; [unrolled: 2-line block ×4, first 2 shown]
	global_load_b128 v[39:42], v[123:124], off offset:32
	v_cvt_f64_f32_e32 v[115:116], v72
	v_cvt_f64_f32_e32 v[117:118], v75
	;; [unrolled: 1-line block ×5, first 2 shown]
	s_wait_loadcnt 0xa
	v_cvt_f64_f32_e32 v[129:130], v93
	v_cvt_f64_f32_e32 v[93:94], v94
	s_wait_loadcnt 0x9
	v_cvt_f64_f32_e32 v[131:132], v97
	v_cvt_f64_f32_e32 v[97:98], v98
	;; [unrolled: 3-line block ×3, first 2 shown]
	v_fma_f64 v[67:68], v[119:120], v[85:86], v[125:126]
	v_fma_f64 v[61:62], v[69:70], v[85:86], v[61:62]
	;; [unrolled: 1-line block ×8, first 2 shown]
	v_cvt_f64_f32_e32 v[85:86], v71
	v_cvt_f64_f32_e32 v[125:126], v79
	;; [unrolled: 1-line block ×3, first 2 shown]
	v_fma_f64 v[67:68], -v[69:70], v[87:88], v[67:68]
	v_fma_f64 v[61:62], v[119:120], v[87:88], v[61:62]
	v_fma_f64 v[69:70], -v[73:74], v[87:88], v[57:58]
	v_fma_f64 v[63:64], v[121:122], v[87:88], v[63:64]
	;; [unrolled: 2-line block ×4, first 2 shown]
	global_load_b128 v[55:58], v[123:124], off offset:48
	s_wait_loadcnt 0x8
	v_cvt_f64_f32_e32 v[135:136], v105
	v_cvt_f64_f32_e32 v[105:106], v106
	v_fma_f64 v[77:78], v[85:86], v[89:90], v[67:68]
	v_fma_f64 v[81:82], v[115:116], v[89:90], v[61:62]
	;; [unrolled: 1-line block ×8, first 2 shown]
	s_clause 0x3
	global_load_b128 v[59:62], v[47:48], off offset:4096
	global_load_b128 v[63:66], v[47:48], off offset:4128
	;; [unrolled: 1-line block ×4, first 2 shown]
	v_fma_f64 v[115:116], -v[115:116], v[91:92], v[77:78]
	v_fma_f64 v[81:82], v[85:86], v[91:92], v[81:82]
	v_fma_f64 v[85:86], -v[75:76], v[91:92], v[87:88]
	v_fma_f64 v[87:88], v[117:118], v[91:92], v[109:110]
	v_fma_f64 v[79:80], -v[79:80], v[91:92], v[119:120]
	v_fma_f64 v[109:110], v[125:126], v[91:92], v[121:122]
	v_fma_f64 v[83:84], -v[83:84], v[91:92], v[123:124]
	v_fma_f64 v[89:90], v[127:128], v[91:92], v[89:90]
	v_lshlrev_b64_e32 v[75:76], 6, v[111:112]
	v_cvt_f64_f32_e32 v[117:118], v99
	v_cvt_f64_f32_e32 v[99:100], v100
	;; [unrolled: 1-line block ×5, first 2 shown]
	v_add_co_u32 v111, vcc_lo, s4, v75
	s_wait_alu 0xfffd
	v_add_co_ci_u32_e64 v112, null, s5, v76, vcc_lo
	v_cvt_f64_f32_e32 v[107:108], v108
	v_sub_co_u32 v113, vcc_lo, v113, v17
	global_load_b128 v[75:78], v[111:112], off
	s_wait_alu 0xfffd
	v_sub_co_ci_u32_e64 v114, null, v114, v18, vcc_lo
	s_wait_loadcnt 0xc
	v_fma_f64 v[91:92], v[129:130], v[51:52], v[115:116]
	v_fma_f64 v[81:82], v[93:94], v[51:52], v[81:82]
	;; [unrolled: 1-line block ×8, first 2 shown]
	v_cvt_f64_f32_e32 v[115:116], v95
	v_cvt_f64_f32_e32 v[95:96], v96
	v_fma_f64 v[89:90], -v[93:94], v[53:54], v[91:92]
	v_fma_f64 v[81:82], v[129:130], v[53:54], v[81:82]
	v_fma_f64 v[85:86], -v[97:98], v[53:54], v[85:86]
	v_fma_f64 v[87:88], v[131:132], v[53:54], v[87:88]
	;; [unrolled: 2-line block ×4, first 2 shown]
	global_load_b128 v[51:54], v[111:112], off offset:16
	s_wait_loadcnt 0xc
	v_fma_f64 v[97:98], v[115:116], v[9:10], v[89:90]
	v_fma_f64 v[101:102], v[95:96], v[9:10], v[81:82]
	;; [unrolled: 1-line block ×8, first 2 shown]
	s_clause 0x3
	global_load_b128 v[79:82], v[47:48], off offset:4112
	global_load_b128 v[83:86], v[47:48], off offset:4144
	;; [unrolled: 1-line block ×4, first 2 shown]
	s_wait_loadcnt 0xf
	v_cvt_f64_f32_e32 v[129:130], v13
	v_cvt_f64_f32_e32 v[13:14], v14
	s_wait_loadcnt 0xe
	v_cvt_f64_f32_e32 v[131:132], v27
	v_cvt_f64_f32_e32 v[27:28], v28
	;; [unrolled: 3-line block ×4, first 2 shown]
	v_fma_f64 v[95:96], -v[95:96], v[11:12], v[97:98]
	v_fma_f64 v[97:98], v[115:116], v[11:12], v[101:102]
	v_fma_f64 v[99:100], -v[99:100], v[11:12], v[105:106]
	v_fma_f64 v[101:102], v[117:118], v[11:12], v[109:110]
	;; [unrolled: 2-line block ×4, first 2 shown]
	global_load_b128 v[9:12], v[111:112], off offset:32
	v_cvt_f64_f32_e32 v[115:116], v16
	v_cvt_f64_f32_e32 v[117:118], v29
	;; [unrolled: 1-line block ×7, first 2 shown]
	s_wait_loadcnt 0xc
	v_fma_f64 v[95:96], v[129:130], v[39:40], v[95:96]
	v_fma_f64 v[97:98], v[13:14], v[39:40], v[97:98]
	;; [unrolled: 1-line block ×8, first 2 shown]
	v_cvt_f64_f32_e32 v[109:110], v15
	v_fma_f64 v[29:30], -v[13:14], v[41:42], v[95:96]
	v_fma_f64 v[33:34], v[129:130], v[41:42], v[97:98]
	v_fma_f64 v[27:28], -v[27:28], v[41:42], v[99:100]
	v_fma_f64 v[37:38], v[131:132], v[41:42], v[101:102]
	;; [unrolled: 2-line block ×4, first 2 shown]
	global_load_b128 v[13:16], v[111:112], off offset:48
	s_wait_loadcnt 0xc
	v_fma_f64 v[97:98], v[109:110], v[55:56], v[29:30]
	v_fma_f64 v[99:100], v[115:116], v[55:56], v[33:34]
	;; [unrolled: 1-line block ×8, first 2 shown]
	s_clause 0x3
	global_load_b128 v[27:30], v[47:48], off offset:6144
	global_load_b128 v[31:34], v[47:48], off offset:6176
	;; [unrolled: 1-line block ×4, first 2 shown]
	s_wait_loadcnt 0xf
	v_cvt_f64_f32_e32 v[111:112], v59
	v_cvt_f64_f32_e32 v[59:60], v60
	s_wait_loadcnt 0xe
	v_cvt_f64_f32_e32 v[129:130], v63
	v_cvt_f64_f32_e32 v[63:64], v64
	;; [unrolled: 3-line block ×4, first 2 shown]
	v_fma_f64 v[97:98], -v[115:116], v[57:58], v[97:98]
	v_fma_f64 v[99:100], v[109:110], v[57:58], v[99:100]
	v_fma_f64 v[101:102], -v[119:120], v[57:58], v[101:102]
	v_fma_f64 v[103:104], v[117:118], v[57:58], v[103:104]
	v_fma_f64 v[105:106], -v[123:124], v[57:58], v[105:106]
	v_fma_f64 v[95:96], v[121:122], v[57:58], v[95:96]
	v_fma_f64 v[107:108], -v[127:128], v[57:58], v[107:108]
	v_fma_f64 v[109:110], v[125:126], v[57:58], v[55:56]
	v_lshlrev_b64_e32 v[55:56], 6, v[113:114]
	v_cvt_f64_f32_e32 v[115:116], v62
	v_cvt_f64_f32_e32 v[117:118], v65
	;; [unrolled: 1-line block ×5, first 2 shown]
	v_add_co_u32 v113, vcc_lo, s4, v55
	s_wait_alu 0xfffd
	v_add_co_ci_u32_e64 v114, null, s5, v56, vcc_lo
	v_cvt_f64_f32_e32 v[125:126], v73
	v_cvt_f64_f32_e32 v[127:128], v74
	v_add_co_u32 v45, vcc_lo, v45, 64
	global_load_b128 v[55:58], v[113:114], off
	s_wait_alu 0xfffd
	v_add_co_ci_u32_e64 v46, null, 0, v46, vcc_lo
	s_wait_loadcnt 0xc
	v_fma_f64 v[97:98], v[111:112], v[75:76], v[97:98]
	v_fma_f64 v[99:100], v[59:60], v[75:76], v[99:100]
	;; [unrolled: 1-line block ×8, first 2 shown]
	v_cvt_f64_f32_e32 v[109:110], v61
	v_fma_f64 v[65:66], -v[59:60], v[77:78], v[97:98]
	v_fma_f64 v[69:70], v[111:112], v[77:78], v[99:100]
	v_fma_f64 v[63:64], -v[63:64], v[77:78], v[101:102]
	v_fma_f64 v[73:74], v[129:130], v[77:78], v[103:104]
	;; [unrolled: 2-line block ×4, first 2 shown]
	global_load_b128 v[59:62], v[113:114], off offset:16
	s_wait_loadcnt 0xc
	v_fma_f64 v[97:98], v[109:110], v[51:52], v[65:66]
	v_fma_f64 v[99:100], v[115:116], v[51:52], v[69:70]
	;; [unrolled: 1-line block ×8, first 2 shown]
	s_clause 0x3
	global_load_b128 v[63:66], v[47:48], off offset:6160
	global_load_b128 v[67:70], v[47:48], off offset:6192
	;; [unrolled: 1-line block ×4, first 2 shown]
	v_add_co_u32 v47, vcc_lo, 0x2000, v47
	s_wait_alu 0xfffd
	v_add_co_ci_u32_e64 v48, null, 0, v48, vcc_lo
	v_cmp_ge_i64_e32 vcc_lo, v[45:46], v[23:24]
	s_wait_alu 0xfffe
	s_or_b32 s10, vcc_lo, s10
	s_wait_loadcnt 0xf
	v_cvt_f64_f32_e32 v[111:112], v79
	v_cvt_f64_f32_e32 v[79:80], v80
	s_wait_loadcnt 0xe
	v_cvt_f64_f32_e32 v[129:130], v83
	v_cvt_f64_f32_e32 v[83:84], v84
	;; [unrolled: 3-line block ×4, first 2 shown]
	v_fma_f64 v[97:98], -v[115:116], v[53:54], v[97:98]
	v_fma_f64 v[99:100], v[109:110], v[53:54], v[99:100]
	v_fma_f64 v[101:102], -v[119:120], v[53:54], v[101:102]
	v_fma_f64 v[103:104], v[117:118], v[53:54], v[103:104]
	;; [unrolled: 2-line block ×4, first 2 shown]
	global_load_b128 v[51:54], v[113:114], off offset:32
	v_cvt_f64_f32_e32 v[115:116], v85
	v_cvt_f64_f32_e32 v[85:86], v86
	;; [unrolled: 1-line block ×6, first 2 shown]
	s_wait_loadcnt 0xc
	v_fma_f64 v[97:98], v[111:112], v[9:10], v[97:98]
	v_fma_f64 v[99:100], v[79:80], v[9:10], v[99:100]
	;; [unrolled: 1-line block ×8, first 2 shown]
	v_cvt_f64_f32_e32 v[109:110], v81
	v_cvt_f64_f32_e32 v[81:82], v82
	v_fma_f64 v[79:80], -v[79:80], v[11:12], v[97:98]
	v_fma_f64 v[97:98], v[111:112], v[11:12], v[99:100]
	v_fma_f64 v[83:84], -v[83:84], v[11:12], v[101:102]
	v_fma_f64 v[99:100], v[129:130], v[11:12], v[103:104]
	;; [unrolled: 2-line block ×4, first 2 shown]
	global_load_b128 v[9:12], v[113:114], off offset:48
	s_wait_loadcnt 0xc
	v_fma_f64 v[79:80], v[109:110], v[13:14], v[79:80]
	v_fma_f64 v[97:98], v[81:82], v[13:14], v[97:98]
	;; [unrolled: 1-line block ×8, first 2 shown]
	s_wait_loadcnt 0xb
	v_cvt_f64_f32_e32 v[101:102], v27
	v_cvt_f64_f32_e32 v[27:28], v28
	s_wait_loadcnt 0xa
	v_cvt_f64_f32_e32 v[103:104], v31
	v_cvt_f64_f32_e32 v[31:32], v32
	;; [unrolled: 3-line block ×4, first 2 shown]
	v_fma_f64 v[79:80], -v[81:82], v[15:16], v[79:80]
	v_fma_f64 v[81:82], v[109:110], v[15:16], v[97:98]
	v_fma_f64 v[83:84], -v[85:86], v[15:16], v[83:84]
	v_fma_f64 v[85:86], v[115:116], v[15:16], v[99:100]
	;; [unrolled: 2-line block ×4, first 2 shown]
	v_cvt_f64_f32_e32 v[93:94], v37
	v_cvt_f64_f32_e32 v[37:38], v38
	;; [unrolled: 1-line block ×4, first 2 shown]
	s_wait_loadcnt 0x7
	v_fma_f64 v[15:16], v[101:102], v[55:56], v[79:80]
	v_fma_f64 v[79:80], v[27:28], v[55:56], v[81:82]
	v_fma_f64 v[81:82], v[103:104], v[55:56], v[83:84]
	v_fma_f64 v[83:84], v[31:32], v[55:56], v[85:86]
	v_fma_f64 v[85:86], v[105:106], v[55:56], v[87:88]
	v_fma_f64 v[87:88], v[35:36], v[55:56], v[89:90]
	v_fma_f64 v[89:90], v[107:108], v[55:56], v[91:92]
	v_fma_f64 v[13:14], v[39:40], v[55:56], v[13:14]
	v_cvt_f64_f32_e32 v[55:56], v29
	v_cvt_f64_f32_e32 v[29:30], v30
	;; [unrolled: 1-line block ×4, first 2 shown]
	v_fma_f64 v[15:16], -v[27:28], v[57:58], v[15:16]
	v_fma_f64 v[27:28], v[101:102], v[57:58], v[79:80]
	v_fma_f64 v[31:32], -v[31:32], v[57:58], v[81:82]
	v_fma_f64 v[79:80], v[103:104], v[57:58], v[83:84]
	;; [unrolled: 2-line block ×4, first 2 shown]
	s_wait_loadcnt 0x6
	v_fma_f64 v[15:16], v[55:56], v[59:60], v[15:16]
	v_fma_f64 v[27:28], v[29:30], v[59:60], v[27:28]
	;; [unrolled: 1-line block ×8, first 2 shown]
	s_wait_loadcnt 0x5
	v_cvt_f64_f32_e32 v[59:60], v63
	v_cvt_f64_f32_e32 v[63:64], v64
	s_wait_loadcnt 0x4
	v_cvt_f64_f32_e32 v[81:82], v67
	v_cvt_f64_f32_e32 v[67:68], v68
	;; [unrolled: 3-line block ×4, first 2 shown]
	v_fma_f64 v[15:16], -v[29:30], v[61:62], v[15:16]
	v_fma_f64 v[27:28], v[55:56], v[61:62], v[27:28]
	v_fma_f64 v[29:30], -v[33:34], v[61:62], v[31:32]
	v_fma_f64 v[31:32], v[91:92], v[61:62], v[57:58]
	;; [unrolled: 2-line block ×4, first 2 shown]
	v_cvt_f64_f32_e32 v[39:40], v65
	v_cvt_f64_f32_e32 v[41:42], v66
	;; [unrolled: 1-line block ×6, first 2 shown]
	s_wait_loadcnt 0x1
	v_fma_f64 v[15:16], v[59:60], v[51:52], v[15:16]
	v_fma_f64 v[27:28], v[63:64], v[51:52], v[27:28]
	;; [unrolled: 1-line block ×8, first 2 shown]
	v_cvt_f64_f32_e32 v[51:52], v69
	v_cvt_f64_f32_e32 v[69:70], v78
	v_fma_f64 v[15:16], -v[63:64], v[53:54], v[15:16]
	v_fma_f64 v[27:28], v[59:60], v[53:54], v[27:28]
	v_fma_f64 v[29:30], -v[67:68], v[53:54], v[29:30]
	v_fma_f64 v[31:32], v[81:82], v[53:54], v[31:32]
	v_fma_f64 v[33:34], -v[71:72], v[53:54], v[33:34]
	v_fma_f64 v[35:36], v[83:84], v[53:54], v[35:36]
	v_fma_f64 v[37:38], -v[75:76], v[53:54], v[37:38]
	v_fma_f64 v[13:14], v[85:86], v[53:54], v[13:14]
	s_wait_loadcnt 0x0
	v_fma_f64 v[15:16], v[39:40], v[9:10], v[15:16]
	v_fma_f64 v[27:28], v[41:42], v[9:10], v[27:28]
	;; [unrolled: 1-line block ×8, first 2 shown]
	v_fma_f64 v[33:34], -v[41:42], v[11:12], v[15:16]
	v_fma_f64 v[27:28], v[39:40], v[11:12], v[27:28]
	v_fma_f64 v[41:42], -v[55:56], v[11:12], v[29:30]
	v_fma_f64 v[31:32], v[51:52], v[11:12], v[31:32]
	;; [unrolled: 2-line block ×4, first 2 shown]
	s_wait_alu 0xfffe
	s_and_not1_b32 exec_lo, exec_lo, s10
	s_cbranch_execnz .LBB177_21
; %bb.22:
	s_or_b32 exec_lo, exec_lo, s10
.LBB177_23:
	s_wait_alu 0xfffe
	s_or_b32 exec_lo, exec_lo, s7
.LBB177_24:
	s_wait_alu 0xfffe
	s_or_b32 exec_lo, exec_lo, s6
	s_cbranch_execz .LBB177_26
	s_branch .LBB177_37
.LBB177_25:
                                        ; implicit-def: $vgpr27_vgpr28
                                        ; implicit-def: $vgpr33_vgpr34
                                        ; implicit-def: $vgpr31_vgpr32
                                        ; implicit-def: $vgpr41_vgpr42
                                        ; implicit-def: $vgpr37_vgpr38
                                        ; implicit-def: $vgpr39_vgpr40
                                        ; implicit-def: $vgpr35_vgpr36
                                        ; implicit-def: $vgpr29_vgpr30
.LBB177_26:
	v_mov_b32_e32 v27, 0
	v_mov_b32_e32 v31, 0
	;; [unrolled: 1-line block ×3, first 2 shown]
	v_dual_mov_b32 v35, 0 :: v_dual_mov_b32 v28, 0
	v_dual_mov_b32 v33, 0 :: v_dual_mov_b32 v32, 0
	v_dual_mov_b32 v41, 0 :: v_dual_mov_b32 v38, 0
	v_dual_mov_b32 v39, 0 :: v_dual_mov_b32 v36, 0
	v_dual_mov_b32 v29, 0 :: v_dual_mov_b32 v34, 0
	v_mov_b32_e32 v42, 0
	v_mov_b32_e32 v40, 0
	;; [unrolled: 1-line block ×3, first 2 shown]
	s_and_saveexec_b32 s3, s2
	s_cbranch_execz .LBB177_36
; %bb.27:
	v_or_b32_e32 v9, 16, v0
	v_not_b32_e32 v13, v43
	v_sub_co_u32 v14, s2, v17, v0
	v_not_b32_e32 v11, v44
	s_delay_alu instid0(VALU_DEP_4)
	v_sub_co_u32 v9, vcc_lo, v9, v17
	s_wait_alu 0xfffd
	v_sub_co_ci_u32_e64 v10, null, 0, v18, vcc_lo
	s_wait_alu 0xf1ff
	v_subrev_co_ci_u32_e64 v15, null, 0, v18, s2
	v_add_co_u32 v9, vcc_lo, v9, v43
	s_wait_alu 0xfffd
	v_add_co_ci_u32_e64 v10, null, v10, v44, vcc_lo
	v_add_co_u32 v13, s2, v14, v13
	s_wait_alu 0xf1ff
	v_add_co_ci_u32_e64 v11, null, v15, v11, s2
	s_delay_alu instid0(VALU_DEP_3)
	v_cmp_gt_i64_e32 vcc_lo, v[9:10], v[23:24]
	v_dual_mov_b32 v12, 0 :: v_dual_mov_b32 v37, 0
	v_mov_b32_e32 v31, 0
	v_mov_b32_e32 v29, 0
	v_dual_mov_b32 v30, 0 :: v_dual_mov_b32 v35, 0
	s_wait_alu 0xfffd
	v_dual_cndmask_b32 v9, v23, v9 :: v_dual_cndmask_b32 v10, v24, v10
	v_dual_mov_b32 v36, 0 :: v_dual_mov_b32 v39, 0
	v_dual_mov_b32 v38, 0 :: v_dual_mov_b32 v41, 0
	s_delay_alu instid0(VALU_DEP_3)
	v_add_co_u32 v9, vcc_lo, v13, v9
	v_dual_mov_b32 v32, 0 :: v_dual_mov_b32 v33, 0
	v_dual_mov_b32 v27, 0 :: v_dual_mov_b32 v40, 0
	s_wait_alu 0xfffd
	v_add_co_ci_u32_e64 v10, null, v11, v10, vcc_lo
	v_dual_mov_b32 v42, 0 :: v_dual_and_b32 v11, 48, v9
	v_mov_b32_e32 v34, 0
	v_mov_b32_e32 v28, 0
	s_mov_b32 s6, exec_lo
	s_delay_alu instid0(VALU_DEP_3)
	v_cmpx_ne_u64_e32 48, v[11:12]
	s_cbranch_execz .LBB177_31
; %bb.28:
	v_lshrrev_b32_e32 v13, 4, v9
	v_mov_b32_e32 v31, 0
	v_mov_b32_e32 v32, 0
	v_lshlrev_b64_e32 v[11:12], 3, v[19:20]
	v_mov_b32_e32 v37, 0
	v_add_nc_u32_e32 v13, 1, v13
	v_mov_b32_e32 v27, 0
	v_dual_mov_b32 v28, 0 :: v_dual_mov_b32 v33, 0
	v_add_co_u32 v11, vcc_lo, s8, v11
	s_delay_alu instid0(VALU_DEP_4) | instskip(SKIP_3) | instid1(VALU_DEP_4)
	v_dual_mov_b32 v38, 0 :: v_dual_and_b32 v13, 3, v13
	v_mov_b32_e32 v41, 0
	v_mov_b32_e32 v39, 0
	;; [unrolled: 1-line block ×3, first 2 shown]
	v_sub_co_u32 v13, s2, 0, v13
	v_dual_mov_b32 v29, 0 :: v_dual_mov_b32 v34, 0
	s_wait_alu 0xfffd
	v_add_co_ci_u32_e64 v12, null, s9, v12, vcc_lo
	v_mov_b32_e32 v42, 0
	v_mov_b32_e32 v40, 0
	;; [unrolled: 1-line block ×4, first 2 shown]
	s_wait_alu 0xf1ff
	v_sub_co_ci_u32_e64 v14, null, 0, 0, s2
	s_mov_b32 s7, 0
.LBB177_29:                             ; =>This Inner Loop Header: Depth=1
	global_load_b64 v[15:16], v[11:12], off
	s_clause 0x1
	global_load_b128 v[43:46], v[25:26], off
	global_load_b128 v[47:50], v[25:26], off offset:16
	v_add_co_u32 v11, s2, 0x80, v11
	s_wait_alu 0xf1ff
	v_add_co_ci_u32_e64 v12, null, 0, v12, s2
	s_wait_loadcnt 0x2
	v_sub_co_u32 v15, vcc_lo, v15, v17
	s_wait_alu 0xfffd
	v_sub_co_ci_u32_e64 v16, null, v16, v18, vcc_lo
	s_wait_loadcnt 0x1
	v_cvt_f64_f32_e32 v[91:92], v45
	v_cvt_f64_f32_e32 v[45:46], v46
	s_wait_loadcnt 0x0
	v_cvt_f64_f32_e32 v[93:94], v47
	v_lshlrev_b64_e32 v[15:16], 6, v[15:16]
	v_cvt_f64_f32_e32 v[47:48], v48
	v_cvt_f64_f32_e32 v[95:96], v49
	;; [unrolled: 1-line block ×3, first 2 shown]
	s_wait_kmcnt 0x0
	s_delay_alu instid0(VALU_DEP_4)
	v_add_co_u32 v15, vcc_lo, s4, v15
	s_wait_alu 0xfffd
	v_add_co_ci_u32_e64 v16, null, s5, v16, vcc_lo
	s_clause 0x1
	global_load_b128 v[51:54], v[15:16], off
	global_load_b128 v[55:58], v[15:16], off offset:16
	s_clause 0x3
	global_load_b128 v[59:62], v[25:26], off offset:32
	global_load_b128 v[63:66], v[25:26], off offset:48
	;; [unrolled: 1-line block ×4, first 2 shown]
	s_clause 0x1
	global_load_b128 v[75:78], v[15:16], off offset:32
	global_load_b128 v[79:82], v[15:16], off offset:48
	s_clause 0x1
	global_load_b128 v[83:86], v[25:26], off offset:96
	global_load_b128 v[87:90], v[25:26], off offset:112
	v_cvt_f64_f32_e32 v[15:16], v43
	v_cvt_f64_f32_e32 v[43:44], v44
	v_add_co_u32 v25, vcc_lo, 0x800, v25
	s_wait_alu 0xfffd
	v_add_co_ci_u32_e64 v26, null, 0, v26, vcc_lo
	v_add_co_u32 v13, vcc_lo, v13, 1
	s_wait_alu 0xfffd
	v_add_co_ci_u32_e64 v14, null, 0, v14, vcc_lo
	;; [unrolled: 3-line block ×3, first 2 shown]
	s_delay_alu instid0(VALU_DEP_3)
	v_cmp_eq_u64_e32 vcc_lo, 0, v[13:14]
	s_wait_alu 0xfffe
	s_or_b32 s7, vcc_lo, s7
	s_wait_loadcnt 0x9
	v_fma_f64 v[33:34], v[15:16], v[51:52], v[33:34]
	v_fma_f64 v[27:28], v[43:44], v[51:52], v[27:28]
	;; [unrolled: 1-line block ×8, first 2 shown]
	s_wait_loadcnt 0x7
	v_cvt_f64_f32_e32 v[51:52], v59
	v_cvt_f64_f32_e32 v[59:60], v60
	v_cvt_f64_f32_e32 v[97:98], v61
	v_cvt_f64_f32_e32 v[61:62], v62
	s_wait_loadcnt 0x6
	v_cvt_f64_f32_e32 v[99:100], v63
	v_cvt_f64_f32_e32 v[63:64], v64
	;; [unrolled: 1-line block ×4, first 2 shown]
	v_fma_f64 v[33:34], -v[43:44], v[53:54], v[33:34]
	v_fma_f64 v[15:16], v[15:16], v[53:54], v[27:28]
	v_fma_f64 v[27:28], -v[45:46], v[53:54], v[41:42]
	v_fma_f64 v[31:32], v[91:92], v[53:54], v[31:32]
	;; [unrolled: 2-line block ×4, first 2 shown]
	s_wait_loadcnt 0x5
	v_cvt_f64_f32_e32 v[41:42], v67
	v_cvt_f64_f32_e32 v[43:44], v68
	;; [unrolled: 1-line block ×4, first 2 shown]
	s_wait_loadcnt 0x4
	v_cvt_f64_f32_e32 v[49:50], v71
	v_cvt_f64_f32_e32 v[53:54], v72
	;; [unrolled: 1-line block ×3, first 2 shown]
	s_wait_loadcnt 0x0
	v_cvt_f64_f32_e32 v[69:70], v89
	v_cvt_f64_f32_e32 v[71:72], v90
	v_fma_f64 v[33:34], v[51:52], v[55:56], v[33:34]
	v_fma_f64 v[15:16], v[59:60], v[55:56], v[15:16]
	;; [unrolled: 1-line block ×8, first 2 shown]
	v_cvt_f64_f32_e32 v[55:56], v73
	v_fma_f64 v[33:34], -v[59:60], v[57:58], v[33:34]
	v_fma_f64 v[15:16], v[51:52], v[57:58], v[15:16]
	v_fma_f64 v[27:28], -v[61:62], v[57:58], v[27:28]
	v_fma_f64 v[31:32], v[97:98], v[57:58], v[31:32]
	;; [unrolled: 2-line block ×4, first 2 shown]
	v_cvt_f64_f32_e32 v[51:52], v83
	v_cvt_f64_f32_e32 v[57:58], v84
	;; [unrolled: 1-line block ×6, first 2 shown]
	v_fma_f64 v[33:34], v[41:42], v[75:76], v[33:34]
	v_fma_f64 v[15:16], v[43:44], v[75:76], v[15:16]
	v_fma_f64 v[27:28], v[45:46], v[75:76], v[27:28]
	v_fma_f64 v[31:32], v[47:48], v[75:76], v[31:32]
	v_fma_f64 v[39:40], v[49:50], v[75:76], v[39:40]
	v_fma_f64 v[37:38], v[53:54], v[75:76], v[37:38]
	v_fma_f64 v[29:30], v[55:56], v[75:76], v[29:30]
	v_fma_f64 v[35:36], v[67:68], v[75:76], v[35:36]
	v_fma_f64 v[33:34], -v[43:44], v[77:78], v[33:34]
	v_fma_f64 v[15:16], v[41:42], v[77:78], v[15:16]
	v_fma_f64 v[27:28], -v[47:48], v[77:78], v[27:28]
	v_fma_f64 v[31:32], v[45:46], v[77:78], v[31:32]
	;; [unrolled: 2-line block ×4, first 2 shown]
	v_fma_f64 v[33:34], v[51:52], v[79:80], v[33:34]
	v_fma_f64 v[15:16], v[57:58], v[79:80], v[15:16]
	;; [unrolled: 1-line block ×8, first 2 shown]
	v_fma_f64 v[33:34], -v[57:58], v[81:82], v[33:34]
	v_fma_f64 v[27:28], v[51:52], v[81:82], v[15:16]
	v_fma_f64 v[41:42], -v[61:62], v[81:82], v[41:42]
	v_fma_f64 v[31:32], v[59:60], v[81:82], v[31:32]
	;; [unrolled: 2-line block ×4, first 2 shown]
	s_wait_alu 0xfffe
	s_and_not1_b32 exec_lo, exec_lo, s7
	s_cbranch_execnz .LBB177_29
; %bb.30:
	s_or_b32 exec_lo, exec_lo, s7
.LBB177_31:
	s_wait_alu 0xfffe
	s_or_b32 exec_lo, exec_lo, s6
	s_delay_alu instid0(SALU_CYCLE_1)
	s_mov_b32 s6, exec_lo
	v_cmpx_lt_u64_e32 47, v[9:10]
	s_cbranch_execz .LBB177_35
; %bb.32:
	v_lshlrev_b64_e32 v[9:10], 3, v[19:20]
	s_mov_b32 s7, 0
	s_delay_alu instid0(VALU_DEP_1) | instskip(SKIP_1) | instid1(VALU_DEP_2)
	v_add_co_u32 v9, vcc_lo, s8, v9
	s_wait_alu 0xfffd
	v_add_co_ci_u32_e64 v10, null, s9, v10, vcc_lo
	s_delay_alu instid0(VALU_DEP_2) | instskip(SKIP_1) | instid1(VALU_DEP_2)
	v_add_co_u32 v9, vcc_lo, 0x100, v9
	s_wait_alu 0xfffd
	v_add_co_ci_u32_e64 v10, null, 0, v10, vcc_lo
.LBB177_33:                             ; =>This Inner Loop Header: Depth=1
	global_load_b64 v[15:16], v[9:10], off offset:-256
	s_clause 0x1
	global_load_b128 v[11:14], v[25:26], off
	global_load_b128 v[43:46], v[25:26], off offset:16
	s_clause 0x2
	global_load_b64 v[95:96], v[9:10], off offset:-128
	global_load_b64 v[97:98], v[9:10], off
	global_load_b64 v[99:100], v[9:10], off offset:128
	v_add_co_u32 v9, s2, 0x200, v9
	s_wait_alu 0xf1ff
	v_add_co_ci_u32_e64 v10, null, 0, v10, s2
	s_wait_loadcnt 0x5
	v_sub_co_u32 v15, vcc_lo, v15, v17
	s_wait_alu 0xfffd
	v_sub_co_ci_u32_e64 v16, null, v16, v18, vcc_lo
	s_wait_loadcnt 0x4
	v_cvt_f64_f32_e32 v[101:102], v12
	v_cvt_f64_f32_e32 v[103:104], v13
	;; [unrolled: 1-line block ×3, first 2 shown]
	v_lshlrev_b64_e32 v[15:16], 6, v[15:16]
	s_wait_loadcnt 0x3
	v_cvt_f64_f32_e32 v[107:108], v43
	v_cvt_f64_f32_e32 v[43:44], v44
	s_wait_kmcnt 0x0
	s_delay_alu instid0(VALU_DEP_3)
	v_add_co_u32 v15, vcc_lo, s4, v15
	s_wait_alu 0xfffd
	v_add_co_ci_u32_e64 v16, null, s5, v16, vcc_lo
	global_load_b128 v[47:50], v[15:16], off
	s_clause 0x1
	global_load_b128 v[51:54], v[25:26], off offset:32
	global_load_b128 v[55:58], v[25:26], off offset:48
	global_load_b128 v[59:62], v[15:16], off offset:16
	s_clause 0x1
	global_load_b128 v[63:66], v[25:26], off offset:64
	global_load_b128 v[67:70], v[25:26], off offset:80
	global_load_b128 v[71:74], v[15:16], off offset:32
	;; [unrolled: 4-line block ×3, first 2 shown]
	s_clause 0x1
	global_load_b128 v[87:90], v[25:26], off offset:2048
	global_load_b128 v[91:94], v[25:26], off offset:2064
	v_cvt_f64_f32_e32 v[15:16], v11
	s_wait_loadcnt 0xe
	v_sub_co_u32 v11, vcc_lo, v95, v17
	s_wait_alu 0xfffd
	v_sub_co_ci_u32_e64 v12, null, v96, v18, vcc_lo
	v_cvt_f64_f32_e32 v[95:96], v45
	v_cvt_f64_f32_e32 v[45:46], v46
	s_delay_alu instid0(VALU_DEP_3) | instskip(NEXT) | instid1(VALU_DEP_1)
	v_lshlrev_b64_e32 v[11:12], 6, v[11:12]
	v_add_co_u32 v109, vcc_lo, s4, v11
	s_wait_alu 0xfffd
	s_delay_alu instid0(VALU_DEP_2)
	v_add_co_ci_u32_e64 v110, null, s5, v12, vcc_lo
	global_load_b128 v[11:14], v[109:110], off
	s_wait_loadcnt 0xc
	v_fma_f64 v[111:112], v[15:16], v[47:48], v[33:34]
	v_fma_f64 v[113:114], v[101:102], v[47:48], v[27:28]
	;; [unrolled: 1-line block ×8, first 2 shown]
	s_clause 0x1
	global_load_b128 v[27:30], v[25:26], off offset:2080
	global_load_b128 v[31:34], v[25:26], off offset:2096
	s_wait_loadcnt 0xd
	v_cvt_f64_f32_e32 v[47:48], v51
	v_cvt_f64_f32_e32 v[51:52], v52
	;; [unrolled: 1-line block ×4, first 2 shown]
	s_wait_loadcnt 0xc
	v_cvt_f64_f32_e32 v[121:122], v55
	v_cvt_f64_f32_e32 v[55:56], v56
	;; [unrolled: 1-line block ×4, first 2 shown]
	s_wait_loadcnt 0x9
	v_cvt_f64_f32_e32 v[125:126], v69
	v_cvt_f64_f32_e32 v[69:70], v70
	v_fma_f64 v[101:102], -v[101:102], v[49:50], v[111:112]
	v_fma_f64 v[15:16], v[15:16], v[49:50], v[113:114]
	v_fma_f64 v[41:42], -v[105:106], v[49:50], v[41:42]
	v_fma_f64 v[103:104], v[103:104], v[49:50], v[115:116]
	;; [unrolled: 2-line block ×4, first 2 shown]
	global_load_b128 v[35:38], v[109:110], off offset:16
	v_cvt_f64_f32_e32 v[113:114], v63
	v_cvt_f64_f32_e32 v[63:64], v64
	;; [unrolled: 1-line block ×6, first 2 shown]
	v_fma_f64 v[95:96], v[47:48], v[59:60], v[101:102]
	v_fma_f64 v[15:16], v[51:52], v[59:60], v[15:16]
	;; [unrolled: 1-line block ×8, first 2 shown]
	s_clause 0x1
	global_load_b128 v[39:42], v[25:26], off offset:2112
	global_load_b128 v[43:46], v[25:26], off offset:2128
	v_fma_f64 v[59:60], -v[51:52], v[61:62], v[95:96]
	v_fma_f64 v[15:16], v[47:48], v[61:62], v[15:16]
	v_fma_f64 v[95:96], -v[53:54], v[61:62], v[101:102]
	v_fma_f64 v[101:102], v[119:120], v[61:62], v[103:104]
	;; [unrolled: 2-line block ×4, first 2 shown]
	s_clause 0x1
	global_load_b128 v[47:50], v[109:110], off offset:32
	global_load_b128 v[51:54], v[109:110], off offset:48
	s_wait_loadcnt 0xc
	v_cvt_f64_f32_e32 v[111:112], v75
	v_cvt_f64_f32_e32 v[75:76], v76
	;; [unrolled: 1-line block ×4, first 2 shown]
	s_wait_loadcnt 0xb
	v_cvt_f64_f32_e32 v[121:122], v79
	v_cvt_f64_f32_e32 v[79:80], v80
	;; [unrolled: 1-line block ×4, first 2 shown]
	v_fma_f64 v[105:106], v[113:114], v[71:72], v[59:60]
	v_fma_f64 v[15:16], v[63:64], v[71:72], v[15:16]
	;; [unrolled: 1-line block ×8, first 2 shown]
	s_clause 0x1
	global_load_b128 v[55:58], v[25:26], off offset:2144
	global_load_b128 v[59:62], v[25:26], off offset:2160
	v_fma_f64 v[63:64], -v[63:64], v[73:74], v[105:106]
	v_fma_f64 v[15:16], v[113:114], v[73:74], v[15:16]
	v_fma_f64 v[65:66], -v[65:66], v[73:74], v[95:96]
	v_fma_f64 v[95:96], v[115:116], v[73:74], v[101:102]
	v_fma_f64 v[67:68], -v[67:68], v[73:74], v[107:108]
	v_fma_f64 v[101:102], v[117:118], v[73:74], v[103:104]
	v_fma_f64 v[69:70], -v[69:70], v[73:74], v[109:110]
	v_fma_f64 v[71:72], v[125:126], v[73:74], v[71:72]
	s_wait_loadcnt 0xb
	v_cvt_f64_f32_e32 v[109:110], v87
	v_cvt_f64_f32_e32 v[87:88], v88
	;; [unrolled: 1-line block ×4, first 2 shown]
	s_wait_loadcnt 0xa
	v_cvt_f64_f32_e32 v[115:116], v91
	v_cvt_f64_f32_e32 v[91:92], v92
	;; [unrolled: 1-line block ×4, first 2 shown]
	v_fma_f64 v[73:74], v[111:112], v[83:84], v[63:64]
	v_fma_f64 v[15:16], v[75:76], v[83:84], v[15:16]
	;; [unrolled: 1-line block ×8, first 2 shown]
	s_clause 0x1
	global_load_b128 v[63:66], v[25:26], off offset:4096
	global_load_b128 v[67:70], v[25:26], off offset:4112
	v_sub_co_u32 v83, vcc_lo, v97, v17
	s_wait_alu 0xfffd
	v_sub_co_ci_u32_e64 v84, null, v98, v18, vcc_lo
	v_fma_f64 v[125:126], -v[75:76], v[85:86], v[73:74]
	v_fma_f64 v[15:16], v[111:112], v[85:86], v[15:16]
	v_fma_f64 v[103:104], -v[77:78], v[85:86], v[103:104]
	v_fma_f64 v[95:96], v[119:120], v[85:86], v[95:96]
	v_fma_f64 v[79:80], -v[79:80], v[85:86], v[105:106]
	v_fma_f64 v[101:102], v[121:122], v[85:86], v[101:102]
	v_fma_f64 v[81:82], -v[81:82], v[85:86], v[107:108]
	v_fma_f64 v[85:86], v[123:124], v[85:86], v[71:72]
	v_lshlrev_b64_e32 v[71:72], 6, v[83:84]
	s_delay_alu instid0(VALU_DEP_1) | instskip(SKIP_1) | instid1(VALU_DEP_2)
	v_add_co_u32 v97, vcc_lo, s4, v71
	s_wait_alu 0xfffd
	v_add_co_ci_u32_e64 v98, null, s5, v72, vcc_lo
	s_clause 0x1
	global_load_b128 v[71:74], v[97:98], off
	global_load_b128 v[75:78], v[97:98], off offset:16
	s_wait_loadcnt 0xd
	v_fma_f64 v[105:106], v[109:110], v[11:12], v[125:126]
	v_fma_f64 v[15:16], v[87:88], v[11:12], v[15:16]
	;; [unrolled: 1-line block ×8, first 2 shown]
	s_clause 0x1
	global_load_b128 v[79:82], v[25:26], off offset:4128
	global_load_b128 v[83:86], v[25:26], off offset:4144
	s_wait_loadcnt 0xe
	v_cvt_f64_f32_e32 v[119:120], v27
	v_cvt_f64_f32_e32 v[121:122], v28
	;; [unrolled: 1-line block ×4, first 2 shown]
	s_wait_loadcnt 0xd
	v_cvt_f64_f32_e32 v[127:128], v31
	v_cvt_f64_f32_e32 v[31:32], v32
	;; [unrolled: 1-line block ×4, first 2 shown]
	v_fma_f64 v[27:28], -v[87:88], v[13:14], v[105:106]
	v_fma_f64 v[15:16], v[109:110], v[13:14], v[15:16]
	v_fma_f64 v[29:30], -v[89:90], v[13:14], v[103:104]
	v_fma_f64 v[87:88], v[113:114], v[13:14], v[95:96]
	;; [unrolled: 2-line block ×4, first 2 shown]
	s_wait_loadcnt 0xc
	v_fma_f64 v[95:96], v[119:120], v[35:36], v[27:28]
	v_fma_f64 v[15:16], v[121:122], v[35:36], v[15:16]
	;; [unrolled: 1-line block ×8, first 2 shown]
	s_clause 0x1
	global_load_b128 v[11:14], v[25:26], off offset:4160
	global_load_b128 v[27:30], v[25:26], off offset:4176
	s_wait_loadcnt 0xd
	v_cvt_f64_f32_e32 v[103:104], v39
	v_cvt_f64_f32_e32 v[105:106], v40
	;; [unrolled: 1-line block ×4, first 2 shown]
	s_wait_loadcnt 0xc
	v_cvt_f64_f32_e32 v[111:112], v43
	v_cvt_f64_f32_e32 v[43:44], v44
	;; [unrolled: 1-line block ×4, first 2 shown]
	v_fma_f64 v[39:40], -v[121:122], v[37:38], v[95:96]
	v_fma_f64 v[15:16], v[119:120], v[37:38], v[15:16]
	v_fma_f64 v[41:42], -v[125:126], v[37:38], v[101:102]
	v_fma_f64 v[87:88], v[123:124], v[37:38], v[87:88]
	;; [unrolled: 2-line block ×4, first 2 shown]
	global_load_b128 v[31:34], v[97:98], off offset:32
	s_wait_loadcnt 0xc
	v_fma_f64 v[95:96], v[103:104], v[47:48], v[39:40]
	v_fma_f64 v[15:16], v[105:106], v[47:48], v[15:16]
	;; [unrolled: 1-line block ×8, first 2 shown]
	s_clause 0x1
	global_load_b128 v[35:38], v[25:26], off offset:4192
	global_load_b128 v[39:42], v[25:26], off offset:4208
	s_wait_loadcnt 0xc
	v_cvt_f64_f32_e32 v[115:116], v55
	v_cvt_f64_f32_e32 v[117:118], v56
	;; [unrolled: 1-line block ×4, first 2 shown]
	s_wait_loadcnt 0xb
	v_cvt_f64_f32_e32 v[123:124], v59
	v_cvt_f64_f32_e32 v[59:60], v60
	;; [unrolled: 1-line block ×4, first 2 shown]
	v_fma_f64 v[55:56], -v[105:106], v[49:50], v[95:96]
	v_fma_f64 v[15:16], v[103:104], v[49:50], v[15:16]
	v_fma_f64 v[57:58], -v[109:110], v[49:50], v[101:102]
	v_fma_f64 v[87:88], v[107:108], v[49:50], v[87:88]
	;; [unrolled: 2-line block ×4, first 2 shown]
	global_load_b128 v[43:46], v[97:98], off offset:48
	v_fma_f64 v[95:96], v[115:116], v[51:52], v[55:56]
	v_fma_f64 v[15:16], v[117:118], v[51:52], v[15:16]
	;; [unrolled: 1-line block ×8, first 2 shown]
	s_clause 0x1
	global_load_b128 v[47:50], v[25:26], off offset:6144
	global_load_b128 v[55:58], v[25:26], off offset:6160
	s_wait_loadcnt 0xd
	v_cvt_f64_f32_e32 v[101:102], v63
	v_cvt_f64_f32_e32 v[103:104], v64
	v_cvt_f64_f32_e32 v[105:106], v65
	v_cvt_f64_f32_e32 v[107:108], v66
	s_wait_loadcnt 0xc
	v_cvt_f64_f32_e32 v[109:110], v67
	v_cvt_f64_f32_e32 v[67:68], v68
	;; [unrolled: 1-line block ×4, first 2 shown]
	v_sub_co_u32 v63, vcc_lo, v99, v17
	s_wait_alu 0xfffd
	v_sub_co_ci_u32_e64 v64, null, v100, v18, vcc_lo
	v_fma_f64 v[65:66], -v[117:118], v[53:54], v[95:96]
	v_fma_f64 v[15:16], v[115:116], v[53:54], v[15:16]
	v_fma_f64 v[95:96], -v[121:122], v[53:54], v[97:98]
	v_fma_f64 v[87:88], v[119:120], v[53:54], v[87:88]
	;; [unrolled: 2-line block ×4, first 2 shown]
	v_lshlrev_b64_e32 v[51:52], 6, v[63:64]
	s_delay_alu instid0(VALU_DEP_1) | instskip(SKIP_1) | instid1(VALU_DEP_2)
	v_add_co_u32 v93, vcc_lo, s4, v51
	s_wait_alu 0xfffd
	v_add_co_ci_u32_e64 v94, null, s5, v52, vcc_lo
	v_add_co_u32 v19, vcc_lo, v19, 64
	s_wait_alu 0xfffd
	v_add_co_ci_u32_e64 v20, null, 0, v20, vcc_lo
	global_load_b128 v[51:54], v[93:94], off
	s_wait_loadcnt 0xc
	v_fma_f64 v[97:98], v[101:102], v[71:72], v[65:66]
	v_fma_f64 v[15:16], v[103:104], v[71:72], v[15:16]
	;; [unrolled: 1-line block ×8, first 2 shown]
	s_clause 0x1
	global_load_b128 v[59:62], v[25:26], off offset:6176
	global_load_b128 v[63:66], v[25:26], off offset:6192
	s_wait_loadcnt 0xc
	v_cvt_f64_f32_e32 v[91:92], v79
	v_cvt_f64_f32_e32 v[115:116], v80
	;; [unrolled: 1-line block ×4, first 2 shown]
	s_wait_loadcnt 0xb
	v_cvt_f64_f32_e32 v[121:122], v83
	v_cvt_f64_f32_e32 v[83:84], v84
	;; [unrolled: 1-line block ×4, first 2 shown]
	v_fma_f64 v[79:80], -v[103:104], v[73:74], v[97:98]
	v_fma_f64 v[15:16], v[101:102], v[73:74], v[15:16]
	v_fma_f64 v[81:82], -v[107:108], v[73:74], v[95:96]
	v_fma_f64 v[87:88], v[105:106], v[73:74], v[87:88]
	;; [unrolled: 2-line block ×4, first 2 shown]
	global_load_b128 v[67:70], v[93:94], off offset:16
	v_fma_f64 v[99:100], v[91:92], v[75:76], v[79:80]
	v_fma_f64 v[15:16], v[115:116], v[75:76], v[15:16]
	v_fma_f64 v[101:102], v[117:118], v[75:76], v[81:82]
	v_fma_f64 v[87:88], v[119:120], v[75:76], v[87:88]
	v_fma_f64 v[95:96], v[121:122], v[75:76], v[95:96]
	v_fma_f64 v[89:90], v[83:84], v[75:76], v[89:90]
	v_fma_f64 v[97:98], v[123:124], v[75:76], v[97:98]
	v_fma_f64 v[75:76], v[85:86], v[75:76], v[71:72]
	s_clause 0x1
	global_load_b128 v[71:74], v[25:26], off offset:6208
	global_load_b128 v[79:82], v[25:26], off offset:6224
	s_wait_loadcnt 0xd
	v_cvt_f64_f32_e32 v[103:104], v11
	v_cvt_f64_f32_e32 v[105:106], v12
	;; [unrolled: 1-line block ×4, first 2 shown]
	s_wait_loadcnt 0xc
	v_cvt_f64_f32_e32 v[111:112], v27
	v_cvt_f64_f32_e32 v[113:114], v28
	;; [unrolled: 1-line block ×4, first 2 shown]
	global_load_b128 v[11:14], v[93:94], off offset:32
	v_fma_f64 v[27:28], -v[115:116], v[77:78], v[99:100]
	v_fma_f64 v[15:16], v[91:92], v[77:78], v[15:16]
	v_fma_f64 v[29:30], -v[119:120], v[77:78], v[101:102]
	v_fma_f64 v[87:88], v[117:118], v[77:78], v[87:88]
	v_fma_f64 v[83:84], -v[83:84], v[77:78], v[95:96]
	v_fma_f64 v[89:90], v[121:122], v[77:78], v[89:90]
	v_fma_f64 v[85:86], -v[85:86], v[77:78], v[97:98]
	v_fma_f64 v[75:76], v[123:124], v[77:78], v[75:76]
	s_wait_loadcnt 0xc
	v_fma_f64 v[91:92], v[103:104], v[31:32], v[27:28]
	v_fma_f64 v[15:16], v[105:106], v[31:32], v[15:16]
	;; [unrolled: 1-line block ×8, first 2 shown]
	s_clause 0x1
	global_load_b128 v[27:30], v[25:26], off offset:6240
	global_load_b128 v[75:78], v[25:26], off offset:6256
	v_add_co_u32 v25, vcc_lo, 0x2000, v25
	s_wait_alu 0xfffd
	v_add_co_ci_u32_e64 v26, null, 0, v26, vcc_lo
	v_cmp_ge_i64_e32 vcc_lo, v[19:20], v[23:24]
	s_wait_alu 0xfffe
	s_or_b32 s7, vcc_lo, s7
	s_wait_loadcnt 0xd
	v_cvt_f64_f32_e32 v[97:98], v35
	v_cvt_f64_f32_e32 v[99:100], v36
	v_cvt_f64_f32_e32 v[101:102], v37
	v_cvt_f64_f32_e32 v[37:38], v38
	s_wait_loadcnt 0xc
	v_cvt_f64_f32_e32 v[115:116], v39
	v_cvt_f64_f32_e32 v[39:40], v40
	;; [unrolled: 1-line block ×4, first 2 shown]
	v_fma_f64 v[91:92], -v[105:106], v[33:34], v[91:92]
	v_fma_f64 v[15:16], v[103:104], v[33:34], v[15:16]
	v_fma_f64 v[95:96], -v[109:110], v[33:34], v[95:96]
	v_fma_f64 v[87:88], v[107:108], v[33:34], v[87:88]
	v_fma_f64 v[83:84], -v[113:114], v[33:34], v[83:84]
	v_fma_f64 v[89:90], v[111:112], v[33:34], v[89:90]
	v_fma_f64 v[85:86], -v[127:128], v[33:34], v[85:86]
	v_fma_f64 v[31:32], v[125:126], v[33:34], v[31:32]
	global_load_b128 v[33:36], v[93:94], off offset:48
	s_wait_loadcnt 0xc
	v_fma_f64 v[91:92], v[97:98], v[43:44], v[91:92]
	v_fma_f64 v[15:16], v[99:100], v[43:44], v[15:16]
	v_fma_f64 v[93:94], v[101:102], v[43:44], v[95:96]
	v_fma_f64 v[87:88], v[37:38], v[43:44], v[87:88]
	v_fma_f64 v[83:84], v[115:116], v[43:44], v[83:84]
	v_fma_f64 v[89:90], v[39:40], v[43:44], v[89:90]
	v_fma_f64 v[85:86], v[117:118], v[43:44], v[85:86]
	v_fma_f64 v[31:32], v[41:42], v[43:44], v[31:32]
	s_wait_loadcnt 0xb
	v_cvt_f64_f32_e32 v[43:44], v47
	v_cvt_f64_f32_e32 v[47:48], v48
	v_cvt_f64_f32_e32 v[95:96], v49
	v_cvt_f64_f32_e32 v[49:50], v50
	s_wait_loadcnt 0xa
	v_cvt_f64_f32_e32 v[103:104], v55
	v_cvt_f64_f32_e32 v[55:56], v56
	v_cvt_f64_f32_e32 v[105:106], v57
	v_cvt_f64_f32_e32 v[57:58], v58
	v_fma_f64 v[91:92], -v[99:100], v[45:46], v[91:92]
	v_fma_f64 v[15:16], v[97:98], v[45:46], v[15:16]
	v_fma_f64 v[37:38], -v[37:38], v[45:46], v[93:94]
	v_fma_f64 v[87:88], v[101:102], v[45:46], v[87:88]
	v_fma_f64 v[39:40], -v[39:40], v[45:46], v[83:84]
	v_fma_f64 v[83:84], v[115:116], v[45:46], v[89:90]
	v_fma_f64 v[41:42], -v[41:42], v[45:46], v[85:86]
	v_fma_f64 v[31:32], v[117:118], v[45:46], v[31:32]
	s_wait_loadcnt 0x9
	v_fma_f64 v[45:46], v[43:44], v[51:52], v[91:92]
	v_fma_f64 v[15:16], v[47:48], v[51:52], v[15:16]
	v_fma_f64 v[37:38], v[95:96], v[51:52], v[37:38]
	v_fma_f64 v[85:86], v[49:50], v[51:52], v[87:88]
	v_fma_f64 v[39:40], v[103:104], v[51:52], v[39:40]
	v_fma_f64 v[83:84], v[55:56], v[51:52], v[83:84]
	v_fma_f64 v[41:42], v[105:106], v[51:52], v[41:42]
	v_fma_f64 v[31:32], v[57:58], v[51:52], v[31:32]
	s_wait_loadcnt 0x8
	v_cvt_f64_f32_e32 v[51:52], v59
	v_cvt_f64_f32_e32 v[59:60], v60
	v_cvt_f64_f32_e32 v[87:88], v61
	v_cvt_f64_f32_e32 v[61:62], v62
	s_wait_loadcnt 0x7
	v_cvt_f64_f32_e32 v[89:90], v63
	v_cvt_f64_f32_e32 v[63:64], v64
	v_cvt_f64_f32_e32 v[91:92], v65
	v_cvt_f64_f32_e32 v[65:66], v66
	v_fma_f64 v[45:46], -v[47:48], v[53:54], v[45:46]
	v_fma_f64 v[15:16], v[43:44], v[53:54], v[15:16]
	v_fma_f64 v[37:38], -v[49:50], v[53:54], v[37:38]
	v_fma_f64 v[43:44], v[95:96], v[53:54], v[85:86]
	v_fma_f64 v[39:40], -v[55:56], v[53:54], v[39:40]
	v_fma_f64 v[47:48], v[103:104], v[53:54], v[83:84]
	v_fma_f64 v[41:42], -v[57:58], v[53:54], v[41:42]
	v_fma_f64 v[31:32], v[105:106], v[53:54], v[31:32]
	;; [unrolled: 27-line block ×4, first 2 shown]
	s_wait_loadcnt 0x0
	v_fma_f64 v[13:14], v[31:32], v[33:34], v[45:46]
	v_fma_f64 v[15:16], v[27:28], v[33:34], v[15:16]
	;; [unrolled: 1-line block ×8, first 2 shown]
	v_fma_f64 v[33:34], -v[27:28], v[35:36], v[13:14]
	v_fma_f64 v[27:28], v[31:32], v[35:36], v[15:16]
	v_fma_f64 v[41:42], -v[29:30], v[35:36], v[37:38]
	v_fma_f64 v[31:32], v[51:52], v[35:36], v[43:44]
	;; [unrolled: 2-line block ×4, first 2 shown]
	s_wait_alu 0xfffe
	s_and_not1_b32 exec_lo, exec_lo, s7
	s_cbranch_execnz .LBB177_33
; %bb.34:
	s_or_b32 exec_lo, exec_lo, s7
.LBB177_35:
	s_wait_alu 0xfffe
	s_or_b32 exec_lo, exec_lo, s6
.LBB177_36:
	s_wait_alu 0xfffe
	s_or_b32 exec_lo, exec_lo, s3
.LBB177_37:
	v_mbcnt_lo_u32_b32 v43, -1, 0
	s_delay_alu instid0(VALU_DEP_1) | instskip(NEXT) | instid1(VALU_DEP_1)
	v_xor_b32_e32 v9, 8, v43
	v_cmp_gt_i32_e32 vcc_lo, 32, v9
	s_wait_alu 0xfffd
	v_cndmask_b32_e32 v9, v43, v9, vcc_lo
	s_delay_alu instid0(VALU_DEP_1)
	v_lshlrev_b32_e32 v26, 2, v9
	ds_bpermute_b32 v11, v26, v27
	ds_bpermute_b32 v12, v26, v28
	s_wait_dscnt 0x0
	v_add_f64_e32 v[11:12], v[27:28], v[11:12]
	v_xor_b32_e32 v27, 4, v43
	s_delay_alu instid0(VALU_DEP_1)
	v_cmp_gt_i32_e32 vcc_lo, 32, v27
	s_wait_alu 0xfffd
	v_cndmask_b32_e32 v27, v43, v27, vcc_lo
	ds_bpermute_b32 v9, v26, v33
	ds_bpermute_b32 v10, v26, v34
	;; [unrolled: 1-line block ×14, first 2 shown]
	s_wait_dscnt 0xc
	v_add_f64_e32 v[9:10], v[33:34], v[9:10]
	s_wait_dscnt 0xa
	v_add_f64_e32 v[15:16], v[31:32], v[15:16]
	;; [unrolled: 2-line block ×4, first 2 shown]
	v_lshlrev_b32_e32 v42, 2, v27
	s_wait_dscnt 0x4
	v_add_f64_e32 v[17:18], v[39:40], v[17:18]
	s_wait_dscnt 0x2
	v_add_f64_e32 v[19:20], v[37:38], v[19:20]
	;; [unrolled: 2-line block ×3, first 2 shown]
	ds_bpermute_b32 v29, v42, v11
	ds_bpermute_b32 v30, v42, v12
	s_wait_dscnt 0x0
	v_add_f64_e32 v[11:12], v[11:12], v[29:30]
	ds_bpermute_b32 v27, v42, v9
	ds_bpermute_b32 v28, v42, v10
	;; [unrolled: 1-line block ×14, first 2 shown]
	s_wait_dscnt 0xc
	v_add_f64_e32 v[9:10], v[9:10], v[27:28]
	s_wait_dscnt 0xa
	v_add_f64_e32 v[15:16], v[15:16], v[33:34]
	;; [unrolled: 2-line block ×7, first 2 shown]
	v_xor_b32_e32 v25, 2, v43
	s_delay_alu instid0(VALU_DEP_1) | instskip(SKIP_2) | instid1(VALU_DEP_1)
	v_cmp_gt_i32_e32 vcc_lo, 32, v25
	s_wait_alu 0xfffd
	v_cndmask_b32_e32 v25, v43, v25, vcc_lo
	v_lshlrev_b32_e32 v42, 2, v25
	ds_bpermute_b32 v25, v42, v9
	ds_bpermute_b32 v26, v42, v10
	;; [unrolled: 1-line block ×6, first 2 shown]
	s_wait_dscnt 0x4
	v_add_f64_e32 v[9:10], v[9:10], v[25:26]
	s_wait_dscnt 0x2
	v_add_f64_e32 v[25:26], v[15:16], v[33:34]
	;; [unrolled: 2-line block ×3, first 2 shown]
	v_xor_b32_e32 v23, 1, v43
	s_delay_alu instid0(VALU_DEP_1)
	v_cmp_gt_i32_e32 vcc_lo, 32, v23
	s_wait_alu 0xfffd
	v_cndmask_b32_e32 v23, v43, v23, vcc_lo
	ds_bpermute_b32 v29, v42, v11
	ds_bpermute_b32 v30, v42, v12
	;; [unrolled: 1-line block ×10, first 2 shown]
	v_cmp_eq_u32_e32 vcc_lo, 15, v0
	s_wait_dscnt 0x8
	v_add_f64_e32 v[29:30], v[11:12], v[29:30]
	s_wait_dscnt 0x6
	v_add_f64_e32 v[11:12], v[13:14], v[31:32]
	;; [unrolled: 2-line block ×3, first 2 shown]
	v_lshlrev_b32_e32 v36, 2, v23
	s_wait_dscnt 0x2
	v_add_f64_e32 v[19:20], v[19:20], v[37:38]
	s_wait_dscnt 0x0
	v_add_f64_e32 v[17:18], v[27:28], v[41:42]
	ds_bpermute_b32 v23, v36, v9
	ds_bpermute_b32 v24, v36, v10
	;; [unrolled: 1-line block ×16, first 2 shown]
	s_and_b32 exec_lo, exec_lo, vcc_lo
	s_cbranch_execz .LBB177_8
; %bb.38:
	s_wait_dscnt 0x8
	v_add_f64_e32 v[29:30], v[29:30], v[41:42]
	v_add_f64_e32 v[25:26], v[25:26], v[39:40]
	s_wait_dscnt 0x2
	v_add_f64_e32 v[19:20], v[19:20], v[37:38]
	s_wait_dscnt 0x0
	v_add_f64_e32 v[17:18], v[17:18], v[35:36]
	v_add_f64_e32 v[9:10], v[9:10], v[23:24]
	;; [unrolled: 1-line block ×5, first 2 shown]
	v_cmp_eq_f64_e32 vcc_lo, 0, v[1:2]
	v_cmp_eq_f64_e64 s2, 0, v[3:4]
	s_load_b64 s[0:1], s[0:1], 0x68
	v_lshlrev_b64_e32 v[21:22], 6, v[21:22]
	v_mul_f64_e64 v[13:14], v[29:30], -v[7:8]
	v_mul_f64_e32 v[15:16], v[5:6], v[29:30]
	v_mul_f64_e64 v[29:30], v[25:26], -v[7:8]
	v_mul_f64_e32 v[25:26], v[5:6], v[25:26]
	;; [unrolled: 2-line block ×4, first 2 shown]
	s_and_b32 s2, vcc_lo, s2
	v_fma_f64 v[17:18], v[5:6], v[9:10], v[13:14]
	v_fma_f64 v[19:20], v[7:8], v[9:10], v[15:16]
	;; [unrolled: 1-line block ×8, first 2 shown]
	s_wait_alu 0xfffe
	s_and_saveexec_b32 s3, s2
	s_wait_alu 0xfffe
	s_xor_b32 s2, exec_lo, s3
	s_cbranch_execz .LBB177_40
; %bb.39:
	s_wait_kmcnt 0x0
	v_add_co_u32 v0, vcc_lo, s0, v21
	s_wait_alu 0xfffd
	v_add_co_ci_u32_e64 v1, null, s1, v22, vcc_lo
                                        ; implicit-def: $vgpr21_vgpr22
	s_clause 0x3
	global_store_b128 v[0:1], v[17:20], off
	global_store_b128 v[0:1], v[13:16], off offset:16
	global_store_b128 v[0:1], v[9:12], off offset:32
	;; [unrolled: 1-line block ×3, first 2 shown]
                                        ; implicit-def: $vgpr3_vgpr4
                                        ; implicit-def: $vgpr17_vgpr18
                                        ; implicit-def: $vgpr13_vgpr14
                                        ; implicit-def: $vgpr9_vgpr10
                                        ; implicit-def: $vgpr5_vgpr6
.LBB177_40:
	s_wait_alu 0xfffe
	s_and_not1_saveexec_b32 s2, s2
	s_cbranch_execz .LBB177_8
; %bb.41:
	s_wait_kmcnt 0x0
	v_add_co_u32 v37, vcc_lo, s0, v21
	s_wait_alu 0xfffd
	v_add_co_ci_u32_e64 v38, null, s1, v22, vcc_lo
	s_clause 0x3
	global_load_b128 v[21:24], v[37:38], off
	global_load_b128 v[25:28], v[37:38], off offset:16
	global_load_b128 v[29:32], v[37:38], off offset:32
	;; [unrolled: 1-line block ×3, first 2 shown]
	s_wait_loadcnt 0x3
	v_fma_f64 v[17:18], v[1:2], v[21:22], v[17:18]
	v_fma_f64 v[19:20], v[3:4], v[21:22], v[19:20]
	s_wait_loadcnt 0x2
	v_fma_f64 v[13:14], v[1:2], v[25:26], v[13:14]
	v_fma_f64 v[15:16], v[3:4], v[25:26], v[15:16]
	;; [unrolled: 3-line block ×4, first 2 shown]
	v_fma_f64 v[5:6], -v[3:4], v[23:24], v[17:18]
	v_fma_f64 v[7:8], v[1:2], v[23:24], v[19:20]
	v_fma_f64 v[9:10], -v[3:4], v[27:28], v[13:14]
	v_fma_f64 v[11:12], v[1:2], v[27:28], v[15:16]
	v_fma_f64 v[13:14], -v[3:4], v[31:32], v[21:22]
	v_fma_f64 v[15:16], v[1:2], v[31:32], v[25:26]
	v_fma_f64 v[17:18], -v[3:4], v[35:36], v[29:30]
	v_fma_f64 v[19:20], v[1:2], v[35:36], v[33:34]
	s_clause 0x3
	global_store_b128 v[37:38], v[5:8], off
	global_store_b128 v[37:38], v[9:12], off offset:16
	global_store_b128 v[37:38], v[13:16], off offset:32
	global_store_b128 v[37:38], v[17:20], off offset:48
	s_nop 0
	s_sendmsg sendmsg(MSG_DEALLOC_VGPRS)
	s_endpgm
	.section	.rodata,"a",@progbits
	.p2align	6, 0x0
	.amdhsa_kernel _ZN9rocsparseL18bsrxmvn_4x4_kernelILj128ELj16E21rocsparse_complex_numIdEllS1_IfES2_S2_EEvT3_20rocsparse_direction_NS_24const_host_device_scalarIT1_EES4_PKS4_PKT2_SD_SA_PKT4_PKT5_S8_PT6_21rocsparse_index_base_b
		.amdhsa_group_segment_fixed_size 0
		.amdhsa_private_segment_fixed_size 0
		.amdhsa_kernarg_size 120
		.amdhsa_user_sgpr_count 2
		.amdhsa_user_sgpr_dispatch_ptr 0
		.amdhsa_user_sgpr_queue_ptr 0
		.amdhsa_user_sgpr_kernarg_segment_ptr 1
		.amdhsa_user_sgpr_dispatch_id 0
		.amdhsa_user_sgpr_private_segment_size 0
		.amdhsa_wavefront_size32 1
		.amdhsa_uses_dynamic_stack 0
		.amdhsa_enable_private_segment 0
		.amdhsa_system_sgpr_workgroup_id_x 1
		.amdhsa_system_sgpr_workgroup_id_y 0
		.amdhsa_system_sgpr_workgroup_id_z 0
		.amdhsa_system_sgpr_workgroup_info 0
		.amdhsa_system_vgpr_workitem_id 0
		.amdhsa_next_free_vgpr 139
		.amdhsa_next_free_sgpr 12
		.amdhsa_reserve_vcc 1
		.amdhsa_float_round_mode_32 0
		.amdhsa_float_round_mode_16_64 0
		.amdhsa_float_denorm_mode_32 3
		.amdhsa_float_denorm_mode_16_64 3
		.amdhsa_fp16_overflow 0
		.amdhsa_workgroup_processor_mode 1
		.amdhsa_memory_ordered 1
		.amdhsa_forward_progress 1
		.amdhsa_inst_pref_size 100
		.amdhsa_round_robin_scheduling 0
		.amdhsa_exception_fp_ieee_invalid_op 0
		.amdhsa_exception_fp_denorm_src 0
		.amdhsa_exception_fp_ieee_div_zero 0
		.amdhsa_exception_fp_ieee_overflow 0
		.amdhsa_exception_fp_ieee_underflow 0
		.amdhsa_exception_fp_ieee_inexact 0
		.amdhsa_exception_int_div_zero 0
	.end_amdhsa_kernel
	.section	.text._ZN9rocsparseL18bsrxmvn_4x4_kernelILj128ELj16E21rocsparse_complex_numIdEllS1_IfES2_S2_EEvT3_20rocsparse_direction_NS_24const_host_device_scalarIT1_EES4_PKS4_PKT2_SD_SA_PKT4_PKT5_S8_PT6_21rocsparse_index_base_b,"axG",@progbits,_ZN9rocsparseL18bsrxmvn_4x4_kernelILj128ELj16E21rocsparse_complex_numIdEllS1_IfES2_S2_EEvT3_20rocsparse_direction_NS_24const_host_device_scalarIT1_EES4_PKS4_PKT2_SD_SA_PKT4_PKT5_S8_PT6_21rocsparse_index_base_b,comdat
.Lfunc_end177:
	.size	_ZN9rocsparseL18bsrxmvn_4x4_kernelILj128ELj16E21rocsparse_complex_numIdEllS1_IfES2_S2_EEvT3_20rocsparse_direction_NS_24const_host_device_scalarIT1_EES4_PKS4_PKT2_SD_SA_PKT4_PKT5_S8_PT6_21rocsparse_index_base_b, .Lfunc_end177-_ZN9rocsparseL18bsrxmvn_4x4_kernelILj128ELj16E21rocsparse_complex_numIdEllS1_IfES2_S2_EEvT3_20rocsparse_direction_NS_24const_host_device_scalarIT1_EES4_PKS4_PKT2_SD_SA_PKT4_PKT5_S8_PT6_21rocsparse_index_base_b
                                        ; -- End function
	.set _ZN9rocsparseL18bsrxmvn_4x4_kernelILj128ELj16E21rocsparse_complex_numIdEllS1_IfES2_S2_EEvT3_20rocsparse_direction_NS_24const_host_device_scalarIT1_EES4_PKS4_PKT2_SD_SA_PKT4_PKT5_S8_PT6_21rocsparse_index_base_b.num_vgpr, 139
	.set _ZN9rocsparseL18bsrxmvn_4x4_kernelILj128ELj16E21rocsparse_complex_numIdEllS1_IfES2_S2_EEvT3_20rocsparse_direction_NS_24const_host_device_scalarIT1_EES4_PKS4_PKT2_SD_SA_PKT4_PKT5_S8_PT6_21rocsparse_index_base_b.num_agpr, 0
	.set _ZN9rocsparseL18bsrxmvn_4x4_kernelILj128ELj16E21rocsparse_complex_numIdEllS1_IfES2_S2_EEvT3_20rocsparse_direction_NS_24const_host_device_scalarIT1_EES4_PKS4_PKT2_SD_SA_PKT4_PKT5_S8_PT6_21rocsparse_index_base_b.numbered_sgpr, 12
	.set _ZN9rocsparseL18bsrxmvn_4x4_kernelILj128ELj16E21rocsparse_complex_numIdEllS1_IfES2_S2_EEvT3_20rocsparse_direction_NS_24const_host_device_scalarIT1_EES4_PKS4_PKT2_SD_SA_PKT4_PKT5_S8_PT6_21rocsparse_index_base_b.num_named_barrier, 0
	.set _ZN9rocsparseL18bsrxmvn_4x4_kernelILj128ELj16E21rocsparse_complex_numIdEllS1_IfES2_S2_EEvT3_20rocsparse_direction_NS_24const_host_device_scalarIT1_EES4_PKS4_PKT2_SD_SA_PKT4_PKT5_S8_PT6_21rocsparse_index_base_b.private_seg_size, 0
	.set _ZN9rocsparseL18bsrxmvn_4x4_kernelILj128ELj16E21rocsparse_complex_numIdEllS1_IfES2_S2_EEvT3_20rocsparse_direction_NS_24const_host_device_scalarIT1_EES4_PKS4_PKT2_SD_SA_PKT4_PKT5_S8_PT6_21rocsparse_index_base_b.uses_vcc, 1
	.set _ZN9rocsparseL18bsrxmvn_4x4_kernelILj128ELj16E21rocsparse_complex_numIdEllS1_IfES2_S2_EEvT3_20rocsparse_direction_NS_24const_host_device_scalarIT1_EES4_PKS4_PKT2_SD_SA_PKT4_PKT5_S8_PT6_21rocsparse_index_base_b.uses_flat_scratch, 0
	.set _ZN9rocsparseL18bsrxmvn_4x4_kernelILj128ELj16E21rocsparse_complex_numIdEllS1_IfES2_S2_EEvT3_20rocsparse_direction_NS_24const_host_device_scalarIT1_EES4_PKS4_PKT2_SD_SA_PKT4_PKT5_S8_PT6_21rocsparse_index_base_b.has_dyn_sized_stack, 0
	.set _ZN9rocsparseL18bsrxmvn_4x4_kernelILj128ELj16E21rocsparse_complex_numIdEllS1_IfES2_S2_EEvT3_20rocsparse_direction_NS_24const_host_device_scalarIT1_EES4_PKS4_PKT2_SD_SA_PKT4_PKT5_S8_PT6_21rocsparse_index_base_b.has_recursion, 0
	.set _ZN9rocsparseL18bsrxmvn_4x4_kernelILj128ELj16E21rocsparse_complex_numIdEllS1_IfES2_S2_EEvT3_20rocsparse_direction_NS_24const_host_device_scalarIT1_EES4_PKS4_PKT2_SD_SA_PKT4_PKT5_S8_PT6_21rocsparse_index_base_b.has_indirect_call, 0
	.section	.AMDGPU.csdata,"",@progbits
; Kernel info:
; codeLenInByte = 12696
; TotalNumSgprs: 14
; NumVgprs: 139
; ScratchSize: 0
; MemoryBound: 0
; FloatMode: 240
; IeeeMode: 1
; LDSByteSize: 0 bytes/workgroup (compile time only)
; SGPRBlocks: 0
; VGPRBlocks: 17
; NumSGPRsForWavesPerEU: 14
; NumVGPRsForWavesPerEU: 139
; Occupancy: 10
; WaveLimiterHint : 1
; COMPUTE_PGM_RSRC2:SCRATCH_EN: 0
; COMPUTE_PGM_RSRC2:USER_SGPR: 2
; COMPUTE_PGM_RSRC2:TRAP_HANDLER: 0
; COMPUTE_PGM_RSRC2:TGID_X_EN: 1
; COMPUTE_PGM_RSRC2:TGID_Y_EN: 0
; COMPUTE_PGM_RSRC2:TGID_Z_EN: 0
; COMPUTE_PGM_RSRC2:TIDIG_COMP_CNT: 0
	.section	.text._ZN9rocsparseL18bsrxmvn_4x4_kernelILj128ELj32E21rocsparse_complex_numIdEllS1_IfES2_S2_EEvT3_20rocsparse_direction_NS_24const_host_device_scalarIT1_EES4_PKS4_PKT2_SD_SA_PKT4_PKT5_S8_PT6_21rocsparse_index_base_b,"axG",@progbits,_ZN9rocsparseL18bsrxmvn_4x4_kernelILj128ELj32E21rocsparse_complex_numIdEllS1_IfES2_S2_EEvT3_20rocsparse_direction_NS_24const_host_device_scalarIT1_EES4_PKS4_PKT2_SD_SA_PKT4_PKT5_S8_PT6_21rocsparse_index_base_b,comdat
	.globl	_ZN9rocsparseL18bsrxmvn_4x4_kernelILj128ELj32E21rocsparse_complex_numIdEllS1_IfES2_S2_EEvT3_20rocsparse_direction_NS_24const_host_device_scalarIT1_EES4_PKS4_PKT2_SD_SA_PKT4_PKT5_S8_PT6_21rocsparse_index_base_b ; -- Begin function _ZN9rocsparseL18bsrxmvn_4x4_kernelILj128ELj32E21rocsparse_complex_numIdEllS1_IfES2_S2_EEvT3_20rocsparse_direction_NS_24const_host_device_scalarIT1_EES4_PKS4_PKT2_SD_SA_PKT4_PKT5_S8_PT6_21rocsparse_index_base_b
	.p2align	8
	.type	_ZN9rocsparseL18bsrxmvn_4x4_kernelILj128ELj32E21rocsparse_complex_numIdEllS1_IfES2_S2_EEvT3_20rocsparse_direction_NS_24const_host_device_scalarIT1_EES4_PKS4_PKT2_SD_SA_PKT4_PKT5_S8_PT6_21rocsparse_index_base_b,@function
_ZN9rocsparseL18bsrxmvn_4x4_kernelILj128ELj32E21rocsparse_complex_numIdEllS1_IfES2_S2_EEvT3_20rocsparse_direction_NS_24const_host_device_scalarIT1_EES4_PKS4_PKT2_SD_SA_PKT4_PKT5_S8_PT6_21rocsparse_index_base_b: ; @_ZN9rocsparseL18bsrxmvn_4x4_kernelILj128ELj32E21rocsparse_complex_numIdEllS1_IfES2_S2_EEvT3_20rocsparse_direction_NS_24const_host_device_scalarIT1_EES4_PKS4_PKT2_SD_SA_PKT4_PKT5_S8_PT6_21rocsparse_index_base_b
; %bb.0:
	s_clause 0x1
	s_load_b64 s[4:5], s[0:1], 0x70
	s_load_b64 s[2:3], s[0:1], 0x10
	s_add_nc_u64 s[6:7], s[0:1], 16
	s_load_b64 s[8:9], s[0:1], 0x58
	s_wait_kmcnt 0x0
	s_bitcmp1_b32 s5, 0
	s_cselect_b32 s2, s6, s2
	s_cselect_b32 s3, s7, s3
	s_delay_alu instid0(SALU_CYCLE_1)
	v_dual_mov_b32 v1, s2 :: v_dual_mov_b32 v2, s3
	s_add_nc_u64 s[2:3], s[0:1], 0x58
	s_wait_alu 0xfffe
	s_cselect_b32 s2, s2, s8
	s_cselect_b32 s3, s3, s9
	flat_load_b128 v[5:8], v[1:2]
	s_wait_alu 0xfffe
	v_dual_mov_b32 v1, s2 :: v_dual_mov_b32 v2, s3
	flat_load_b128 v[1:4], v[1:2]
	s_wait_loadcnt_dscnt 0x101
	v_cmp_eq_f64_e32 vcc_lo, 0, v[5:6]
	v_cmp_eq_f64_e64 s2, 0, v[7:8]
	s_and_b32 s5, vcc_lo, s2
	s_mov_b32 s2, -1
	s_and_saveexec_b32 s3, s5
	s_cbranch_execz .LBB178_2
; %bb.1:
	s_wait_loadcnt_dscnt 0x0
	v_cmp_neq_f64_e32 vcc_lo, 1.0, v[1:2]
	v_cmp_neq_f64_e64 s2, 0, v[3:4]
	s_wait_alu 0xfffe
	s_or_b32 s2, vcc_lo, s2
	s_wait_alu 0xfffe
	s_or_not1_b32 s2, s2, exec_lo
.LBB178_2:
	s_wait_alu 0xfffe
	s_or_b32 exec_lo, exec_lo, s3
	s_and_saveexec_b32 s3, s2
	s_cbranch_execz .LBB178_8
; %bb.3:
	s_load_b64 s[2:3], s[0:1], 0x28
	v_lshrrev_b32_e32 v9, 5, v0
	v_mov_b32_e32 v10, 0
	s_delay_alu instid0(VALU_DEP_2)
	v_lshl_or_b32 v9, ttmp9, 2, v9
	s_wait_kmcnt 0x0
	s_cmp_lg_u64 s[2:3], 0
	s_cbranch_scc0 .LBB178_9
; %bb.4:
	s_load_b64 s[6:7], s[0:1], 0x20
                                        ; implicit-def: $vgpr21_vgpr22
                                        ; implicit-def: $vgpr17_vgpr18
	s_wait_kmcnt 0x0
	v_cmp_gt_i64_e32 vcc_lo, s[6:7], v[9:10]
	s_mov_b32 s7, 0
	s_mov_b32 s6, 0
	s_and_saveexec_b32 s5, vcc_lo
	s_delay_alu instid0(SALU_CYCLE_1)
	s_xor_b32 s8, exec_lo, s5
	s_cbranch_execz .LBB178_6
; %bb.5:
	v_lshlrev_b64_e32 v[11:12], 3, v[9:10]
	s_mov_b32 s5, 0
	s_mov_b32 s6, exec_lo
	v_dual_mov_b32 v18, s5 :: v_dual_mov_b32 v17, s4
	s_delay_alu instid0(VALU_DEP_2) | instskip(NEXT) | instid1(VALU_DEP_1)
	v_add_co_u32 v11, vcc_lo, s2, v11
	v_add_co_ci_u32_e64 v12, null, s3, v12, vcc_lo
	global_load_b64 v[11:12], v[11:12], off
	s_wait_loadcnt 0x0
	v_sub_co_u32 v21, vcc_lo, v11, s4
	s_wait_alu 0xfffd
	v_subrev_co_ci_u32_e64 v22, null, 0, v12, vcc_lo
.LBB178_6:
	s_or_b32 exec_lo, exec_lo, s8
	s_wait_alu 0xfffe
	s_and_b32 vcc_lo, exec_lo, s7
	s_wait_alu 0xfffe
	s_cbranch_vccnz .LBB178_10
.LBB178_7:
	s_and_b32 exec_lo, exec_lo, s6
	s_cbranch_execnz .LBB178_13
.LBB178_8:
	s_nop 0
	s_sendmsg sendmsg(MSG_DEALLOC_VGPRS)
	s_endpgm
.LBB178_9:
	s_mov_b32 s6, 0
                                        ; implicit-def: $vgpr21_vgpr22
                                        ; implicit-def: $vgpr17_vgpr18
	s_cbranch_execz .LBB178_7
.LBB178_10:
	s_load_b64 s[2:3], s[0:1], 0x0
	s_wait_kmcnt 0x0
	v_cmp_gt_i64_e32 vcc_lo, s[2:3], v[9:10]
	s_and_saveexec_b32 s2, vcc_lo
; %bb.11:
	s_mov_b32 s5, 0
	s_or_b32 s6, s6, exec_lo
; %bb.12:
	s_wait_alu 0xfffe
	s_or_b32 exec_lo, exec_lo, s2
	v_dual_mov_b32 v18, s5 :: v_dual_mov_b32 v17, s4
	v_dual_mov_b32 v22, v10 :: v_dual_mov_b32 v21, v9
	s_and_b32 exec_lo, exec_lo, s6
	s_cbranch_execz .LBB178_8
.LBB178_13:
	s_load_b256 s[4:11], s[0:1], 0x30
	s_delay_alu instid0(VALU_DEP_1) | instskip(SKIP_3) | instid1(VALU_DEP_2)
	v_lshlrev_b64_e32 v[9:10], 3, v[21:22]
	v_and_b32_e32 v0, 31, v0
	s_load_b32 s3, s[0:1], 0x8
	s_wait_kmcnt 0x0
	v_add_co_u32 v11, vcc_lo, s4, v9
	s_wait_alu 0xfffd
	v_add_co_ci_u32_e64 v12, null, s5, v10, vcc_lo
	v_add_co_u32 v9, vcc_lo, s6, v9
	s_wait_alu 0xfffd
	v_add_co_ci_u32_e64 v10, null, s7, v10, vcc_lo
	v_add_co_u32 v13, vcc_lo, v11, 8
	s_wait_alu 0xfffd
	v_add_co_ci_u32_e64 v14, null, 0, v12, vcc_lo
	global_load_b64 v[43:44], v[11:12], off
	s_cmp_eq_u64 s[6:7], 0
	s_load_b64 s[4:5], s[0:1], 0x50
	s_cselect_b32 vcc_lo, -1, 0
	s_cmp_eq_u32 s3, 1
	s_wait_alu 0xfffe
	v_dual_cndmask_b32 v10, v10, v14 :: v_dual_cndmask_b32 v9, v9, v13
	global_load_b64 v[9:10], v[9:10], off
	s_wait_loadcnt 0x1
	v_sub_co_u32 v11, vcc_lo, v43, v17
	s_wait_alu 0xfffd
	v_sub_co_ci_u32_e64 v12, null, v44, v18, vcc_lo
	s_delay_alu instid0(VALU_DEP_2) | instskip(SKIP_1) | instid1(VALU_DEP_2)
	v_add_co_u32 v19, vcc_lo, v11, v0
	s_wait_alu 0xfffd
	v_add_co_ci_u32_e64 v20, null, 0, v12, vcc_lo
	s_wait_loadcnt 0x0
	v_sub_co_u32 v23, vcc_lo, v9, v17
	s_wait_alu 0xfffd
	v_sub_co_ci_u32_e64 v24, null, v10, v18, vcc_lo
	v_lshlrev_b64_e32 v[9:10], 7, v[19:20]
	s_delay_alu instid0(VALU_DEP_2) | instskip(NEXT) | instid1(VALU_DEP_2)
	v_cmp_lt_i64_e64 s2, v[19:20], v[23:24]
	v_add_co_u32 v25, vcc_lo, s10, v9
	s_wait_alu 0xfffd
	s_delay_alu instid0(VALU_DEP_3)
	v_add_co_ci_u32_e64 v26, null, s11, v10, vcc_lo
	s_cbranch_scc1 .LBB178_25
; %bb.14:
	v_mov_b32_e32 v27, 0
	v_mov_b32_e32 v31, 0
	;; [unrolled: 1-line block ×3, first 2 shown]
	v_dual_mov_b32 v35, 0 :: v_dual_mov_b32 v28, 0
	v_dual_mov_b32 v33, 0 :: v_dual_mov_b32 v32, 0
	;; [unrolled: 1-line block ×5, first 2 shown]
	v_mov_b32_e32 v42, 0
	v_mov_b32_e32 v40, 0
	;; [unrolled: 1-line block ×3, first 2 shown]
	s_and_saveexec_b32 s6, s2
	s_cbranch_execz .LBB178_24
; %bb.15:
	v_or_b32_e32 v9, 32, v0
	v_not_b32_e32 v13, v43
	v_dual_mov_b32 v12, 0 :: v_dual_mov_b32 v29, 0
	v_not_b32_e32 v11, v44
	s_delay_alu instid0(VALU_DEP_4) | instskip(SKIP_3) | instid1(VALU_DEP_3)
	v_sub_co_u32 v9, vcc_lo, v9, v17
	s_wait_alu 0xfffd
	v_sub_co_ci_u32_e64 v10, null, 0, v18, vcc_lo
	v_mov_b32_e32 v41, 0
	v_add_co_u32 v9, vcc_lo, v9, v43
	s_wait_alu 0xfffd
	s_delay_alu instid0(VALU_DEP_3) | instskip(SKIP_3) | instid1(VALU_DEP_3)
	v_add_co_ci_u32_e64 v10, null, v10, v44, vcc_lo
	v_sub_co_u32 v14, vcc_lo, v17, v0
	s_wait_alu 0xfffd
	v_subrev_co_ci_u32_e64 v15, null, 0, v18, vcc_lo
	v_cmp_gt_i64_e32 vcc_lo, v[9:10], v[23:24]
	v_mov_b32_e32 v30, 0
	v_add_co_u32 v13, s3, v14, v13
	s_wait_alu 0xf1ff
	v_add_co_ci_u32_e64 v11, null, v15, v11, s3
	s_wait_alu 0xfffd
	v_dual_cndmask_b32 v9, v23, v9 :: v_dual_cndmask_b32 v10, v24, v10
	v_mov_b32_e32 v35, 0
	v_dual_mov_b32 v36, 0 :: v_dual_mov_b32 v39, 0
	s_delay_alu instid0(VALU_DEP_3)
	v_add_co_u32 v9, vcc_lo, v13, v9
	v_dual_mov_b32 v33, 0 :: v_dual_mov_b32 v40, 0
	v_dual_mov_b32 v37, 0 :: v_dual_mov_b32 v42, 0
	;; [unrolled: 1-line block ×4, first 2 shown]
	s_wait_alu 0xfffd
	v_add_co_ci_u32_e64 v10, null, v11, v10, vcc_lo
	v_dual_mov_b32 v32, 0 :: v_dual_and_b32 v11, 0x60, v9
	v_mov_b32_e32 v28, 0
	v_dual_mov_b32 v48, v26 :: v_dual_mov_b32 v47, v25
	v_dual_mov_b32 v46, v20 :: v_dual_mov_b32 v45, v19
	s_mov_b32 s7, exec_lo
	v_cmpx_ne_u64_e32 0x60, v[11:12]
	s_cbranch_execz .LBB178_19
; %bb.16:
	v_lshrrev_b32_e32 v13, 5, v9
	v_lshlrev_b64_e32 v[11:12], 3, v[19:20]
	v_dual_mov_b32 v27, 0 :: v_dual_mov_b32 v46, v20
	v_mov_b32_e32 v37, 0
	s_delay_alu instid0(VALU_DEP_4) | instskip(NEXT) | instid1(VALU_DEP_4)
	v_dual_mov_b32 v28, 0 :: v_dual_add_nc_u32 v13, 1, v13
	v_add_co_u32 v11, vcc_lo, s8, v11
	v_mov_b32_e32 v33, 0
	s_delay_alu instid0(VALU_DEP_3) | instskip(SKIP_3) | instid1(VALU_DEP_4)
	v_dual_mov_b32 v38, 0 :: v_dual_and_b32 v13, 3, v13
	v_mov_b32_e32 v31, 0
	v_mov_b32_e32 v41, 0
	;; [unrolled: 1-line block ×3, first 2 shown]
	v_sub_co_u32 v13, s3, 0, v13
	v_dual_mov_b32 v35, 0 :: v_dual_mov_b32 v48, v26
	v_mov_b32_e32 v29, 0
	v_dual_mov_b32 v45, v19 :: v_dual_mov_b32 v34, 0
	v_mov_b32_e32 v32, 0
	s_wait_alu 0xfffd
	v_add_co_ci_u32_e64 v12, null, s9, v12, vcc_lo
	s_wait_alu 0xf1ff
	v_sub_co_ci_u32_e64 v14, null, 0, 0, s3
	v_mov_b32_e32 v42, 0
	v_mov_b32_e32 v40, 0
	;; [unrolled: 1-line block ×3, first 2 shown]
	v_dual_mov_b32 v30, 0 :: v_dual_mov_b32 v47, v25
	s_mov_b32 s10, 0
.LBB178_17:                             ; =>This Inner Loop Header: Depth=1
	global_load_b64 v[15:16], v[11:12], off
	s_clause 0x3
	global_load_b128 v[49:52], v[47:48], off
	global_load_b128 v[53:56], v[47:48], off offset:32
	global_load_b128 v[57:60], v[47:48], off offset:64
	global_load_b128 v[61:64], v[47:48], off offset:96
	v_add_co_u32 v11, s3, 0x100, v11
	s_wait_alu 0xf1ff
	v_add_co_ci_u32_e64 v12, null, 0, v12, s3
	s_wait_loadcnt 0x4
	v_sub_co_u32 v15, vcc_lo, v15, v17
	s_wait_alu 0xfffd
	v_sub_co_ci_u32_e64 v16, null, v16, v18, vcc_lo
	s_wait_loadcnt 0x2
	v_cvt_f64_f32_e32 v[97:98], v53
	v_cvt_f64_f32_e32 v[53:54], v54
	s_wait_loadcnt 0x1
	v_cvt_f64_f32_e32 v[99:100], v57
	v_lshlrev_b64_e32 v[15:16], 6, v[15:16]
	v_cvt_f64_f32_e32 v[57:58], v58
	s_wait_loadcnt 0x0
	v_cvt_f64_f32_e32 v[101:102], v61
	v_cvt_f64_f32_e32 v[61:62], v62
	;; [unrolled: 1-line block ×4, first 2 shown]
	s_wait_kmcnt 0x0
	v_add_co_u32 v15, vcc_lo, s4, v15
	s_wait_alu 0xfffd
	v_add_co_ci_u32_e64 v16, null, s5, v16, vcc_lo
	v_cvt_f64_f32_e32 v[105:106], v59
	v_cvt_f64_f32_e32 v[59:60], v60
	;; [unrolled: 1-line block ×3, first 2 shown]
	s_clause 0x1
	global_load_b128 v[65:68], v[15:16], off
	global_load_b128 v[69:72], v[15:16], off offset:16
	s_clause 0x3
	global_load_b128 v[73:76], v[47:48], off offset:16
	global_load_b128 v[77:80], v[47:48], off offset:48
	;; [unrolled: 1-line block ×4, first 2 shown]
	s_clause 0x1
	global_load_b128 v[89:92], v[15:16], off offset:32
	global_load_b128 v[93:96], v[15:16], off offset:48
	v_cvt_f64_f32_e32 v[15:16], v49
	v_cvt_f64_f32_e32 v[49:50], v50
	;; [unrolled: 1-line block ×3, first 2 shown]
	v_add_co_u32 v47, vcc_lo, 0x1000, v47
	s_wait_alu 0xfffd
	v_add_co_ci_u32_e64 v48, null, 0, v48, vcc_lo
	v_add_co_u32 v13, vcc_lo, v13, 1
	s_wait_alu 0xfffd
	v_add_co_ci_u32_e64 v14, null, 0, v14, vcc_lo
	;; [unrolled: 3-line block ×3, first 2 shown]
	s_delay_alu instid0(VALU_DEP_3)
	v_cmp_eq_u64_e32 vcc_lo, 0, v[13:14]
	s_wait_alu 0xfffe
	s_or_b32 s10, vcc_lo, s10
	s_wait_loadcnt 0x7
	v_fma_f64 v[33:34], v[15:16], v[65:66], v[33:34]
	v_fma_f64 v[27:28], v[49:50], v[65:66], v[27:28]
	;; [unrolled: 1-line block ×8, first 2 shown]
	v_cvt_f64_f32_e32 v[65:66], v51
	v_cvt_f64_f32_e32 v[51:52], v52
	v_fma_f64 v[33:34], -v[49:50], v[67:68], v[33:34]
	v_fma_f64 v[15:16], v[15:16], v[67:68], v[27:28]
	v_fma_f64 v[27:28], -v[53:54], v[67:68], v[41:42]
	v_fma_f64 v[31:32], v[97:98], v[67:68], v[31:32]
	;; [unrolled: 2-line block ×4, first 2 shown]
	s_wait_loadcnt 0x5
	v_cvt_f64_f32_e32 v[41:42], v73
	v_cvt_f64_f32_e32 v[49:50], v74
	s_wait_loadcnt 0x4
	v_cvt_f64_f32_e32 v[53:54], v77
	v_cvt_f64_f32_e32 v[57:58], v78
	;; [unrolled: 3-line block ×4, first 2 shown]
	v_fma_f64 v[33:34], v[65:66], v[69:70], v[33:34]
	v_fma_f64 v[15:16], v[51:52], v[69:70], v[15:16]
	;; [unrolled: 1-line block ×8, first 2 shown]
	v_cvt_f64_f32_e32 v[69:70], v85
	v_fma_f64 v[33:34], -v[51:52], v[71:72], v[33:34]
	v_fma_f64 v[15:16], v[65:66], v[71:72], v[15:16]
	v_fma_f64 v[27:28], -v[55:56], v[71:72], v[27:28]
	v_fma_f64 v[31:32], v[103:104], v[71:72], v[31:32]
	;; [unrolled: 2-line block ×4, first 2 shown]
	v_cvt_f64_f32_e32 v[51:52], v75
	v_cvt_f64_f32_e32 v[55:56], v76
	;; [unrolled: 1-line block ×7, first 2 shown]
	s_wait_loadcnt 0x1
	v_fma_f64 v[33:34], v[41:42], v[89:90], v[33:34]
	v_fma_f64 v[15:16], v[49:50], v[89:90], v[15:16]
	v_fma_f64 v[27:28], v[53:54], v[89:90], v[27:28]
	v_fma_f64 v[31:32], v[57:58], v[89:90], v[31:32]
	v_fma_f64 v[39:40], v[61:62], v[89:90], v[39:40]
	v_fma_f64 v[37:38], v[67:68], v[89:90], v[37:38]
	v_fma_f64 v[29:30], v[69:70], v[89:90], v[29:30]
	v_fma_f64 v[35:36], v[73:74], v[89:90], v[35:36]
	v_fma_f64 v[33:34], -v[49:50], v[91:92], v[33:34]
	v_fma_f64 v[15:16], v[41:42], v[91:92], v[15:16]
	v_fma_f64 v[27:28], -v[57:58], v[91:92], v[27:28]
	v_fma_f64 v[31:32], v[53:54], v[91:92], v[31:32]
	v_fma_f64 v[39:40], -v[67:68], v[91:92], v[39:40]
	v_fma_f64 v[37:38], v[61:62], v[91:92], v[37:38]
	v_fma_f64 v[29:30], -v[73:74], v[91:92], v[29:30]
	v_fma_f64 v[35:36], v[69:70], v[91:92], v[35:36]
	s_wait_loadcnt 0x0
	v_fma_f64 v[33:34], v[51:52], v[93:94], v[33:34]
	v_fma_f64 v[15:16], v[55:56], v[93:94], v[15:16]
	;; [unrolled: 1-line block ×8, first 2 shown]
	v_fma_f64 v[33:34], -v[55:56], v[95:96], v[33:34]
	v_fma_f64 v[27:28], v[51:52], v[95:96], v[15:16]
	v_fma_f64 v[41:42], -v[63:64], v[95:96], v[41:42]
	v_fma_f64 v[31:32], v[59:60], v[95:96], v[31:32]
	;; [unrolled: 2-line block ×4, first 2 shown]
	s_wait_alu 0xfffe
	s_and_not1_b32 exec_lo, exec_lo, s10
	s_cbranch_execnz .LBB178_17
; %bb.18:
	s_or_b32 exec_lo, exec_lo, s10
.LBB178_19:
	s_wait_alu 0xfffe
	s_or_b32 exec_lo, exec_lo, s7
	s_delay_alu instid0(SALU_CYCLE_1)
	s_mov_b32 s7, exec_lo
	v_cmpx_lt_u64_e32 0x5f, v[9:10]
	s_cbranch_execz .LBB178_23
; %bb.20:
	v_lshlrev_b64_e32 v[9:10], 3, v[45:46]
	s_mov_b32 s10, 0
	s_delay_alu instid0(VALU_DEP_1) | instskip(SKIP_1) | instid1(VALU_DEP_2)
	v_add_co_u32 v9, vcc_lo, s8, v9
	s_wait_alu 0xfffd
	v_add_co_ci_u32_e64 v10, null, s9, v10, vcc_lo
	s_delay_alu instid0(VALU_DEP_2) | instskip(SKIP_1) | instid1(VALU_DEP_2)
	v_add_co_u32 v49, vcc_lo, 0x200, v9
	s_wait_alu 0xfffd
	v_add_co_ci_u32_e64 v50, null, 0, v10, vcc_lo
.LBB178_21:                             ; =>This Inner Loop Header: Depth=1
	global_load_b64 v[51:52], v[49:50], off offset:-512
	s_clause 0x3
	global_load_b128 v[13:16], v[47:48], off
	global_load_b128 v[9:12], v[47:48], off offset:32
	global_load_b128 v[53:56], v[47:48], off offset:64
	;; [unrolled: 1-line block ×3, first 2 shown]
	s_clause 0x2
	global_load_b64 v[109:110], v[49:50], off offset:-256
	global_load_b64 v[111:112], v[49:50], off
	global_load_b64 v[113:114], v[49:50], off offset:256
	v_add_co_u32 v49, s3, 0x400, v49
	s_wait_alu 0xf1ff
	v_add_co_ci_u32_e64 v50, null, 0, v50, s3
	s_wait_loadcnt 0x7
	v_sub_co_u32 v51, vcc_lo, v51, v17
	s_wait_alu 0xfffd
	v_sub_co_ci_u32_e64 v52, null, v52, v18, vcc_lo
	s_wait_loadcnt 0x6
	v_cvt_f64_f32_e32 v[115:116], v13
	v_cvt_f64_f32_e32 v[13:14], v14
	s_wait_loadcnt 0x5
	v_cvt_f64_f32_e32 v[117:118], v9
	v_lshlrev_b64_e32 v[51:52], 6, v[51:52]
	v_cvt_f64_f32_e32 v[9:10], v10
	s_wait_loadcnt 0x4
	v_cvt_f64_f32_e32 v[119:120], v53
	s_wait_loadcnt 0x3
	v_cvt_f64_f32_e32 v[121:122], v57
	v_cvt_f64_f32_e32 v[57:58], v58
	;; [unrolled: 1-line block ×3, first 2 shown]
	s_wait_kmcnt 0x0
	v_add_co_u32 v51, vcc_lo, s4, v51
	s_wait_alu 0xfffd
	v_add_co_ci_u32_e64 v52, null, s5, v52, vcc_lo
	v_cvt_f64_f32_e32 v[127:128], v11
	v_cvt_f64_f32_e32 v[129:130], v12
	;; [unrolled: 1-line block ×3, first 2 shown]
	s_clause 0x1
	global_load_b128 v[61:64], v[51:52], off
	global_load_b128 v[65:68], v[51:52], off offset:16
	s_clause 0x3
	global_load_b128 v[69:72], v[47:48], off offset:16
	global_load_b128 v[73:76], v[47:48], off offset:48
	global_load_b128 v[77:80], v[47:48], off offset:80
	global_load_b128 v[81:84], v[47:48], off offset:112
	s_clause 0x1
	global_load_b128 v[85:88], v[51:52], off offset:32
	global_load_b128 v[89:92], v[51:52], off offset:48
	s_clause 0x3
	global_load_b128 v[93:96], v[47:48], off offset:4096
	global_load_b128 v[97:100], v[47:48], off offset:4128
	;; [unrolled: 1-line block ×4, first 2 shown]
	s_wait_loadcnt 0xe
	v_sub_co_u32 v51, vcc_lo, v109, v17
	s_wait_alu 0xfffd
	v_sub_co_ci_u32_e64 v52, null, v110, v18, vcc_lo
	v_cvt_f64_f32_e32 v[109:110], v54
	v_cvt_f64_f32_e32 v[55:56], v56
	v_cvt_f64_f32_e32 v[133:134], v59
	s_delay_alu instid0(VALU_DEP_4) | instskip(SKIP_1) | instid1(VALU_DEP_2)
	v_lshlrev_b64_e32 v[51:52], 6, v[51:52]
	v_cvt_f64_f32_e32 v[59:60], v60
	v_add_co_u32 v123, vcc_lo, s4, v51
	s_wait_alu 0xfffd
	s_delay_alu instid0(VALU_DEP_3)
	v_add_co_ci_u32_e64 v124, null, s5, v52, vcc_lo
	s_wait_loadcnt 0xd
	v_sub_co_u32 v111, vcc_lo, v111, v17
	s_wait_alu 0xfffd
	v_sub_co_ci_u32_e64 v112, null, v112, v18, vcc_lo
	global_load_b128 v[51:54], v[123:124], off
	s_wait_loadcnt 0xc
	v_fma_f64 v[33:34], v[115:116], v[61:62], v[33:34]
	v_fma_f64 v[27:28], v[13:14], v[61:62], v[27:28]
	;; [unrolled: 1-line block ×8, first 2 shown]
	v_cvt_f64_f32_e32 v[61:62], v15
	s_wait_loadcnt 0x8
	v_cvt_f64_f32_e32 v[135:136], v77
	v_cvt_f64_f32_e32 v[77:78], v78
	s_wait_loadcnt 0x7
	v_cvt_f64_f32_e32 v[137:138], v81
	v_cvt_f64_f32_e32 v[81:82], v82
	v_fma_f64 v[13:14], -v[13:14], v[63:64], v[33:34]
	v_fma_f64 v[15:16], v[115:116], v[63:64], v[27:28]
	v_fma_f64 v[27:28], -v[9:10], v[63:64], v[41:42]
	v_fma_f64 v[31:32], v[117:118], v[63:64], v[31:32]
	;; [unrolled: 2-line block ×4, first 2 shown]
	global_load_b128 v[9:12], v[123:124], off offset:16
	v_cvt_f64_f32_e32 v[119:120], v69
	v_cvt_f64_f32_e32 v[69:70], v70
	;; [unrolled: 1-line block ×4, first 2 shown]
	v_fma_f64 v[39:40], v[61:62], v[65:66], v[13:14]
	v_fma_f64 v[41:42], v[125:126], v[65:66], v[15:16]
	;; [unrolled: 1-line block ×8, first 2 shown]
	s_clause 0x3
	global_load_b128 v[13:16], v[47:48], off offset:4112
	global_load_b128 v[27:30], v[47:48], off offset:4144
	;; [unrolled: 1-line block ×4, first 2 shown]
	v_fma_f64 v[125:126], -v[125:126], v[67:68], v[39:40]
	v_fma_f64 v[61:62], v[61:62], v[67:68], v[41:42]
	v_fma_f64 v[57:58], -v[129:130], v[67:68], v[57:58]
	v_fma_f64 v[63:64], v[127:128], v[67:68], v[63:64]
	;; [unrolled: 2-line block ×4, first 2 shown]
	global_load_b128 v[39:42], v[123:124], off offset:32
	v_cvt_f64_f32_e32 v[115:116], v72
	v_cvt_f64_f32_e32 v[117:118], v75
	;; [unrolled: 1-line block ×5, first 2 shown]
	s_wait_loadcnt 0xa
	v_cvt_f64_f32_e32 v[129:130], v93
	v_cvt_f64_f32_e32 v[93:94], v94
	s_wait_loadcnt 0x9
	v_cvt_f64_f32_e32 v[131:132], v97
	v_cvt_f64_f32_e32 v[97:98], v98
	;; [unrolled: 3-line block ×3, first 2 shown]
	v_fma_f64 v[67:68], v[119:120], v[85:86], v[125:126]
	v_fma_f64 v[61:62], v[69:70], v[85:86], v[61:62]
	;; [unrolled: 1-line block ×8, first 2 shown]
	v_cvt_f64_f32_e32 v[85:86], v71
	v_cvt_f64_f32_e32 v[125:126], v79
	;; [unrolled: 1-line block ×3, first 2 shown]
	v_fma_f64 v[67:68], -v[69:70], v[87:88], v[67:68]
	v_fma_f64 v[61:62], v[119:120], v[87:88], v[61:62]
	v_fma_f64 v[69:70], -v[73:74], v[87:88], v[57:58]
	v_fma_f64 v[63:64], v[121:122], v[87:88], v[63:64]
	;; [unrolled: 2-line block ×4, first 2 shown]
	global_load_b128 v[55:58], v[123:124], off offset:48
	s_wait_loadcnt 0x8
	v_cvt_f64_f32_e32 v[135:136], v105
	v_cvt_f64_f32_e32 v[105:106], v106
	v_fma_f64 v[77:78], v[85:86], v[89:90], v[67:68]
	v_fma_f64 v[81:82], v[115:116], v[89:90], v[61:62]
	;; [unrolled: 1-line block ×8, first 2 shown]
	s_clause 0x3
	global_load_b128 v[59:62], v[47:48], off offset:8192
	global_load_b128 v[63:66], v[47:48], off offset:8224
	;; [unrolled: 1-line block ×4, first 2 shown]
	v_fma_f64 v[115:116], -v[115:116], v[91:92], v[77:78]
	v_fma_f64 v[81:82], v[85:86], v[91:92], v[81:82]
	v_fma_f64 v[85:86], -v[75:76], v[91:92], v[87:88]
	v_fma_f64 v[87:88], v[117:118], v[91:92], v[109:110]
	;; [unrolled: 2-line block ×4, first 2 shown]
	v_lshlrev_b64_e32 v[75:76], 6, v[111:112]
	v_cvt_f64_f32_e32 v[117:118], v99
	v_cvt_f64_f32_e32 v[99:100], v100
	;; [unrolled: 1-line block ×5, first 2 shown]
	v_add_co_u32 v111, vcc_lo, s4, v75
	s_wait_alu 0xfffd
	v_add_co_ci_u32_e64 v112, null, s5, v76, vcc_lo
	v_cvt_f64_f32_e32 v[107:108], v108
	v_sub_co_u32 v113, vcc_lo, v113, v17
	global_load_b128 v[75:78], v[111:112], off
	s_wait_alu 0xfffd
	v_sub_co_ci_u32_e64 v114, null, v114, v18, vcc_lo
	s_wait_loadcnt 0xc
	v_fma_f64 v[91:92], v[129:130], v[51:52], v[115:116]
	v_fma_f64 v[81:82], v[93:94], v[51:52], v[81:82]
	;; [unrolled: 1-line block ×8, first 2 shown]
	v_cvt_f64_f32_e32 v[115:116], v95
	v_cvt_f64_f32_e32 v[95:96], v96
	v_fma_f64 v[89:90], -v[93:94], v[53:54], v[91:92]
	v_fma_f64 v[81:82], v[129:130], v[53:54], v[81:82]
	v_fma_f64 v[85:86], -v[97:98], v[53:54], v[85:86]
	v_fma_f64 v[87:88], v[131:132], v[53:54], v[87:88]
	;; [unrolled: 2-line block ×4, first 2 shown]
	global_load_b128 v[51:54], v[111:112], off offset:16
	s_wait_loadcnt 0xc
	v_fma_f64 v[97:98], v[115:116], v[9:10], v[89:90]
	v_fma_f64 v[101:102], v[95:96], v[9:10], v[81:82]
	v_fma_f64 v[105:106], v[117:118], v[9:10], v[85:86]
	v_fma_f64 v[109:110], v[99:100], v[9:10], v[87:88]
	v_fma_f64 v[123:124], v[119:120], v[9:10], v[79:80]
	v_fma_f64 v[125:126], v[103:104], v[9:10], v[91:92]
	v_fma_f64 v[127:128], v[121:122], v[9:10], v[83:84]
	v_fma_f64 v[9:10], v[107:108], v[9:10], v[93:94]
	s_clause 0x3
	global_load_b128 v[79:82], v[47:48], off offset:8208
	global_load_b128 v[83:86], v[47:48], off offset:8240
	;; [unrolled: 1-line block ×4, first 2 shown]
	s_wait_loadcnt 0xf
	v_cvt_f64_f32_e32 v[129:130], v13
	v_cvt_f64_f32_e32 v[13:14], v14
	s_wait_loadcnt 0xe
	v_cvt_f64_f32_e32 v[131:132], v27
	v_cvt_f64_f32_e32 v[27:28], v28
	;; [unrolled: 3-line block ×4, first 2 shown]
	v_fma_f64 v[95:96], -v[95:96], v[11:12], v[97:98]
	v_fma_f64 v[97:98], v[115:116], v[11:12], v[101:102]
	v_fma_f64 v[99:100], -v[99:100], v[11:12], v[105:106]
	v_fma_f64 v[101:102], v[117:118], v[11:12], v[109:110]
	;; [unrolled: 2-line block ×4, first 2 shown]
	global_load_b128 v[9:12], v[111:112], off offset:32
	v_cvt_f64_f32_e32 v[115:116], v16
	v_cvt_f64_f32_e32 v[117:118], v29
	;; [unrolled: 1-line block ×7, first 2 shown]
	s_wait_loadcnt 0xc
	v_fma_f64 v[95:96], v[129:130], v[39:40], v[95:96]
	v_fma_f64 v[97:98], v[13:14], v[39:40], v[97:98]
	;; [unrolled: 1-line block ×8, first 2 shown]
	v_cvt_f64_f32_e32 v[109:110], v15
	v_fma_f64 v[29:30], -v[13:14], v[41:42], v[95:96]
	v_fma_f64 v[33:34], v[129:130], v[41:42], v[97:98]
	v_fma_f64 v[27:28], -v[27:28], v[41:42], v[99:100]
	v_fma_f64 v[37:38], v[131:132], v[41:42], v[101:102]
	;; [unrolled: 2-line block ×4, first 2 shown]
	global_load_b128 v[13:16], v[111:112], off offset:48
	s_wait_loadcnt 0xc
	v_fma_f64 v[97:98], v[109:110], v[55:56], v[29:30]
	v_fma_f64 v[99:100], v[115:116], v[55:56], v[33:34]
	;; [unrolled: 1-line block ×8, first 2 shown]
	s_clause 0x3
	global_load_b128 v[27:30], v[47:48], off offset:12288
	global_load_b128 v[31:34], v[47:48], off offset:12320
	;; [unrolled: 1-line block ×4, first 2 shown]
	s_wait_loadcnt 0xf
	v_cvt_f64_f32_e32 v[111:112], v59
	v_cvt_f64_f32_e32 v[59:60], v60
	s_wait_loadcnt 0xe
	v_cvt_f64_f32_e32 v[129:130], v63
	v_cvt_f64_f32_e32 v[63:64], v64
	;; [unrolled: 3-line block ×4, first 2 shown]
	v_fma_f64 v[97:98], -v[115:116], v[57:58], v[97:98]
	v_fma_f64 v[99:100], v[109:110], v[57:58], v[99:100]
	v_fma_f64 v[101:102], -v[119:120], v[57:58], v[101:102]
	v_fma_f64 v[103:104], v[117:118], v[57:58], v[103:104]
	;; [unrolled: 2-line block ×4, first 2 shown]
	v_lshlrev_b64_e32 v[55:56], 6, v[113:114]
	v_cvt_f64_f32_e32 v[115:116], v62
	v_cvt_f64_f32_e32 v[117:118], v65
	;; [unrolled: 1-line block ×5, first 2 shown]
	v_add_co_u32 v113, vcc_lo, s4, v55
	s_wait_alu 0xfffd
	v_add_co_ci_u32_e64 v114, null, s5, v56, vcc_lo
	v_cvt_f64_f32_e32 v[125:126], v73
	v_cvt_f64_f32_e32 v[127:128], v74
	v_add_co_u32 v45, vcc_lo, 0x80, v45
	global_load_b128 v[55:58], v[113:114], off
	s_wait_alu 0xfffd
	v_add_co_ci_u32_e64 v46, null, 0, v46, vcc_lo
	s_wait_loadcnt 0xc
	v_fma_f64 v[97:98], v[111:112], v[75:76], v[97:98]
	v_fma_f64 v[99:100], v[59:60], v[75:76], v[99:100]
	;; [unrolled: 1-line block ×8, first 2 shown]
	v_cvt_f64_f32_e32 v[109:110], v61
	v_fma_f64 v[65:66], -v[59:60], v[77:78], v[97:98]
	v_fma_f64 v[69:70], v[111:112], v[77:78], v[99:100]
	v_fma_f64 v[63:64], -v[63:64], v[77:78], v[101:102]
	v_fma_f64 v[73:74], v[129:130], v[77:78], v[103:104]
	;; [unrolled: 2-line block ×4, first 2 shown]
	global_load_b128 v[59:62], v[113:114], off offset:16
	s_wait_loadcnt 0xc
	v_fma_f64 v[97:98], v[109:110], v[51:52], v[65:66]
	v_fma_f64 v[99:100], v[115:116], v[51:52], v[69:70]
	;; [unrolled: 1-line block ×8, first 2 shown]
	s_clause 0x3
	global_load_b128 v[63:66], v[47:48], off offset:12304
	global_load_b128 v[67:70], v[47:48], off offset:12336
	;; [unrolled: 1-line block ×4, first 2 shown]
	v_add_co_u32 v47, vcc_lo, 0x4000, v47
	s_wait_alu 0xfffd
	v_add_co_ci_u32_e64 v48, null, 0, v48, vcc_lo
	v_cmp_ge_i64_e32 vcc_lo, v[45:46], v[23:24]
	s_wait_alu 0xfffe
	s_or_b32 s10, vcc_lo, s10
	s_wait_loadcnt 0xf
	v_cvt_f64_f32_e32 v[111:112], v79
	v_cvt_f64_f32_e32 v[79:80], v80
	s_wait_loadcnt 0xe
	v_cvt_f64_f32_e32 v[129:130], v83
	v_cvt_f64_f32_e32 v[83:84], v84
	;; [unrolled: 3-line block ×4, first 2 shown]
	v_fma_f64 v[97:98], -v[115:116], v[53:54], v[97:98]
	v_fma_f64 v[99:100], v[109:110], v[53:54], v[99:100]
	v_fma_f64 v[101:102], -v[119:120], v[53:54], v[101:102]
	v_fma_f64 v[103:104], v[117:118], v[53:54], v[103:104]
	;; [unrolled: 2-line block ×4, first 2 shown]
	global_load_b128 v[51:54], v[113:114], off offset:32
	v_cvt_f64_f32_e32 v[115:116], v85
	v_cvt_f64_f32_e32 v[85:86], v86
	;; [unrolled: 1-line block ×6, first 2 shown]
	s_wait_loadcnt 0xc
	v_fma_f64 v[97:98], v[111:112], v[9:10], v[97:98]
	v_fma_f64 v[99:100], v[79:80], v[9:10], v[99:100]
	;; [unrolled: 1-line block ×8, first 2 shown]
	v_cvt_f64_f32_e32 v[109:110], v81
	v_cvt_f64_f32_e32 v[81:82], v82
	v_fma_f64 v[79:80], -v[79:80], v[11:12], v[97:98]
	v_fma_f64 v[97:98], v[111:112], v[11:12], v[99:100]
	v_fma_f64 v[83:84], -v[83:84], v[11:12], v[101:102]
	v_fma_f64 v[99:100], v[129:130], v[11:12], v[103:104]
	v_fma_f64 v[87:88], -v[87:88], v[11:12], v[105:106]
	v_fma_f64 v[95:96], v[131:132], v[11:12], v[95:96]
	v_fma_f64 v[91:92], -v[91:92], v[11:12], v[107:108]
	v_fma_f64 v[101:102], v[133:134], v[11:12], v[9:10]
	global_load_b128 v[9:12], v[113:114], off offset:48
	s_wait_loadcnt 0xc
	v_fma_f64 v[79:80], v[109:110], v[13:14], v[79:80]
	v_fma_f64 v[97:98], v[81:82], v[13:14], v[97:98]
	;; [unrolled: 1-line block ×8, first 2 shown]
	s_wait_loadcnt 0xb
	v_cvt_f64_f32_e32 v[101:102], v27
	v_cvt_f64_f32_e32 v[27:28], v28
	s_wait_loadcnt 0xa
	v_cvt_f64_f32_e32 v[103:104], v31
	v_cvt_f64_f32_e32 v[31:32], v32
	;; [unrolled: 3-line block ×4, first 2 shown]
	v_fma_f64 v[79:80], -v[81:82], v[15:16], v[79:80]
	v_fma_f64 v[81:82], v[109:110], v[15:16], v[97:98]
	v_fma_f64 v[83:84], -v[85:86], v[15:16], v[83:84]
	v_fma_f64 v[85:86], v[115:116], v[15:16], v[99:100]
	;; [unrolled: 2-line block ×4, first 2 shown]
	v_cvt_f64_f32_e32 v[93:94], v37
	v_cvt_f64_f32_e32 v[37:38], v38
	;; [unrolled: 1-line block ×4, first 2 shown]
	s_wait_loadcnt 0x7
	v_fma_f64 v[15:16], v[101:102], v[55:56], v[79:80]
	v_fma_f64 v[79:80], v[27:28], v[55:56], v[81:82]
	;; [unrolled: 1-line block ×8, first 2 shown]
	v_cvt_f64_f32_e32 v[55:56], v29
	v_cvt_f64_f32_e32 v[29:30], v30
	;; [unrolled: 1-line block ×4, first 2 shown]
	v_fma_f64 v[15:16], -v[27:28], v[57:58], v[15:16]
	v_fma_f64 v[27:28], v[101:102], v[57:58], v[79:80]
	v_fma_f64 v[31:32], -v[31:32], v[57:58], v[81:82]
	v_fma_f64 v[79:80], v[103:104], v[57:58], v[83:84]
	;; [unrolled: 2-line block ×4, first 2 shown]
	s_wait_loadcnt 0x6
	v_fma_f64 v[15:16], v[55:56], v[59:60], v[15:16]
	v_fma_f64 v[27:28], v[29:30], v[59:60], v[27:28]
	;; [unrolled: 1-line block ×8, first 2 shown]
	s_wait_loadcnt 0x5
	v_cvt_f64_f32_e32 v[59:60], v63
	v_cvt_f64_f32_e32 v[63:64], v64
	s_wait_loadcnt 0x4
	v_cvt_f64_f32_e32 v[81:82], v67
	v_cvt_f64_f32_e32 v[67:68], v68
	;; [unrolled: 3-line block ×4, first 2 shown]
	v_fma_f64 v[15:16], -v[29:30], v[61:62], v[15:16]
	v_fma_f64 v[27:28], v[55:56], v[61:62], v[27:28]
	v_fma_f64 v[29:30], -v[33:34], v[61:62], v[31:32]
	v_fma_f64 v[31:32], v[91:92], v[61:62], v[57:58]
	;; [unrolled: 2-line block ×4, first 2 shown]
	v_cvt_f64_f32_e32 v[39:40], v65
	v_cvt_f64_f32_e32 v[41:42], v66
	;; [unrolled: 1-line block ×6, first 2 shown]
	s_wait_loadcnt 0x1
	v_fma_f64 v[15:16], v[59:60], v[51:52], v[15:16]
	v_fma_f64 v[27:28], v[63:64], v[51:52], v[27:28]
	;; [unrolled: 1-line block ×8, first 2 shown]
	v_cvt_f64_f32_e32 v[51:52], v69
	v_cvt_f64_f32_e32 v[69:70], v78
	v_fma_f64 v[15:16], -v[63:64], v[53:54], v[15:16]
	v_fma_f64 v[27:28], v[59:60], v[53:54], v[27:28]
	v_fma_f64 v[29:30], -v[67:68], v[53:54], v[29:30]
	v_fma_f64 v[31:32], v[81:82], v[53:54], v[31:32]
	;; [unrolled: 2-line block ×4, first 2 shown]
	s_wait_loadcnt 0x0
	v_fma_f64 v[15:16], v[39:40], v[9:10], v[15:16]
	v_fma_f64 v[27:28], v[41:42], v[9:10], v[27:28]
	;; [unrolled: 1-line block ×8, first 2 shown]
	v_fma_f64 v[33:34], -v[41:42], v[11:12], v[15:16]
	v_fma_f64 v[27:28], v[39:40], v[11:12], v[27:28]
	v_fma_f64 v[41:42], -v[55:56], v[11:12], v[29:30]
	v_fma_f64 v[31:32], v[51:52], v[11:12], v[31:32]
	;; [unrolled: 2-line block ×4, first 2 shown]
	s_wait_alu 0xfffe
	s_and_not1_b32 exec_lo, exec_lo, s10
	s_cbranch_execnz .LBB178_21
; %bb.22:
	s_or_b32 exec_lo, exec_lo, s10
.LBB178_23:
	s_wait_alu 0xfffe
	s_or_b32 exec_lo, exec_lo, s7
.LBB178_24:
	s_wait_alu 0xfffe
	s_or_b32 exec_lo, exec_lo, s6
	s_cbranch_execz .LBB178_26
	s_branch .LBB178_37
.LBB178_25:
                                        ; implicit-def: $vgpr27_vgpr28
                                        ; implicit-def: $vgpr33_vgpr34
                                        ; implicit-def: $vgpr31_vgpr32
                                        ; implicit-def: $vgpr41_vgpr42
                                        ; implicit-def: $vgpr37_vgpr38
                                        ; implicit-def: $vgpr39_vgpr40
                                        ; implicit-def: $vgpr35_vgpr36
                                        ; implicit-def: $vgpr29_vgpr30
.LBB178_26:
	v_mov_b32_e32 v27, 0
	v_mov_b32_e32 v31, 0
	;; [unrolled: 1-line block ×3, first 2 shown]
	v_dual_mov_b32 v35, 0 :: v_dual_mov_b32 v28, 0
	v_dual_mov_b32 v33, 0 :: v_dual_mov_b32 v32, 0
	;; [unrolled: 1-line block ×5, first 2 shown]
	v_mov_b32_e32 v42, 0
	v_mov_b32_e32 v40, 0
	v_mov_b32_e32 v30, 0
	s_and_saveexec_b32 s3, s2
	s_cbranch_execz .LBB178_36
; %bb.27:
	v_or_b32_e32 v9, 32, v0
	v_not_b32_e32 v13, v43
	v_sub_co_u32 v14, s2, v17, v0
	v_not_b32_e32 v11, v44
	s_delay_alu instid0(VALU_DEP_4)
	v_sub_co_u32 v9, vcc_lo, v9, v17
	s_wait_alu 0xfffd
	v_sub_co_ci_u32_e64 v10, null, 0, v18, vcc_lo
	s_wait_alu 0xf1ff
	v_subrev_co_ci_u32_e64 v15, null, 0, v18, s2
	v_add_co_u32 v9, vcc_lo, v9, v43
	s_wait_alu 0xfffd
	v_add_co_ci_u32_e64 v10, null, v10, v44, vcc_lo
	v_add_co_u32 v13, s2, v14, v13
	s_wait_alu 0xf1ff
	v_add_co_ci_u32_e64 v11, null, v15, v11, s2
	s_delay_alu instid0(VALU_DEP_3)
	v_cmp_gt_i64_e32 vcc_lo, v[9:10], v[23:24]
	v_dual_mov_b32 v12, 0 :: v_dual_mov_b32 v37, 0
	v_mov_b32_e32 v31, 0
	v_mov_b32_e32 v29, 0
	v_dual_mov_b32 v30, 0 :: v_dual_mov_b32 v35, 0
	s_wait_alu 0xfffd
	v_dual_cndmask_b32 v9, v23, v9 :: v_dual_cndmask_b32 v10, v24, v10
	v_dual_mov_b32 v36, 0 :: v_dual_mov_b32 v39, 0
	v_dual_mov_b32 v38, 0 :: v_dual_mov_b32 v41, 0
	s_delay_alu instid0(VALU_DEP_3)
	v_add_co_u32 v9, vcc_lo, v13, v9
	v_dual_mov_b32 v32, 0 :: v_dual_mov_b32 v33, 0
	v_dual_mov_b32 v27, 0 :: v_dual_mov_b32 v40, 0
	s_wait_alu 0xfffd
	v_add_co_ci_u32_e64 v10, null, v11, v10, vcc_lo
	v_dual_mov_b32 v42, 0 :: v_dual_and_b32 v11, 0x60, v9
	v_mov_b32_e32 v34, 0
	v_mov_b32_e32 v28, 0
	s_mov_b32 s6, exec_lo
	s_delay_alu instid0(VALU_DEP_3)
	v_cmpx_ne_u64_e32 0x60, v[11:12]
	s_cbranch_execz .LBB178_31
; %bb.28:
	v_lshrrev_b32_e32 v13, 5, v9
	v_mov_b32_e32 v31, 0
	v_mov_b32_e32 v32, 0
	v_lshlrev_b64_e32 v[11:12], 3, v[19:20]
	v_mov_b32_e32 v37, 0
	v_add_nc_u32_e32 v13, 1, v13
	v_mov_b32_e32 v27, 0
	v_dual_mov_b32 v28, 0 :: v_dual_mov_b32 v33, 0
	v_add_co_u32 v11, vcc_lo, s8, v11
	s_delay_alu instid0(VALU_DEP_4) | instskip(SKIP_3) | instid1(VALU_DEP_4)
	v_dual_mov_b32 v38, 0 :: v_dual_and_b32 v13, 3, v13
	v_mov_b32_e32 v41, 0
	v_mov_b32_e32 v39, 0
	;; [unrolled: 1-line block ×3, first 2 shown]
	v_sub_co_u32 v13, s2, 0, v13
	v_dual_mov_b32 v29, 0 :: v_dual_mov_b32 v34, 0
	s_wait_alu 0xfffd
	v_add_co_ci_u32_e64 v12, null, s9, v12, vcc_lo
	v_mov_b32_e32 v42, 0
	v_mov_b32_e32 v40, 0
	;; [unrolled: 1-line block ×4, first 2 shown]
	s_wait_alu 0xf1ff
	v_sub_co_ci_u32_e64 v14, null, 0, 0, s2
	s_mov_b32 s7, 0
.LBB178_29:                             ; =>This Inner Loop Header: Depth=1
	global_load_b64 v[15:16], v[11:12], off
	s_clause 0x1
	global_load_b128 v[43:46], v[25:26], off
	global_load_b128 v[47:50], v[25:26], off offset:16
	v_add_co_u32 v11, s2, 0x100, v11
	s_wait_alu 0xf1ff
	v_add_co_ci_u32_e64 v12, null, 0, v12, s2
	s_wait_loadcnt 0x2
	v_sub_co_u32 v15, vcc_lo, v15, v17
	s_wait_alu 0xfffd
	v_sub_co_ci_u32_e64 v16, null, v16, v18, vcc_lo
	s_wait_loadcnt 0x1
	v_cvt_f64_f32_e32 v[91:92], v45
	v_cvt_f64_f32_e32 v[45:46], v46
	s_wait_loadcnt 0x0
	v_cvt_f64_f32_e32 v[93:94], v47
	v_lshlrev_b64_e32 v[15:16], 6, v[15:16]
	v_cvt_f64_f32_e32 v[47:48], v48
	v_cvt_f64_f32_e32 v[95:96], v49
	;; [unrolled: 1-line block ×3, first 2 shown]
	s_wait_kmcnt 0x0
	s_delay_alu instid0(VALU_DEP_4)
	v_add_co_u32 v15, vcc_lo, s4, v15
	s_wait_alu 0xfffd
	v_add_co_ci_u32_e64 v16, null, s5, v16, vcc_lo
	s_clause 0x1
	global_load_b128 v[51:54], v[15:16], off
	global_load_b128 v[55:58], v[15:16], off offset:16
	s_clause 0x3
	global_load_b128 v[59:62], v[25:26], off offset:32
	global_load_b128 v[63:66], v[25:26], off offset:48
	;; [unrolled: 1-line block ×4, first 2 shown]
	s_clause 0x1
	global_load_b128 v[75:78], v[15:16], off offset:32
	global_load_b128 v[79:82], v[15:16], off offset:48
	s_clause 0x1
	global_load_b128 v[83:86], v[25:26], off offset:96
	global_load_b128 v[87:90], v[25:26], off offset:112
	v_cvt_f64_f32_e32 v[15:16], v43
	v_cvt_f64_f32_e32 v[43:44], v44
	v_add_co_u32 v25, vcc_lo, 0x1000, v25
	s_wait_alu 0xfffd
	v_add_co_ci_u32_e64 v26, null, 0, v26, vcc_lo
	v_add_co_u32 v13, vcc_lo, v13, 1
	s_wait_alu 0xfffd
	v_add_co_ci_u32_e64 v14, null, 0, v14, vcc_lo
	v_add_co_u32 v19, vcc_lo, v19, 32
	s_wait_alu 0xfffd
	v_add_co_ci_u32_e64 v20, null, 0, v20, vcc_lo
	s_delay_alu instid0(VALU_DEP_3)
	v_cmp_eq_u64_e32 vcc_lo, 0, v[13:14]
	s_wait_alu 0xfffe
	s_or_b32 s7, vcc_lo, s7
	s_wait_loadcnt 0x9
	v_fma_f64 v[33:34], v[15:16], v[51:52], v[33:34]
	v_fma_f64 v[27:28], v[43:44], v[51:52], v[27:28]
	;; [unrolled: 1-line block ×8, first 2 shown]
	s_wait_loadcnt 0x7
	v_cvt_f64_f32_e32 v[51:52], v59
	v_cvt_f64_f32_e32 v[59:60], v60
	;; [unrolled: 1-line block ×4, first 2 shown]
	s_wait_loadcnt 0x6
	v_cvt_f64_f32_e32 v[99:100], v63
	v_cvt_f64_f32_e32 v[63:64], v64
	;; [unrolled: 1-line block ×4, first 2 shown]
	v_fma_f64 v[33:34], -v[43:44], v[53:54], v[33:34]
	v_fma_f64 v[15:16], v[15:16], v[53:54], v[27:28]
	v_fma_f64 v[27:28], -v[45:46], v[53:54], v[41:42]
	v_fma_f64 v[31:32], v[91:92], v[53:54], v[31:32]
	v_fma_f64 v[39:40], -v[47:48], v[53:54], v[39:40]
	v_fma_f64 v[37:38], v[93:94], v[53:54], v[37:38]
	v_fma_f64 v[29:30], -v[49:50], v[53:54], v[29:30]
	v_fma_f64 v[35:36], v[95:96], v[53:54], v[35:36]
	s_wait_loadcnt 0x5
	v_cvt_f64_f32_e32 v[41:42], v67
	v_cvt_f64_f32_e32 v[43:44], v68
	;; [unrolled: 1-line block ×4, first 2 shown]
	s_wait_loadcnt 0x4
	v_cvt_f64_f32_e32 v[49:50], v71
	v_cvt_f64_f32_e32 v[53:54], v72
	;; [unrolled: 1-line block ×3, first 2 shown]
	s_wait_loadcnt 0x0
	v_cvt_f64_f32_e32 v[69:70], v89
	v_cvt_f64_f32_e32 v[71:72], v90
	v_fma_f64 v[33:34], v[51:52], v[55:56], v[33:34]
	v_fma_f64 v[15:16], v[59:60], v[55:56], v[15:16]
	;; [unrolled: 1-line block ×8, first 2 shown]
	v_cvt_f64_f32_e32 v[55:56], v73
	v_fma_f64 v[33:34], -v[59:60], v[57:58], v[33:34]
	v_fma_f64 v[15:16], v[51:52], v[57:58], v[15:16]
	v_fma_f64 v[27:28], -v[61:62], v[57:58], v[27:28]
	v_fma_f64 v[31:32], v[97:98], v[57:58], v[31:32]
	v_fma_f64 v[39:40], -v[63:64], v[57:58], v[39:40]
	v_fma_f64 v[37:38], v[99:100], v[57:58], v[37:38]
	v_fma_f64 v[29:30], -v[65:66], v[57:58], v[29:30]
	v_fma_f64 v[35:36], v[101:102], v[57:58], v[35:36]
	v_cvt_f64_f32_e32 v[51:52], v83
	v_cvt_f64_f32_e32 v[57:58], v84
	;; [unrolled: 1-line block ×6, first 2 shown]
	v_fma_f64 v[33:34], v[41:42], v[75:76], v[33:34]
	v_fma_f64 v[15:16], v[43:44], v[75:76], v[15:16]
	;; [unrolled: 1-line block ×8, first 2 shown]
	v_fma_f64 v[33:34], -v[43:44], v[77:78], v[33:34]
	v_fma_f64 v[15:16], v[41:42], v[77:78], v[15:16]
	v_fma_f64 v[27:28], -v[47:48], v[77:78], v[27:28]
	v_fma_f64 v[31:32], v[45:46], v[77:78], v[31:32]
	;; [unrolled: 2-line block ×4, first 2 shown]
	v_fma_f64 v[33:34], v[51:52], v[79:80], v[33:34]
	v_fma_f64 v[15:16], v[57:58], v[79:80], v[15:16]
	;; [unrolled: 1-line block ×8, first 2 shown]
	v_fma_f64 v[33:34], -v[57:58], v[81:82], v[33:34]
	v_fma_f64 v[27:28], v[51:52], v[81:82], v[15:16]
	v_fma_f64 v[41:42], -v[61:62], v[81:82], v[41:42]
	v_fma_f64 v[31:32], v[59:60], v[81:82], v[31:32]
	;; [unrolled: 2-line block ×4, first 2 shown]
	s_wait_alu 0xfffe
	s_and_not1_b32 exec_lo, exec_lo, s7
	s_cbranch_execnz .LBB178_29
; %bb.30:
	s_or_b32 exec_lo, exec_lo, s7
.LBB178_31:
	s_wait_alu 0xfffe
	s_or_b32 exec_lo, exec_lo, s6
	s_delay_alu instid0(SALU_CYCLE_1)
	s_mov_b32 s6, exec_lo
	v_cmpx_lt_u64_e32 0x5f, v[9:10]
	s_cbranch_execz .LBB178_35
; %bb.32:
	v_lshlrev_b64_e32 v[9:10], 3, v[19:20]
	s_mov_b32 s7, 0
	s_delay_alu instid0(VALU_DEP_1) | instskip(SKIP_1) | instid1(VALU_DEP_2)
	v_add_co_u32 v9, vcc_lo, s8, v9
	s_wait_alu 0xfffd
	v_add_co_ci_u32_e64 v10, null, s9, v10, vcc_lo
	s_delay_alu instid0(VALU_DEP_2) | instskip(SKIP_1) | instid1(VALU_DEP_2)
	v_add_co_u32 v9, vcc_lo, 0x200, v9
	s_wait_alu 0xfffd
	v_add_co_ci_u32_e64 v10, null, 0, v10, vcc_lo
.LBB178_33:                             ; =>This Inner Loop Header: Depth=1
	global_load_b64 v[15:16], v[9:10], off offset:-512
	s_clause 0x1
	global_load_b128 v[11:14], v[25:26], off
	global_load_b128 v[43:46], v[25:26], off offset:16
	s_clause 0x2
	global_load_b64 v[95:96], v[9:10], off offset:-256
	global_load_b64 v[97:98], v[9:10], off
	global_load_b64 v[99:100], v[9:10], off offset:256
	v_add_co_u32 v9, s2, 0x400, v9
	s_wait_alu 0xf1ff
	v_add_co_ci_u32_e64 v10, null, 0, v10, s2
	s_wait_loadcnt 0x5
	v_sub_co_u32 v15, vcc_lo, v15, v17
	s_wait_alu 0xfffd
	v_sub_co_ci_u32_e64 v16, null, v16, v18, vcc_lo
	s_wait_loadcnt 0x4
	v_cvt_f64_f32_e32 v[101:102], v12
	v_cvt_f64_f32_e32 v[103:104], v13
	;; [unrolled: 1-line block ×3, first 2 shown]
	v_lshlrev_b64_e32 v[15:16], 6, v[15:16]
	s_wait_loadcnt 0x3
	v_cvt_f64_f32_e32 v[107:108], v43
	v_cvt_f64_f32_e32 v[43:44], v44
	s_wait_kmcnt 0x0
	s_delay_alu instid0(VALU_DEP_3)
	v_add_co_u32 v15, vcc_lo, s4, v15
	s_wait_alu 0xfffd
	v_add_co_ci_u32_e64 v16, null, s5, v16, vcc_lo
	global_load_b128 v[47:50], v[15:16], off
	s_clause 0x1
	global_load_b128 v[51:54], v[25:26], off offset:32
	global_load_b128 v[55:58], v[25:26], off offset:48
	global_load_b128 v[59:62], v[15:16], off offset:16
	s_clause 0x1
	global_load_b128 v[63:66], v[25:26], off offset:64
	global_load_b128 v[67:70], v[25:26], off offset:80
	global_load_b128 v[71:74], v[15:16], off offset:32
	;; [unrolled: 4-line block ×3, first 2 shown]
	s_clause 0x1
	global_load_b128 v[87:90], v[25:26], off offset:4096
	global_load_b128 v[91:94], v[25:26], off offset:4112
	v_cvt_f64_f32_e32 v[15:16], v11
	s_wait_loadcnt 0xe
	v_sub_co_u32 v11, vcc_lo, v95, v17
	s_wait_alu 0xfffd
	v_sub_co_ci_u32_e64 v12, null, v96, v18, vcc_lo
	v_cvt_f64_f32_e32 v[95:96], v45
	v_cvt_f64_f32_e32 v[45:46], v46
	s_delay_alu instid0(VALU_DEP_3) | instskip(NEXT) | instid1(VALU_DEP_1)
	v_lshlrev_b64_e32 v[11:12], 6, v[11:12]
	v_add_co_u32 v109, vcc_lo, s4, v11
	s_wait_alu 0xfffd
	s_delay_alu instid0(VALU_DEP_2)
	v_add_co_ci_u32_e64 v110, null, s5, v12, vcc_lo
	global_load_b128 v[11:14], v[109:110], off
	s_wait_loadcnt 0xc
	v_fma_f64 v[111:112], v[15:16], v[47:48], v[33:34]
	v_fma_f64 v[113:114], v[101:102], v[47:48], v[27:28]
	;; [unrolled: 1-line block ×8, first 2 shown]
	s_clause 0x1
	global_load_b128 v[27:30], v[25:26], off offset:4128
	global_load_b128 v[31:34], v[25:26], off offset:4144
	s_wait_loadcnt 0xd
	v_cvt_f64_f32_e32 v[47:48], v51
	v_cvt_f64_f32_e32 v[51:52], v52
	;; [unrolled: 1-line block ×4, first 2 shown]
	s_wait_loadcnt 0xc
	v_cvt_f64_f32_e32 v[121:122], v55
	v_cvt_f64_f32_e32 v[55:56], v56
	;; [unrolled: 1-line block ×4, first 2 shown]
	s_wait_loadcnt 0x9
	v_cvt_f64_f32_e32 v[125:126], v69
	v_cvt_f64_f32_e32 v[69:70], v70
	v_fma_f64 v[101:102], -v[101:102], v[49:50], v[111:112]
	v_fma_f64 v[15:16], v[15:16], v[49:50], v[113:114]
	v_fma_f64 v[41:42], -v[105:106], v[49:50], v[41:42]
	v_fma_f64 v[103:104], v[103:104], v[49:50], v[115:116]
	;; [unrolled: 2-line block ×4, first 2 shown]
	global_load_b128 v[35:38], v[109:110], off offset:16
	v_cvt_f64_f32_e32 v[113:114], v63
	v_cvt_f64_f32_e32 v[63:64], v64
	;; [unrolled: 1-line block ×6, first 2 shown]
	v_fma_f64 v[95:96], v[47:48], v[59:60], v[101:102]
	v_fma_f64 v[15:16], v[51:52], v[59:60], v[15:16]
	;; [unrolled: 1-line block ×8, first 2 shown]
	s_clause 0x1
	global_load_b128 v[39:42], v[25:26], off offset:4160
	global_load_b128 v[43:46], v[25:26], off offset:4176
	v_fma_f64 v[59:60], -v[51:52], v[61:62], v[95:96]
	v_fma_f64 v[15:16], v[47:48], v[61:62], v[15:16]
	v_fma_f64 v[95:96], -v[53:54], v[61:62], v[101:102]
	v_fma_f64 v[101:102], v[119:120], v[61:62], v[103:104]
	;; [unrolled: 2-line block ×4, first 2 shown]
	s_clause 0x1
	global_load_b128 v[47:50], v[109:110], off offset:32
	global_load_b128 v[51:54], v[109:110], off offset:48
	s_wait_loadcnt 0xc
	v_cvt_f64_f32_e32 v[111:112], v75
	v_cvt_f64_f32_e32 v[75:76], v76
	;; [unrolled: 1-line block ×4, first 2 shown]
	s_wait_loadcnt 0xb
	v_cvt_f64_f32_e32 v[121:122], v79
	v_cvt_f64_f32_e32 v[79:80], v80
	;; [unrolled: 1-line block ×4, first 2 shown]
	v_fma_f64 v[105:106], v[113:114], v[71:72], v[59:60]
	v_fma_f64 v[15:16], v[63:64], v[71:72], v[15:16]
	v_fma_f64 v[95:96], v[115:116], v[71:72], v[95:96]
	v_fma_f64 v[101:102], v[65:66], v[71:72], v[101:102]
	v_fma_f64 v[107:108], v[117:118], v[71:72], v[55:56]
	v_fma_f64 v[103:104], v[67:68], v[71:72], v[103:104]
	v_fma_f64 v[109:110], v[125:126], v[71:72], v[57:58]
	v_fma_f64 v[71:72], v[69:70], v[71:72], v[61:62]
	s_clause 0x1
	global_load_b128 v[55:58], v[25:26], off offset:4192
	global_load_b128 v[59:62], v[25:26], off offset:4208
	v_fma_f64 v[63:64], -v[63:64], v[73:74], v[105:106]
	v_fma_f64 v[15:16], v[113:114], v[73:74], v[15:16]
	v_fma_f64 v[65:66], -v[65:66], v[73:74], v[95:96]
	v_fma_f64 v[95:96], v[115:116], v[73:74], v[101:102]
	;; [unrolled: 2-line block ×4, first 2 shown]
	s_wait_loadcnt 0xb
	v_cvt_f64_f32_e32 v[109:110], v87
	v_cvt_f64_f32_e32 v[87:88], v88
	;; [unrolled: 1-line block ×4, first 2 shown]
	s_wait_loadcnt 0xa
	v_cvt_f64_f32_e32 v[115:116], v91
	v_cvt_f64_f32_e32 v[91:92], v92
	;; [unrolled: 1-line block ×4, first 2 shown]
	v_fma_f64 v[73:74], v[111:112], v[83:84], v[63:64]
	v_fma_f64 v[15:16], v[75:76], v[83:84], v[15:16]
	;; [unrolled: 1-line block ×8, first 2 shown]
	s_clause 0x1
	global_load_b128 v[63:66], v[25:26], off offset:8192
	global_load_b128 v[67:70], v[25:26], off offset:8208
	v_sub_co_u32 v83, vcc_lo, v97, v17
	s_wait_alu 0xfffd
	v_sub_co_ci_u32_e64 v84, null, v98, v18, vcc_lo
	v_fma_f64 v[125:126], -v[75:76], v[85:86], v[73:74]
	v_fma_f64 v[15:16], v[111:112], v[85:86], v[15:16]
	v_fma_f64 v[103:104], -v[77:78], v[85:86], v[103:104]
	v_fma_f64 v[95:96], v[119:120], v[85:86], v[95:96]
	;; [unrolled: 2-line block ×4, first 2 shown]
	v_lshlrev_b64_e32 v[71:72], 6, v[83:84]
	s_delay_alu instid0(VALU_DEP_1) | instskip(SKIP_1) | instid1(VALU_DEP_2)
	v_add_co_u32 v97, vcc_lo, s4, v71
	s_wait_alu 0xfffd
	v_add_co_ci_u32_e64 v98, null, s5, v72, vcc_lo
	s_clause 0x1
	global_load_b128 v[71:74], v[97:98], off
	global_load_b128 v[75:78], v[97:98], off offset:16
	s_wait_loadcnt 0xd
	v_fma_f64 v[105:106], v[109:110], v[11:12], v[125:126]
	v_fma_f64 v[15:16], v[87:88], v[11:12], v[15:16]
	;; [unrolled: 1-line block ×8, first 2 shown]
	s_clause 0x1
	global_load_b128 v[79:82], v[25:26], off offset:8224
	global_load_b128 v[83:86], v[25:26], off offset:8240
	s_wait_loadcnt 0xe
	v_cvt_f64_f32_e32 v[119:120], v27
	v_cvt_f64_f32_e32 v[121:122], v28
	;; [unrolled: 1-line block ×4, first 2 shown]
	s_wait_loadcnt 0xd
	v_cvt_f64_f32_e32 v[127:128], v31
	v_cvt_f64_f32_e32 v[31:32], v32
	;; [unrolled: 1-line block ×4, first 2 shown]
	v_fma_f64 v[27:28], -v[87:88], v[13:14], v[105:106]
	v_fma_f64 v[15:16], v[109:110], v[13:14], v[15:16]
	v_fma_f64 v[29:30], -v[89:90], v[13:14], v[103:104]
	v_fma_f64 v[87:88], v[113:114], v[13:14], v[95:96]
	;; [unrolled: 2-line block ×4, first 2 shown]
	s_wait_loadcnt 0xc
	v_fma_f64 v[95:96], v[119:120], v[35:36], v[27:28]
	v_fma_f64 v[15:16], v[121:122], v[35:36], v[15:16]
	;; [unrolled: 1-line block ×8, first 2 shown]
	s_clause 0x1
	global_load_b128 v[11:14], v[25:26], off offset:8256
	global_load_b128 v[27:30], v[25:26], off offset:8272
	s_wait_loadcnt 0xd
	v_cvt_f64_f32_e32 v[103:104], v39
	v_cvt_f64_f32_e32 v[105:106], v40
	;; [unrolled: 1-line block ×4, first 2 shown]
	s_wait_loadcnt 0xc
	v_cvt_f64_f32_e32 v[111:112], v43
	v_cvt_f64_f32_e32 v[43:44], v44
	;; [unrolled: 1-line block ×4, first 2 shown]
	v_fma_f64 v[39:40], -v[121:122], v[37:38], v[95:96]
	v_fma_f64 v[15:16], v[119:120], v[37:38], v[15:16]
	v_fma_f64 v[41:42], -v[125:126], v[37:38], v[101:102]
	v_fma_f64 v[87:88], v[123:124], v[37:38], v[87:88]
	;; [unrolled: 2-line block ×4, first 2 shown]
	global_load_b128 v[31:34], v[97:98], off offset:32
	s_wait_loadcnt 0xc
	v_fma_f64 v[95:96], v[103:104], v[47:48], v[39:40]
	v_fma_f64 v[15:16], v[105:106], v[47:48], v[15:16]
	;; [unrolled: 1-line block ×8, first 2 shown]
	s_clause 0x1
	global_load_b128 v[35:38], v[25:26], off offset:8288
	global_load_b128 v[39:42], v[25:26], off offset:8304
	s_wait_loadcnt 0xc
	v_cvt_f64_f32_e32 v[115:116], v55
	v_cvt_f64_f32_e32 v[117:118], v56
	;; [unrolled: 1-line block ×4, first 2 shown]
	s_wait_loadcnt 0xb
	v_cvt_f64_f32_e32 v[123:124], v59
	v_cvt_f64_f32_e32 v[59:60], v60
	;; [unrolled: 1-line block ×4, first 2 shown]
	v_fma_f64 v[55:56], -v[105:106], v[49:50], v[95:96]
	v_fma_f64 v[15:16], v[103:104], v[49:50], v[15:16]
	v_fma_f64 v[57:58], -v[109:110], v[49:50], v[101:102]
	v_fma_f64 v[87:88], v[107:108], v[49:50], v[87:88]
	;; [unrolled: 2-line block ×4, first 2 shown]
	global_load_b128 v[43:46], v[97:98], off offset:48
	v_fma_f64 v[95:96], v[115:116], v[51:52], v[55:56]
	v_fma_f64 v[15:16], v[117:118], v[51:52], v[15:16]
	;; [unrolled: 1-line block ×8, first 2 shown]
	s_clause 0x1
	global_load_b128 v[47:50], v[25:26], off offset:12288
	global_load_b128 v[55:58], v[25:26], off offset:12304
	s_wait_loadcnt 0xd
	v_cvt_f64_f32_e32 v[101:102], v63
	v_cvt_f64_f32_e32 v[103:104], v64
	;; [unrolled: 1-line block ×4, first 2 shown]
	s_wait_loadcnt 0xc
	v_cvt_f64_f32_e32 v[109:110], v67
	v_cvt_f64_f32_e32 v[67:68], v68
	;; [unrolled: 1-line block ×4, first 2 shown]
	v_sub_co_u32 v63, vcc_lo, v99, v17
	s_wait_alu 0xfffd
	v_sub_co_ci_u32_e64 v64, null, v100, v18, vcc_lo
	v_fma_f64 v[65:66], -v[117:118], v[53:54], v[95:96]
	v_fma_f64 v[15:16], v[115:116], v[53:54], v[15:16]
	v_fma_f64 v[95:96], -v[121:122], v[53:54], v[97:98]
	v_fma_f64 v[87:88], v[119:120], v[53:54], v[87:88]
	;; [unrolled: 2-line block ×4, first 2 shown]
	v_lshlrev_b64_e32 v[51:52], 6, v[63:64]
	s_delay_alu instid0(VALU_DEP_1) | instskip(SKIP_1) | instid1(VALU_DEP_2)
	v_add_co_u32 v93, vcc_lo, s4, v51
	s_wait_alu 0xfffd
	v_add_co_ci_u32_e64 v94, null, s5, v52, vcc_lo
	v_add_co_u32 v19, vcc_lo, 0x80, v19
	s_wait_alu 0xfffd
	v_add_co_ci_u32_e64 v20, null, 0, v20, vcc_lo
	global_load_b128 v[51:54], v[93:94], off
	s_wait_loadcnt 0xc
	v_fma_f64 v[97:98], v[101:102], v[71:72], v[65:66]
	v_fma_f64 v[15:16], v[103:104], v[71:72], v[15:16]
	;; [unrolled: 1-line block ×8, first 2 shown]
	s_clause 0x1
	global_load_b128 v[59:62], v[25:26], off offset:12320
	global_load_b128 v[63:66], v[25:26], off offset:12336
	s_wait_loadcnt 0xc
	v_cvt_f64_f32_e32 v[91:92], v79
	v_cvt_f64_f32_e32 v[115:116], v80
	;; [unrolled: 1-line block ×4, first 2 shown]
	s_wait_loadcnt 0xb
	v_cvt_f64_f32_e32 v[121:122], v83
	v_cvt_f64_f32_e32 v[83:84], v84
	;; [unrolled: 1-line block ×4, first 2 shown]
	v_fma_f64 v[79:80], -v[103:104], v[73:74], v[97:98]
	v_fma_f64 v[15:16], v[101:102], v[73:74], v[15:16]
	v_fma_f64 v[81:82], -v[107:108], v[73:74], v[95:96]
	v_fma_f64 v[87:88], v[105:106], v[73:74], v[87:88]
	;; [unrolled: 2-line block ×4, first 2 shown]
	global_load_b128 v[67:70], v[93:94], off offset:16
	v_fma_f64 v[99:100], v[91:92], v[75:76], v[79:80]
	v_fma_f64 v[15:16], v[115:116], v[75:76], v[15:16]
	;; [unrolled: 1-line block ×8, first 2 shown]
	s_clause 0x1
	global_load_b128 v[71:74], v[25:26], off offset:12352
	global_load_b128 v[79:82], v[25:26], off offset:12368
	s_wait_loadcnt 0xd
	v_cvt_f64_f32_e32 v[103:104], v11
	v_cvt_f64_f32_e32 v[105:106], v12
	;; [unrolled: 1-line block ×4, first 2 shown]
	s_wait_loadcnt 0xc
	v_cvt_f64_f32_e32 v[111:112], v27
	v_cvt_f64_f32_e32 v[113:114], v28
	;; [unrolled: 1-line block ×4, first 2 shown]
	global_load_b128 v[11:14], v[93:94], off offset:32
	v_fma_f64 v[27:28], -v[115:116], v[77:78], v[99:100]
	v_fma_f64 v[15:16], v[91:92], v[77:78], v[15:16]
	v_fma_f64 v[29:30], -v[119:120], v[77:78], v[101:102]
	v_fma_f64 v[87:88], v[117:118], v[77:78], v[87:88]
	;; [unrolled: 2-line block ×4, first 2 shown]
	s_wait_loadcnt 0xc
	v_fma_f64 v[91:92], v[103:104], v[31:32], v[27:28]
	v_fma_f64 v[15:16], v[105:106], v[31:32], v[15:16]
	;; [unrolled: 1-line block ×8, first 2 shown]
	s_clause 0x1
	global_load_b128 v[27:30], v[25:26], off offset:12384
	global_load_b128 v[75:78], v[25:26], off offset:12400
	v_add_co_u32 v25, vcc_lo, 0x4000, v25
	s_wait_alu 0xfffd
	v_add_co_ci_u32_e64 v26, null, 0, v26, vcc_lo
	v_cmp_ge_i64_e32 vcc_lo, v[19:20], v[23:24]
	s_wait_alu 0xfffe
	s_or_b32 s7, vcc_lo, s7
	s_wait_loadcnt 0xd
	v_cvt_f64_f32_e32 v[97:98], v35
	v_cvt_f64_f32_e32 v[99:100], v36
	;; [unrolled: 1-line block ×4, first 2 shown]
	s_wait_loadcnt 0xc
	v_cvt_f64_f32_e32 v[115:116], v39
	v_cvt_f64_f32_e32 v[39:40], v40
	;; [unrolled: 1-line block ×4, first 2 shown]
	v_fma_f64 v[91:92], -v[105:106], v[33:34], v[91:92]
	v_fma_f64 v[15:16], v[103:104], v[33:34], v[15:16]
	v_fma_f64 v[95:96], -v[109:110], v[33:34], v[95:96]
	v_fma_f64 v[87:88], v[107:108], v[33:34], v[87:88]
	v_fma_f64 v[83:84], -v[113:114], v[33:34], v[83:84]
	v_fma_f64 v[89:90], v[111:112], v[33:34], v[89:90]
	v_fma_f64 v[85:86], -v[127:128], v[33:34], v[85:86]
	v_fma_f64 v[31:32], v[125:126], v[33:34], v[31:32]
	global_load_b128 v[33:36], v[93:94], off offset:48
	s_wait_loadcnt 0xc
	v_fma_f64 v[91:92], v[97:98], v[43:44], v[91:92]
	v_fma_f64 v[15:16], v[99:100], v[43:44], v[15:16]
	v_fma_f64 v[93:94], v[101:102], v[43:44], v[95:96]
	v_fma_f64 v[87:88], v[37:38], v[43:44], v[87:88]
	v_fma_f64 v[83:84], v[115:116], v[43:44], v[83:84]
	v_fma_f64 v[89:90], v[39:40], v[43:44], v[89:90]
	v_fma_f64 v[85:86], v[117:118], v[43:44], v[85:86]
	v_fma_f64 v[31:32], v[41:42], v[43:44], v[31:32]
	s_wait_loadcnt 0xb
	v_cvt_f64_f32_e32 v[43:44], v47
	v_cvt_f64_f32_e32 v[47:48], v48
	v_cvt_f64_f32_e32 v[95:96], v49
	v_cvt_f64_f32_e32 v[49:50], v50
	s_wait_loadcnt 0xa
	v_cvt_f64_f32_e32 v[103:104], v55
	v_cvt_f64_f32_e32 v[55:56], v56
	v_cvt_f64_f32_e32 v[105:106], v57
	v_cvt_f64_f32_e32 v[57:58], v58
	v_fma_f64 v[91:92], -v[99:100], v[45:46], v[91:92]
	v_fma_f64 v[15:16], v[97:98], v[45:46], v[15:16]
	v_fma_f64 v[37:38], -v[37:38], v[45:46], v[93:94]
	v_fma_f64 v[87:88], v[101:102], v[45:46], v[87:88]
	v_fma_f64 v[39:40], -v[39:40], v[45:46], v[83:84]
	v_fma_f64 v[83:84], v[115:116], v[45:46], v[89:90]
	v_fma_f64 v[41:42], -v[41:42], v[45:46], v[85:86]
	v_fma_f64 v[31:32], v[117:118], v[45:46], v[31:32]
	s_wait_loadcnt 0x9
	v_fma_f64 v[45:46], v[43:44], v[51:52], v[91:92]
	v_fma_f64 v[15:16], v[47:48], v[51:52], v[15:16]
	v_fma_f64 v[37:38], v[95:96], v[51:52], v[37:38]
	v_fma_f64 v[85:86], v[49:50], v[51:52], v[87:88]
	v_fma_f64 v[39:40], v[103:104], v[51:52], v[39:40]
	v_fma_f64 v[83:84], v[55:56], v[51:52], v[83:84]
	v_fma_f64 v[41:42], v[105:106], v[51:52], v[41:42]
	v_fma_f64 v[31:32], v[57:58], v[51:52], v[31:32]
	s_wait_loadcnt 0x8
	v_cvt_f64_f32_e32 v[51:52], v59
	v_cvt_f64_f32_e32 v[59:60], v60
	v_cvt_f64_f32_e32 v[87:88], v61
	v_cvt_f64_f32_e32 v[61:62], v62
	s_wait_loadcnt 0x7
	v_cvt_f64_f32_e32 v[89:90], v63
	v_cvt_f64_f32_e32 v[63:64], v64
	v_cvt_f64_f32_e32 v[91:92], v65
	v_cvt_f64_f32_e32 v[65:66], v66
	v_fma_f64 v[45:46], -v[47:48], v[53:54], v[45:46]
	v_fma_f64 v[15:16], v[43:44], v[53:54], v[15:16]
	v_fma_f64 v[37:38], -v[49:50], v[53:54], v[37:38]
	v_fma_f64 v[43:44], v[95:96], v[53:54], v[85:86]
	v_fma_f64 v[39:40], -v[55:56], v[53:54], v[39:40]
	v_fma_f64 v[47:48], v[103:104], v[53:54], v[83:84]
	v_fma_f64 v[41:42], -v[57:58], v[53:54], v[41:42]
	v_fma_f64 v[31:32], v[105:106], v[53:54], v[31:32]
	s_wait_loadcnt 0x6
	v_fma_f64 v[45:46], v[51:52], v[67:68], v[45:46]
	v_fma_f64 v[15:16], v[59:60], v[67:68], v[15:16]
	v_fma_f64 v[37:38], v[87:88], v[67:68], v[37:38]
	v_fma_f64 v[43:44], v[61:62], v[67:68], v[43:44]
	v_fma_f64 v[39:40], v[89:90], v[67:68], v[39:40]
	v_fma_f64 v[47:48], v[63:64], v[67:68], v[47:48]
	v_fma_f64 v[41:42], v[91:92], v[67:68], v[41:42]
	v_fma_f64 v[31:32], v[65:66], v[67:68], v[31:32]
	s_wait_loadcnt 0x5
	v_cvt_f64_f32_e32 v[49:50], v71
	v_cvt_f64_f32_e32 v[53:54], v72
	v_cvt_f64_f32_e32 v[55:56], v73
	v_cvt_f64_f32_e32 v[57:58], v74
	s_wait_loadcnt 0x4
	v_cvt_f64_f32_e32 v[67:68], v79
	v_cvt_f64_f32_e32 v[71:72], v80
	v_cvt_f64_f32_e32 v[73:74], v81
	v_cvt_f64_f32_e32 v[79:80], v82
	v_fma_f64 v[45:46], -v[59:60], v[69:70], v[45:46]
	v_fma_f64 v[15:16], v[51:52], v[69:70], v[15:16]
	v_fma_f64 v[37:38], -v[61:62], v[69:70], v[37:38]
	v_fma_f64 v[43:44], v[87:88], v[69:70], v[43:44]
	v_fma_f64 v[39:40], -v[63:64], v[69:70], v[39:40]
	v_fma_f64 v[47:48], v[89:90], v[69:70], v[47:48]
	v_fma_f64 v[41:42], -v[65:66], v[69:70], v[41:42]
	v_fma_f64 v[31:32], v[91:92], v[69:70], v[31:32]
	s_wait_loadcnt 0x3
	v_fma_f64 v[45:46], v[49:50], v[11:12], v[45:46]
	v_fma_f64 v[15:16], v[53:54], v[11:12], v[15:16]
	v_fma_f64 v[37:38], v[55:56], v[11:12], v[37:38]
	v_fma_f64 v[43:44], v[57:58], v[11:12], v[43:44]
	v_fma_f64 v[39:40], v[67:68], v[11:12], v[39:40]
	v_fma_f64 v[47:48], v[71:72], v[11:12], v[47:48]
	v_fma_f64 v[41:42], v[73:74], v[11:12], v[41:42]
	v_fma_f64 v[11:12], v[79:80], v[11:12], v[31:32]
	s_wait_loadcnt 0x2
	v_cvt_f64_f32_e32 v[31:32], v27
	v_cvt_f64_f32_e32 v[27:28], v28
	v_cvt_f64_f32_e32 v[51:52], v29
	v_cvt_f64_f32_e32 v[29:30], v30
	s_wait_loadcnt 0x1
	v_cvt_f64_f32_e32 v[59:60], v75
	v_cvt_f64_f32_e32 v[61:62], v76
	v_cvt_f64_f32_e32 v[63:64], v77
	v_cvt_f64_f32_e32 v[65:66], v78
	v_fma_f64 v[45:46], -v[53:54], v[13:14], v[45:46]
	v_fma_f64 v[15:16], v[49:50], v[13:14], v[15:16]
	v_fma_f64 v[37:38], -v[57:58], v[13:14], v[37:38]
	v_fma_f64 v[43:44], v[55:56], v[13:14], v[43:44]
	v_fma_f64 v[39:40], -v[71:72], v[13:14], v[39:40]
	v_fma_f64 v[47:48], v[67:68], v[13:14], v[47:48]
	v_fma_f64 v[41:42], -v[79:80], v[13:14], v[41:42]
	v_fma_f64 v[11:12], v[73:74], v[13:14], v[11:12]
	s_wait_loadcnt 0x0
	v_fma_f64 v[13:14], v[31:32], v[33:34], v[45:46]
	v_fma_f64 v[15:16], v[27:28], v[33:34], v[15:16]
	v_fma_f64 v[37:38], v[51:52], v[33:34], v[37:38]
	v_fma_f64 v[43:44], v[29:30], v[33:34], v[43:44]
	v_fma_f64 v[39:40], v[59:60], v[33:34], v[39:40]
	v_fma_f64 v[45:46], v[61:62], v[33:34], v[47:48]
	v_fma_f64 v[47:48], v[63:64], v[33:34], v[41:42]
	v_fma_f64 v[11:12], v[65:66], v[33:34], v[11:12]
	v_fma_f64 v[33:34], -v[27:28], v[35:36], v[13:14]
	v_fma_f64 v[27:28], v[31:32], v[35:36], v[15:16]
	v_fma_f64 v[41:42], -v[29:30], v[35:36], v[37:38]
	v_fma_f64 v[31:32], v[51:52], v[35:36], v[43:44]
	;; [unrolled: 2-line block ×4, first 2 shown]
	s_wait_alu 0xfffe
	s_and_not1_b32 exec_lo, exec_lo, s7
	s_cbranch_execnz .LBB178_33
; %bb.34:
	s_or_b32 exec_lo, exec_lo, s7
.LBB178_35:
	s_wait_alu 0xfffe
	s_or_b32 exec_lo, exec_lo, s6
.LBB178_36:
	s_wait_alu 0xfffe
	s_or_b32 exec_lo, exec_lo, s3
.LBB178_37:
	v_mbcnt_lo_u32_b32 v43, -1, 0
	s_delay_alu instid0(VALU_DEP_1) | instskip(NEXT) | instid1(VALU_DEP_1)
	v_xor_b32_e32 v9, 16, v43
	v_cmp_gt_i32_e32 vcc_lo, 32, v9
	s_wait_alu 0xfffd
	v_cndmask_b32_e32 v9, v43, v9, vcc_lo
	s_delay_alu instid0(VALU_DEP_1)
	v_lshlrev_b32_e32 v26, 2, v9
	ds_bpermute_b32 v11, v26, v27
	ds_bpermute_b32 v12, v26, v28
	s_wait_dscnt 0x0
	v_add_f64_e32 v[11:12], v[27:28], v[11:12]
	v_xor_b32_e32 v27, 8, v43
	s_delay_alu instid0(VALU_DEP_1)
	v_cmp_gt_i32_e32 vcc_lo, 32, v27
	s_wait_alu 0xfffd
	v_cndmask_b32_e32 v27, v43, v27, vcc_lo
	ds_bpermute_b32 v9, v26, v33
	ds_bpermute_b32 v10, v26, v34
	;; [unrolled: 1-line block ×14, first 2 shown]
	s_wait_dscnt 0xc
	v_add_f64_e32 v[9:10], v[33:34], v[9:10]
	s_wait_dscnt 0xa
	v_add_f64_e32 v[13:14], v[41:42], v[13:14]
	v_lshlrev_b32_e32 v42, 2, v27
	s_wait_dscnt 0x8
	v_add_f64_e32 v[15:16], v[31:32], v[15:16]
	s_wait_dscnt 0x6
	v_add_f64_e32 v[17:18], v[39:40], v[17:18]
	;; [unrolled: 2-line block ×4, first 2 shown]
	ds_bpermute_b32 v29, v42, v11
	s_wait_dscnt 0x1
	v_add_f64_e32 v[25:26], v[35:36], v[25:26]
	ds_bpermute_b32 v30, v42, v12
	s_wait_dscnt 0x0
	v_add_f64_e32 v[11:12], v[11:12], v[29:30]
	ds_bpermute_b32 v27, v42, v9
	ds_bpermute_b32 v28, v42, v10
	;; [unrolled: 1-line block ×14, first 2 shown]
	s_wait_dscnt 0xc
	v_add_f64_e32 v[9:10], v[9:10], v[27:28]
	v_xor_b32_e32 v27, 4, v43
	s_wait_dscnt 0xa
	v_add_f64_e32 v[13:14], v[13:14], v[31:32]
	s_wait_dscnt 0x8
	v_add_f64_e32 v[15:16], v[15:16], v[33:34]
	;; [unrolled: 2-line block ×3, first 2 shown]
	v_cmp_gt_i32_e32 vcc_lo, 32, v27
	s_wait_dscnt 0x4
	v_add_f64_e32 v[19:20], v[19:20], v[37:38]
	s_wait_dscnt 0x2
	v_add_f64_e32 v[23:24], v[23:24], v[39:40]
	;; [unrolled: 2-line block ×3, first 2 shown]
	s_wait_alu 0xfffd
	v_cndmask_b32_e32 v27, v43, v27, vcc_lo
	s_delay_alu instid0(VALU_DEP_1)
	v_lshlrev_b32_e32 v42, 2, v27
	ds_bpermute_b32 v29, v42, v11
	ds_bpermute_b32 v30, v42, v12
	;; [unrolled: 1-line block ×16, first 2 shown]
	s_wait_dscnt 0xe
	v_add_f64_e32 v[11:12], v[11:12], v[29:30]
	s_wait_dscnt 0xc
	v_add_f64_e32 v[9:10], v[9:10], v[27:28]
	;; [unrolled: 2-line block ×8, first 2 shown]
	v_xor_b32_e32 v25, 2, v43
	s_delay_alu instid0(VALU_DEP_1) | instskip(SKIP_2) | instid1(VALU_DEP_1)
	v_cmp_gt_i32_e32 vcc_lo, 32, v25
	s_wait_alu 0xfffd
	v_cndmask_b32_e32 v25, v43, v25, vcc_lo
	v_lshlrev_b32_e32 v42, 2, v25
	ds_bpermute_b32 v29, v42, v11
	ds_bpermute_b32 v30, v42, v12
	;; [unrolled: 1-line block ×16, first 2 shown]
	s_wait_dscnt 0xe
	v_add_f64_e32 v[29:30], v[11:12], v[29:30]
	s_wait_dscnt 0xc
	v_add_f64_e32 v[9:10], v[9:10], v[25:26]
	;; [unrolled: 2-line block ×7, first 2 shown]
	v_xor_b32_e32 v23, 1, v43
	s_wait_dscnt 0x0
	v_add_f64_e32 v[17:18], v[27:28], v[41:42]
	s_delay_alu instid0(VALU_DEP_2) | instskip(SKIP_3) | instid1(VALU_DEP_2)
	v_cmp_gt_i32_e32 vcc_lo, 32, v23
	s_wait_alu 0xfffd
	v_cndmask_b32_e32 v23, v43, v23, vcc_lo
	v_cmp_eq_u32_e32 vcc_lo, 31, v0
	v_lshlrev_b32_e32 v36, 2, v23
	ds_bpermute_b32 v41, v36, v29
	ds_bpermute_b32 v42, v36, v30
	;; [unrolled: 1-line block ×16, first 2 shown]
	s_and_b32 exec_lo, exec_lo, vcc_lo
	s_cbranch_execz .LBB178_8
; %bb.38:
	s_wait_dscnt 0xe
	v_add_f64_e32 v[29:30], v[29:30], v[41:42]
	s_wait_dscnt 0x8
	v_add_f64_e32 v[25:26], v[25:26], v[39:40]
	;; [unrolled: 2-line block ×4, first 2 shown]
	v_add_f64_e32 v[9:10], v[9:10], v[23:24]
	v_add_f64_e32 v[11:12], v[11:12], v[27:28]
	;; [unrolled: 1-line block ×4, first 2 shown]
	v_cmp_eq_f64_e32 vcc_lo, 0, v[1:2]
	v_cmp_eq_f64_e64 s2, 0, v[3:4]
	s_load_b64 s[0:1], s[0:1], 0x68
	v_lshlrev_b64_e32 v[21:22], 6, v[21:22]
	v_mul_f64_e64 v[13:14], v[29:30], -v[7:8]
	v_mul_f64_e32 v[15:16], v[5:6], v[29:30]
	v_mul_f64_e64 v[29:30], v[25:26], -v[7:8]
	v_mul_f64_e32 v[25:26], v[5:6], v[25:26]
	;; [unrolled: 2-line block ×4, first 2 shown]
	s_and_b32 s2, vcc_lo, s2
	v_fma_f64 v[17:18], v[5:6], v[9:10], v[13:14]
	v_fma_f64 v[19:20], v[7:8], v[9:10], v[15:16]
	v_fma_f64 v[13:14], v[5:6], v[11:12], v[29:30]
	v_fma_f64 v[15:16], v[7:8], v[11:12], v[25:26]
	v_fma_f64 v[9:10], v[5:6], v[23:24], v[31:32]
	v_fma_f64 v[11:12], v[7:8], v[23:24], v[33:34]
	v_fma_f64 v[5:6], v[5:6], v[27:28], v[35:36]
	v_fma_f64 v[7:8], v[7:8], v[27:28], v[37:38]
	s_wait_alu 0xfffe
	s_and_saveexec_b32 s3, s2
	s_wait_alu 0xfffe
	s_xor_b32 s2, exec_lo, s3
	s_cbranch_execz .LBB178_40
; %bb.39:
	s_wait_kmcnt 0x0
	v_add_co_u32 v0, vcc_lo, s0, v21
	s_wait_alu 0xfffd
	v_add_co_ci_u32_e64 v1, null, s1, v22, vcc_lo
                                        ; implicit-def: $vgpr21_vgpr22
	s_clause 0x3
	global_store_b128 v[0:1], v[17:20], off
	global_store_b128 v[0:1], v[13:16], off offset:16
	global_store_b128 v[0:1], v[9:12], off offset:32
	;; [unrolled: 1-line block ×3, first 2 shown]
                                        ; implicit-def: $vgpr3_vgpr4
                                        ; implicit-def: $vgpr17_vgpr18
                                        ; implicit-def: $vgpr13_vgpr14
                                        ; implicit-def: $vgpr9_vgpr10
                                        ; implicit-def: $vgpr5_vgpr6
.LBB178_40:
	s_wait_alu 0xfffe
	s_and_not1_saveexec_b32 s2, s2
	s_cbranch_execz .LBB178_8
; %bb.41:
	s_wait_kmcnt 0x0
	v_add_co_u32 v37, vcc_lo, s0, v21
	s_wait_alu 0xfffd
	v_add_co_ci_u32_e64 v38, null, s1, v22, vcc_lo
	s_clause 0x3
	global_load_b128 v[21:24], v[37:38], off
	global_load_b128 v[25:28], v[37:38], off offset:16
	global_load_b128 v[29:32], v[37:38], off offset:32
	;; [unrolled: 1-line block ×3, first 2 shown]
	s_wait_loadcnt 0x3
	v_fma_f64 v[17:18], v[1:2], v[21:22], v[17:18]
	v_fma_f64 v[19:20], v[3:4], v[21:22], v[19:20]
	s_wait_loadcnt 0x2
	v_fma_f64 v[13:14], v[1:2], v[25:26], v[13:14]
	v_fma_f64 v[15:16], v[3:4], v[25:26], v[15:16]
	;; [unrolled: 3-line block ×4, first 2 shown]
	v_fma_f64 v[5:6], -v[3:4], v[23:24], v[17:18]
	v_fma_f64 v[7:8], v[1:2], v[23:24], v[19:20]
	v_fma_f64 v[9:10], -v[3:4], v[27:28], v[13:14]
	v_fma_f64 v[11:12], v[1:2], v[27:28], v[15:16]
	;; [unrolled: 2-line block ×4, first 2 shown]
	s_clause 0x3
	global_store_b128 v[37:38], v[5:8], off
	global_store_b128 v[37:38], v[9:12], off offset:16
	global_store_b128 v[37:38], v[13:16], off offset:32
	;; [unrolled: 1-line block ×3, first 2 shown]
	s_nop 0
	s_sendmsg sendmsg(MSG_DEALLOC_VGPRS)
	s_endpgm
	.section	.rodata,"a",@progbits
	.p2align	6, 0x0
	.amdhsa_kernel _ZN9rocsparseL18bsrxmvn_4x4_kernelILj128ELj32E21rocsparse_complex_numIdEllS1_IfES2_S2_EEvT3_20rocsparse_direction_NS_24const_host_device_scalarIT1_EES4_PKS4_PKT2_SD_SA_PKT4_PKT5_S8_PT6_21rocsparse_index_base_b
		.amdhsa_group_segment_fixed_size 0
		.amdhsa_private_segment_fixed_size 0
		.amdhsa_kernarg_size 120
		.amdhsa_user_sgpr_count 2
		.amdhsa_user_sgpr_dispatch_ptr 0
		.amdhsa_user_sgpr_queue_ptr 0
		.amdhsa_user_sgpr_kernarg_segment_ptr 1
		.amdhsa_user_sgpr_dispatch_id 0
		.amdhsa_user_sgpr_private_segment_size 0
		.amdhsa_wavefront_size32 1
		.amdhsa_uses_dynamic_stack 0
		.amdhsa_enable_private_segment 0
		.amdhsa_system_sgpr_workgroup_id_x 1
		.amdhsa_system_sgpr_workgroup_id_y 0
		.amdhsa_system_sgpr_workgroup_id_z 0
		.amdhsa_system_sgpr_workgroup_info 0
		.amdhsa_system_vgpr_workitem_id 0
		.amdhsa_next_free_vgpr 139
		.amdhsa_next_free_sgpr 12
		.amdhsa_reserve_vcc 1
		.amdhsa_float_round_mode_32 0
		.amdhsa_float_round_mode_16_64 0
		.amdhsa_float_denorm_mode_32 3
		.amdhsa_float_denorm_mode_16_64 3
		.amdhsa_fp16_overflow 0
		.amdhsa_workgroup_processor_mode 1
		.amdhsa_memory_ordered 1
		.amdhsa_forward_progress 1
		.amdhsa_inst_pref_size 102
		.amdhsa_round_robin_scheduling 0
		.amdhsa_exception_fp_ieee_invalid_op 0
		.amdhsa_exception_fp_denorm_src 0
		.amdhsa_exception_fp_ieee_div_zero 0
		.amdhsa_exception_fp_ieee_overflow 0
		.amdhsa_exception_fp_ieee_underflow 0
		.amdhsa_exception_fp_ieee_inexact 0
		.amdhsa_exception_int_div_zero 0
	.end_amdhsa_kernel
	.section	.text._ZN9rocsparseL18bsrxmvn_4x4_kernelILj128ELj32E21rocsparse_complex_numIdEllS1_IfES2_S2_EEvT3_20rocsparse_direction_NS_24const_host_device_scalarIT1_EES4_PKS4_PKT2_SD_SA_PKT4_PKT5_S8_PT6_21rocsparse_index_base_b,"axG",@progbits,_ZN9rocsparseL18bsrxmvn_4x4_kernelILj128ELj32E21rocsparse_complex_numIdEllS1_IfES2_S2_EEvT3_20rocsparse_direction_NS_24const_host_device_scalarIT1_EES4_PKS4_PKT2_SD_SA_PKT4_PKT5_S8_PT6_21rocsparse_index_base_b,comdat
.Lfunc_end178:
	.size	_ZN9rocsparseL18bsrxmvn_4x4_kernelILj128ELj32E21rocsparse_complex_numIdEllS1_IfES2_S2_EEvT3_20rocsparse_direction_NS_24const_host_device_scalarIT1_EES4_PKS4_PKT2_SD_SA_PKT4_PKT5_S8_PT6_21rocsparse_index_base_b, .Lfunc_end178-_ZN9rocsparseL18bsrxmvn_4x4_kernelILj128ELj32E21rocsparse_complex_numIdEllS1_IfES2_S2_EEvT3_20rocsparse_direction_NS_24const_host_device_scalarIT1_EES4_PKS4_PKT2_SD_SA_PKT4_PKT5_S8_PT6_21rocsparse_index_base_b
                                        ; -- End function
	.set _ZN9rocsparseL18bsrxmvn_4x4_kernelILj128ELj32E21rocsparse_complex_numIdEllS1_IfES2_S2_EEvT3_20rocsparse_direction_NS_24const_host_device_scalarIT1_EES4_PKS4_PKT2_SD_SA_PKT4_PKT5_S8_PT6_21rocsparse_index_base_b.num_vgpr, 139
	.set _ZN9rocsparseL18bsrxmvn_4x4_kernelILj128ELj32E21rocsparse_complex_numIdEllS1_IfES2_S2_EEvT3_20rocsparse_direction_NS_24const_host_device_scalarIT1_EES4_PKS4_PKT2_SD_SA_PKT4_PKT5_S8_PT6_21rocsparse_index_base_b.num_agpr, 0
	.set _ZN9rocsparseL18bsrxmvn_4x4_kernelILj128ELj32E21rocsparse_complex_numIdEllS1_IfES2_S2_EEvT3_20rocsparse_direction_NS_24const_host_device_scalarIT1_EES4_PKS4_PKT2_SD_SA_PKT4_PKT5_S8_PT6_21rocsparse_index_base_b.numbered_sgpr, 12
	.set _ZN9rocsparseL18bsrxmvn_4x4_kernelILj128ELj32E21rocsparse_complex_numIdEllS1_IfES2_S2_EEvT3_20rocsparse_direction_NS_24const_host_device_scalarIT1_EES4_PKS4_PKT2_SD_SA_PKT4_PKT5_S8_PT6_21rocsparse_index_base_b.num_named_barrier, 0
	.set _ZN9rocsparseL18bsrxmvn_4x4_kernelILj128ELj32E21rocsparse_complex_numIdEllS1_IfES2_S2_EEvT3_20rocsparse_direction_NS_24const_host_device_scalarIT1_EES4_PKS4_PKT2_SD_SA_PKT4_PKT5_S8_PT6_21rocsparse_index_base_b.private_seg_size, 0
	.set _ZN9rocsparseL18bsrxmvn_4x4_kernelILj128ELj32E21rocsparse_complex_numIdEllS1_IfES2_S2_EEvT3_20rocsparse_direction_NS_24const_host_device_scalarIT1_EES4_PKS4_PKT2_SD_SA_PKT4_PKT5_S8_PT6_21rocsparse_index_base_b.uses_vcc, 1
	.set _ZN9rocsparseL18bsrxmvn_4x4_kernelILj128ELj32E21rocsparse_complex_numIdEllS1_IfES2_S2_EEvT3_20rocsparse_direction_NS_24const_host_device_scalarIT1_EES4_PKS4_PKT2_SD_SA_PKT4_PKT5_S8_PT6_21rocsparse_index_base_b.uses_flat_scratch, 0
	.set _ZN9rocsparseL18bsrxmvn_4x4_kernelILj128ELj32E21rocsparse_complex_numIdEllS1_IfES2_S2_EEvT3_20rocsparse_direction_NS_24const_host_device_scalarIT1_EES4_PKS4_PKT2_SD_SA_PKT4_PKT5_S8_PT6_21rocsparse_index_base_b.has_dyn_sized_stack, 0
	.set _ZN9rocsparseL18bsrxmvn_4x4_kernelILj128ELj32E21rocsparse_complex_numIdEllS1_IfES2_S2_EEvT3_20rocsparse_direction_NS_24const_host_device_scalarIT1_EES4_PKS4_PKT2_SD_SA_PKT4_PKT5_S8_PT6_21rocsparse_index_base_b.has_recursion, 0
	.set _ZN9rocsparseL18bsrxmvn_4x4_kernelILj128ELj32E21rocsparse_complex_numIdEllS1_IfES2_S2_EEvT3_20rocsparse_direction_NS_24const_host_device_scalarIT1_EES4_PKS4_PKT2_SD_SA_PKT4_PKT5_S8_PT6_21rocsparse_index_base_b.has_indirect_call, 0
	.section	.AMDGPU.csdata,"",@progbits
; Kernel info:
; codeLenInByte = 12948
; TotalNumSgprs: 14
; NumVgprs: 139
; ScratchSize: 0
; MemoryBound: 0
; FloatMode: 240
; IeeeMode: 1
; LDSByteSize: 0 bytes/workgroup (compile time only)
; SGPRBlocks: 0
; VGPRBlocks: 17
; NumSGPRsForWavesPerEU: 14
; NumVGPRsForWavesPerEU: 139
; Occupancy: 10
; WaveLimiterHint : 1
; COMPUTE_PGM_RSRC2:SCRATCH_EN: 0
; COMPUTE_PGM_RSRC2:USER_SGPR: 2
; COMPUTE_PGM_RSRC2:TRAP_HANDLER: 0
; COMPUTE_PGM_RSRC2:TGID_X_EN: 1
; COMPUTE_PGM_RSRC2:TGID_Y_EN: 0
; COMPUTE_PGM_RSRC2:TGID_Z_EN: 0
; COMPUTE_PGM_RSRC2:TIDIG_COMP_CNT: 0
	.section	.text._ZN9rocsparseL18bsrxmvn_4x4_kernelILj128ELj64E21rocsparse_complex_numIdEllS1_IfES2_S2_EEvT3_20rocsparse_direction_NS_24const_host_device_scalarIT1_EES4_PKS4_PKT2_SD_SA_PKT4_PKT5_S8_PT6_21rocsparse_index_base_b,"axG",@progbits,_ZN9rocsparseL18bsrxmvn_4x4_kernelILj128ELj64E21rocsparse_complex_numIdEllS1_IfES2_S2_EEvT3_20rocsparse_direction_NS_24const_host_device_scalarIT1_EES4_PKS4_PKT2_SD_SA_PKT4_PKT5_S8_PT6_21rocsparse_index_base_b,comdat
	.globl	_ZN9rocsparseL18bsrxmvn_4x4_kernelILj128ELj64E21rocsparse_complex_numIdEllS1_IfES2_S2_EEvT3_20rocsparse_direction_NS_24const_host_device_scalarIT1_EES4_PKS4_PKT2_SD_SA_PKT4_PKT5_S8_PT6_21rocsparse_index_base_b ; -- Begin function _ZN9rocsparseL18bsrxmvn_4x4_kernelILj128ELj64E21rocsparse_complex_numIdEllS1_IfES2_S2_EEvT3_20rocsparse_direction_NS_24const_host_device_scalarIT1_EES4_PKS4_PKT2_SD_SA_PKT4_PKT5_S8_PT6_21rocsparse_index_base_b
	.p2align	8
	.type	_ZN9rocsparseL18bsrxmvn_4x4_kernelILj128ELj64E21rocsparse_complex_numIdEllS1_IfES2_S2_EEvT3_20rocsparse_direction_NS_24const_host_device_scalarIT1_EES4_PKS4_PKT2_SD_SA_PKT4_PKT5_S8_PT6_21rocsparse_index_base_b,@function
_ZN9rocsparseL18bsrxmvn_4x4_kernelILj128ELj64E21rocsparse_complex_numIdEllS1_IfES2_S2_EEvT3_20rocsparse_direction_NS_24const_host_device_scalarIT1_EES4_PKS4_PKT2_SD_SA_PKT4_PKT5_S8_PT6_21rocsparse_index_base_b: ; @_ZN9rocsparseL18bsrxmvn_4x4_kernelILj128ELj64E21rocsparse_complex_numIdEllS1_IfES2_S2_EEvT3_20rocsparse_direction_NS_24const_host_device_scalarIT1_EES4_PKS4_PKT2_SD_SA_PKT4_PKT5_S8_PT6_21rocsparse_index_base_b
; %bb.0:
	s_clause 0x1
	s_load_b64 s[4:5], s[0:1], 0x70
	s_load_b64 s[2:3], s[0:1], 0x10
	s_add_nc_u64 s[6:7], s[0:1], 16
	s_load_b64 s[8:9], s[0:1], 0x58
	s_wait_kmcnt 0x0
	s_bitcmp1_b32 s5, 0
	s_cselect_b32 s2, s6, s2
	s_cselect_b32 s3, s7, s3
	s_delay_alu instid0(SALU_CYCLE_1)
	v_dual_mov_b32 v1, s2 :: v_dual_mov_b32 v2, s3
	s_add_nc_u64 s[2:3], s[0:1], 0x58
	s_wait_alu 0xfffe
	s_cselect_b32 s2, s2, s8
	s_cselect_b32 s3, s3, s9
	flat_load_b128 v[5:8], v[1:2]
	s_wait_alu 0xfffe
	v_dual_mov_b32 v1, s2 :: v_dual_mov_b32 v2, s3
	flat_load_b128 v[1:4], v[1:2]
	s_wait_loadcnt_dscnt 0x101
	v_cmp_eq_f64_e32 vcc_lo, 0, v[5:6]
	v_cmp_eq_f64_e64 s2, 0, v[7:8]
	s_and_b32 s5, vcc_lo, s2
	s_mov_b32 s2, -1
	s_and_saveexec_b32 s3, s5
	s_cbranch_execz .LBB179_2
; %bb.1:
	s_wait_loadcnt_dscnt 0x0
	v_cmp_neq_f64_e32 vcc_lo, 1.0, v[1:2]
	v_cmp_neq_f64_e64 s2, 0, v[3:4]
	s_wait_alu 0xfffe
	s_or_b32 s2, vcc_lo, s2
	s_wait_alu 0xfffe
	s_or_not1_b32 s2, s2, exec_lo
.LBB179_2:
	s_wait_alu 0xfffe
	s_or_b32 exec_lo, exec_lo, s3
	s_and_saveexec_b32 s3, s2
	s_cbranch_execz .LBB179_8
; %bb.3:
	s_load_b64 s[2:3], s[0:1], 0x28
	v_lshrrev_b32_e32 v9, 6, v0
	v_mov_b32_e32 v10, 0
	s_delay_alu instid0(VALU_DEP_2)
	v_lshl_or_b32 v9, ttmp9, 1, v9
	s_wait_kmcnt 0x0
	s_cmp_lg_u64 s[2:3], 0
	s_cbranch_scc0 .LBB179_9
; %bb.4:
	s_load_b64 s[6:7], s[0:1], 0x20
                                        ; implicit-def: $vgpr21_vgpr22
                                        ; implicit-def: $vgpr17_vgpr18
	s_wait_kmcnt 0x0
	v_cmp_gt_i64_e32 vcc_lo, s[6:7], v[9:10]
	s_mov_b32 s7, 0
	s_mov_b32 s6, 0
	s_and_saveexec_b32 s5, vcc_lo
	s_delay_alu instid0(SALU_CYCLE_1)
	s_xor_b32 s8, exec_lo, s5
	s_cbranch_execz .LBB179_6
; %bb.5:
	v_lshlrev_b64_e32 v[11:12], 3, v[9:10]
	s_mov_b32 s5, 0
	s_mov_b32 s6, exec_lo
	v_dual_mov_b32 v18, s5 :: v_dual_mov_b32 v17, s4
	s_delay_alu instid0(VALU_DEP_2) | instskip(NEXT) | instid1(VALU_DEP_1)
	v_add_co_u32 v11, vcc_lo, s2, v11
	v_add_co_ci_u32_e64 v12, null, s3, v12, vcc_lo
	global_load_b64 v[11:12], v[11:12], off
	s_wait_loadcnt 0x0
	v_sub_co_u32 v21, vcc_lo, v11, s4
	s_wait_alu 0xfffd
	v_subrev_co_ci_u32_e64 v22, null, 0, v12, vcc_lo
.LBB179_6:
	s_or_b32 exec_lo, exec_lo, s8
	s_wait_alu 0xfffe
	s_and_b32 vcc_lo, exec_lo, s7
	s_wait_alu 0xfffe
	s_cbranch_vccnz .LBB179_10
.LBB179_7:
	s_and_b32 exec_lo, exec_lo, s6
	s_cbranch_execnz .LBB179_13
.LBB179_8:
	s_nop 0
	s_sendmsg sendmsg(MSG_DEALLOC_VGPRS)
	s_endpgm
.LBB179_9:
	s_mov_b32 s6, 0
                                        ; implicit-def: $vgpr21_vgpr22
                                        ; implicit-def: $vgpr17_vgpr18
	s_cbranch_execz .LBB179_7
.LBB179_10:
	s_load_b64 s[2:3], s[0:1], 0x0
	s_wait_kmcnt 0x0
	v_cmp_gt_i64_e32 vcc_lo, s[2:3], v[9:10]
	s_and_saveexec_b32 s2, vcc_lo
; %bb.11:
	s_mov_b32 s5, 0
	s_or_b32 s6, s6, exec_lo
; %bb.12:
	s_wait_alu 0xfffe
	s_or_b32 exec_lo, exec_lo, s2
	v_dual_mov_b32 v18, s5 :: v_dual_mov_b32 v17, s4
	v_dual_mov_b32 v22, v10 :: v_dual_mov_b32 v21, v9
	s_and_b32 exec_lo, exec_lo, s6
	s_cbranch_execz .LBB179_8
.LBB179_13:
	s_load_b256 s[4:11], s[0:1], 0x30
	s_delay_alu instid0(VALU_DEP_1) | instskip(SKIP_3) | instid1(VALU_DEP_2)
	v_lshlrev_b64_e32 v[9:10], 3, v[21:22]
	v_and_b32_e32 v0, 63, v0
	s_load_b32 s3, s[0:1], 0x8
	s_wait_kmcnt 0x0
	v_add_co_u32 v11, vcc_lo, s4, v9
	s_wait_alu 0xfffd
	v_add_co_ci_u32_e64 v12, null, s5, v10, vcc_lo
	v_add_co_u32 v9, vcc_lo, s6, v9
	s_wait_alu 0xfffd
	v_add_co_ci_u32_e64 v10, null, s7, v10, vcc_lo
	;; [unrolled: 3-line block ×3, first 2 shown]
	global_load_b64 v[43:44], v[11:12], off
	s_cmp_eq_u64 s[6:7], 0
	s_load_b64 s[4:5], s[0:1], 0x50
	s_cselect_b32 vcc_lo, -1, 0
	s_cmp_eq_u32 s3, 1
	s_wait_alu 0xfffe
	v_dual_cndmask_b32 v10, v10, v14 :: v_dual_cndmask_b32 v9, v9, v13
	global_load_b64 v[9:10], v[9:10], off
	s_wait_loadcnt 0x1
	v_sub_co_u32 v11, vcc_lo, v43, v17
	s_wait_alu 0xfffd
	v_sub_co_ci_u32_e64 v12, null, v44, v18, vcc_lo
	s_delay_alu instid0(VALU_DEP_2) | instskip(SKIP_1) | instid1(VALU_DEP_2)
	v_add_co_u32 v19, vcc_lo, v11, v0
	s_wait_alu 0xfffd
	v_add_co_ci_u32_e64 v20, null, 0, v12, vcc_lo
	s_wait_loadcnt 0x0
	v_sub_co_u32 v23, vcc_lo, v9, v17
	s_wait_alu 0xfffd
	v_sub_co_ci_u32_e64 v24, null, v10, v18, vcc_lo
	v_lshlrev_b64_e32 v[9:10], 7, v[19:20]
	s_delay_alu instid0(VALU_DEP_2) | instskip(NEXT) | instid1(VALU_DEP_2)
	v_cmp_lt_i64_e64 s2, v[19:20], v[23:24]
	v_add_co_u32 v25, vcc_lo, s10, v9
	s_wait_alu 0xfffd
	s_delay_alu instid0(VALU_DEP_3)
	v_add_co_ci_u32_e64 v26, null, s11, v10, vcc_lo
	s_cbranch_scc1 .LBB179_25
; %bb.14:
	v_mov_b32_e32 v27, 0
	v_mov_b32_e32 v31, 0
	;; [unrolled: 1-line block ×3, first 2 shown]
	v_dual_mov_b32 v35, 0 :: v_dual_mov_b32 v28, 0
	v_dual_mov_b32 v33, 0 :: v_dual_mov_b32 v32, 0
	;; [unrolled: 1-line block ×5, first 2 shown]
	v_mov_b32_e32 v42, 0
	v_mov_b32_e32 v40, 0
	;; [unrolled: 1-line block ×3, first 2 shown]
	s_and_saveexec_b32 s6, s2
	s_cbranch_execz .LBB179_24
; %bb.15:
	v_or_b32_e32 v9, 64, v0
	v_not_b32_e32 v13, v43
	v_dual_mov_b32 v12, 0 :: v_dual_mov_b32 v29, 0
	v_not_b32_e32 v11, v44
	s_delay_alu instid0(VALU_DEP_4) | instskip(SKIP_3) | instid1(VALU_DEP_3)
	v_sub_co_u32 v9, vcc_lo, v9, v17
	s_wait_alu 0xfffd
	v_sub_co_ci_u32_e64 v10, null, 0, v18, vcc_lo
	v_mov_b32_e32 v41, 0
	v_add_co_u32 v9, vcc_lo, v9, v43
	s_wait_alu 0xfffd
	s_delay_alu instid0(VALU_DEP_3) | instskip(SKIP_3) | instid1(VALU_DEP_3)
	v_add_co_ci_u32_e64 v10, null, v10, v44, vcc_lo
	v_sub_co_u32 v14, vcc_lo, v17, v0
	s_wait_alu 0xfffd
	v_subrev_co_ci_u32_e64 v15, null, 0, v18, vcc_lo
	v_cmp_gt_i64_e32 vcc_lo, v[9:10], v[23:24]
	v_mov_b32_e32 v30, 0
	v_add_co_u32 v13, s3, v14, v13
	s_wait_alu 0xf1ff
	v_add_co_ci_u32_e64 v11, null, v15, v11, s3
	s_wait_alu 0xfffd
	v_dual_cndmask_b32 v9, v23, v9 :: v_dual_cndmask_b32 v10, v24, v10
	v_mov_b32_e32 v35, 0
	v_dual_mov_b32 v36, 0 :: v_dual_mov_b32 v39, 0
	s_delay_alu instid0(VALU_DEP_3)
	v_add_co_u32 v9, vcc_lo, v13, v9
	v_dual_mov_b32 v33, 0 :: v_dual_mov_b32 v40, 0
	v_dual_mov_b32 v37, 0 :: v_dual_mov_b32 v42, 0
	v_dual_mov_b32 v31, 0 :: v_dual_mov_b32 v34, 0
	v_dual_mov_b32 v27, 0 :: v_dual_mov_b32 v38, 0
	s_wait_alu 0xfffd
	v_add_co_ci_u32_e64 v10, null, v11, v10, vcc_lo
	v_dual_mov_b32 v32, 0 :: v_dual_and_b32 v11, 0xc0, v9
	v_mov_b32_e32 v28, 0
	v_dual_mov_b32 v48, v26 :: v_dual_mov_b32 v47, v25
	v_dual_mov_b32 v46, v20 :: v_dual_mov_b32 v45, v19
	s_mov_b32 s7, exec_lo
	v_cmpx_ne_u64_e32 0xc0, v[11:12]
	s_cbranch_execz .LBB179_19
; %bb.16:
	v_lshrrev_b32_e32 v13, 6, v9
	v_lshlrev_b64_e32 v[11:12], 3, v[19:20]
	v_dual_mov_b32 v27, 0 :: v_dual_mov_b32 v46, v20
	v_mov_b32_e32 v37, 0
	s_delay_alu instid0(VALU_DEP_4) | instskip(NEXT) | instid1(VALU_DEP_4)
	v_dual_mov_b32 v28, 0 :: v_dual_add_nc_u32 v13, 1, v13
	v_add_co_u32 v11, vcc_lo, s8, v11
	v_mov_b32_e32 v33, 0
	s_delay_alu instid0(VALU_DEP_3) | instskip(SKIP_3) | instid1(VALU_DEP_4)
	v_dual_mov_b32 v38, 0 :: v_dual_and_b32 v13, 3, v13
	v_mov_b32_e32 v31, 0
	v_mov_b32_e32 v41, 0
	;; [unrolled: 1-line block ×3, first 2 shown]
	v_sub_co_u32 v13, s3, 0, v13
	v_dual_mov_b32 v35, 0 :: v_dual_mov_b32 v48, v26
	v_mov_b32_e32 v29, 0
	v_dual_mov_b32 v45, v19 :: v_dual_mov_b32 v34, 0
	v_mov_b32_e32 v32, 0
	s_wait_alu 0xfffd
	v_add_co_ci_u32_e64 v12, null, s9, v12, vcc_lo
	s_wait_alu 0xf1ff
	v_sub_co_ci_u32_e64 v14, null, 0, 0, s3
	v_mov_b32_e32 v42, 0
	v_mov_b32_e32 v40, 0
	;; [unrolled: 1-line block ×3, first 2 shown]
	v_dual_mov_b32 v30, 0 :: v_dual_mov_b32 v47, v25
	s_mov_b32 s10, 0
.LBB179_17:                             ; =>This Inner Loop Header: Depth=1
	global_load_b64 v[15:16], v[11:12], off
	s_clause 0x3
	global_load_b128 v[49:52], v[47:48], off
	global_load_b128 v[53:56], v[47:48], off offset:32
	global_load_b128 v[57:60], v[47:48], off offset:64
	;; [unrolled: 1-line block ×3, first 2 shown]
	v_add_co_u32 v11, s3, 0x200, v11
	s_wait_alu 0xf1ff
	v_add_co_ci_u32_e64 v12, null, 0, v12, s3
	s_wait_loadcnt 0x4
	v_sub_co_u32 v15, vcc_lo, v15, v17
	s_wait_alu 0xfffd
	v_sub_co_ci_u32_e64 v16, null, v16, v18, vcc_lo
	s_wait_loadcnt 0x2
	v_cvt_f64_f32_e32 v[97:98], v53
	v_cvt_f64_f32_e32 v[53:54], v54
	s_wait_loadcnt 0x1
	v_cvt_f64_f32_e32 v[99:100], v57
	v_lshlrev_b64_e32 v[15:16], 6, v[15:16]
	v_cvt_f64_f32_e32 v[57:58], v58
	s_wait_loadcnt 0x0
	v_cvt_f64_f32_e32 v[101:102], v61
	v_cvt_f64_f32_e32 v[61:62], v62
	;; [unrolled: 1-line block ×4, first 2 shown]
	s_wait_kmcnt 0x0
	v_add_co_u32 v15, vcc_lo, s4, v15
	s_wait_alu 0xfffd
	v_add_co_ci_u32_e64 v16, null, s5, v16, vcc_lo
	v_cvt_f64_f32_e32 v[105:106], v59
	v_cvt_f64_f32_e32 v[59:60], v60
	;; [unrolled: 1-line block ×3, first 2 shown]
	s_clause 0x1
	global_load_b128 v[65:68], v[15:16], off
	global_load_b128 v[69:72], v[15:16], off offset:16
	s_clause 0x3
	global_load_b128 v[73:76], v[47:48], off offset:16
	global_load_b128 v[77:80], v[47:48], off offset:48
	;; [unrolled: 1-line block ×4, first 2 shown]
	s_clause 0x1
	global_load_b128 v[89:92], v[15:16], off offset:32
	global_load_b128 v[93:96], v[15:16], off offset:48
	v_cvt_f64_f32_e32 v[15:16], v49
	v_cvt_f64_f32_e32 v[49:50], v50
	;; [unrolled: 1-line block ×3, first 2 shown]
	v_add_co_u32 v47, vcc_lo, 0x2000, v47
	s_wait_alu 0xfffd
	v_add_co_ci_u32_e64 v48, null, 0, v48, vcc_lo
	v_add_co_u32 v13, vcc_lo, v13, 1
	s_wait_alu 0xfffd
	v_add_co_ci_u32_e64 v14, null, 0, v14, vcc_lo
	;; [unrolled: 3-line block ×3, first 2 shown]
	s_delay_alu instid0(VALU_DEP_3)
	v_cmp_eq_u64_e32 vcc_lo, 0, v[13:14]
	s_wait_alu 0xfffe
	s_or_b32 s10, vcc_lo, s10
	s_wait_loadcnt 0x7
	v_fma_f64 v[33:34], v[15:16], v[65:66], v[33:34]
	v_fma_f64 v[27:28], v[49:50], v[65:66], v[27:28]
	;; [unrolled: 1-line block ×8, first 2 shown]
	v_cvt_f64_f32_e32 v[65:66], v51
	v_cvt_f64_f32_e32 v[51:52], v52
	v_fma_f64 v[33:34], -v[49:50], v[67:68], v[33:34]
	v_fma_f64 v[15:16], v[15:16], v[67:68], v[27:28]
	v_fma_f64 v[27:28], -v[53:54], v[67:68], v[41:42]
	v_fma_f64 v[31:32], v[97:98], v[67:68], v[31:32]
	;; [unrolled: 2-line block ×4, first 2 shown]
	s_wait_loadcnt 0x5
	v_cvt_f64_f32_e32 v[41:42], v73
	v_cvt_f64_f32_e32 v[49:50], v74
	s_wait_loadcnt 0x4
	v_cvt_f64_f32_e32 v[53:54], v77
	v_cvt_f64_f32_e32 v[57:58], v78
	;; [unrolled: 3-line block ×4, first 2 shown]
	v_fma_f64 v[33:34], v[65:66], v[69:70], v[33:34]
	v_fma_f64 v[15:16], v[51:52], v[69:70], v[15:16]
	;; [unrolled: 1-line block ×8, first 2 shown]
	v_cvt_f64_f32_e32 v[69:70], v85
	v_fma_f64 v[33:34], -v[51:52], v[71:72], v[33:34]
	v_fma_f64 v[15:16], v[65:66], v[71:72], v[15:16]
	v_fma_f64 v[27:28], -v[55:56], v[71:72], v[27:28]
	v_fma_f64 v[31:32], v[103:104], v[71:72], v[31:32]
	;; [unrolled: 2-line block ×4, first 2 shown]
	v_cvt_f64_f32_e32 v[51:52], v75
	v_cvt_f64_f32_e32 v[55:56], v76
	;; [unrolled: 1-line block ×7, first 2 shown]
	s_wait_loadcnt 0x1
	v_fma_f64 v[33:34], v[41:42], v[89:90], v[33:34]
	v_fma_f64 v[15:16], v[49:50], v[89:90], v[15:16]
	;; [unrolled: 1-line block ×8, first 2 shown]
	v_fma_f64 v[33:34], -v[49:50], v[91:92], v[33:34]
	v_fma_f64 v[15:16], v[41:42], v[91:92], v[15:16]
	v_fma_f64 v[27:28], -v[57:58], v[91:92], v[27:28]
	v_fma_f64 v[31:32], v[53:54], v[91:92], v[31:32]
	;; [unrolled: 2-line block ×4, first 2 shown]
	s_wait_loadcnt 0x0
	v_fma_f64 v[33:34], v[51:52], v[93:94], v[33:34]
	v_fma_f64 v[15:16], v[55:56], v[93:94], v[15:16]
	;; [unrolled: 1-line block ×8, first 2 shown]
	v_fma_f64 v[33:34], -v[55:56], v[95:96], v[33:34]
	v_fma_f64 v[27:28], v[51:52], v[95:96], v[15:16]
	v_fma_f64 v[41:42], -v[63:64], v[95:96], v[41:42]
	v_fma_f64 v[31:32], v[59:60], v[95:96], v[31:32]
	;; [unrolled: 2-line block ×4, first 2 shown]
	s_wait_alu 0xfffe
	s_and_not1_b32 exec_lo, exec_lo, s10
	s_cbranch_execnz .LBB179_17
; %bb.18:
	s_or_b32 exec_lo, exec_lo, s10
.LBB179_19:
	s_wait_alu 0xfffe
	s_or_b32 exec_lo, exec_lo, s7
	s_delay_alu instid0(SALU_CYCLE_1)
	s_mov_b32 s7, exec_lo
	v_cmpx_lt_u64_e32 0xbf, v[9:10]
	s_cbranch_execz .LBB179_23
; %bb.20:
	v_lshlrev_b64_e32 v[9:10], 3, v[45:46]
	s_mov_b32 s10, 0
	s_delay_alu instid0(VALU_DEP_1) | instskip(SKIP_1) | instid1(VALU_DEP_2)
	v_add_co_u32 v9, vcc_lo, s8, v9
	s_wait_alu 0xfffd
	v_add_co_ci_u32_e64 v10, null, s9, v10, vcc_lo
	s_delay_alu instid0(VALU_DEP_2) | instskip(SKIP_1) | instid1(VALU_DEP_2)
	v_add_co_u32 v49, vcc_lo, 0x400, v9
	s_wait_alu 0xfffd
	v_add_co_ci_u32_e64 v50, null, 0, v10, vcc_lo
.LBB179_21:                             ; =>This Inner Loop Header: Depth=1
	global_load_b64 v[51:52], v[49:50], off offset:-1024
	s_clause 0x3
	global_load_b128 v[13:16], v[47:48], off
	global_load_b128 v[9:12], v[47:48], off offset:32
	global_load_b128 v[53:56], v[47:48], off offset:64
	;; [unrolled: 1-line block ×3, first 2 shown]
	s_clause 0x2
	global_load_b64 v[109:110], v[49:50], off offset:-512
	global_load_b64 v[111:112], v[49:50], off
	global_load_b64 v[113:114], v[49:50], off offset:512
	v_add_co_u32 v49, s3, 0x800, v49
	s_wait_alu 0xf1ff
	v_add_co_ci_u32_e64 v50, null, 0, v50, s3
	s_wait_loadcnt 0x7
	v_sub_co_u32 v51, vcc_lo, v51, v17
	s_wait_alu 0xfffd
	v_sub_co_ci_u32_e64 v52, null, v52, v18, vcc_lo
	s_wait_loadcnt 0x6
	v_cvt_f64_f32_e32 v[115:116], v13
	v_cvt_f64_f32_e32 v[13:14], v14
	s_wait_loadcnt 0x5
	v_cvt_f64_f32_e32 v[117:118], v9
	v_lshlrev_b64_e32 v[51:52], 6, v[51:52]
	v_cvt_f64_f32_e32 v[9:10], v10
	s_wait_loadcnt 0x4
	v_cvt_f64_f32_e32 v[119:120], v53
	s_wait_loadcnt 0x3
	v_cvt_f64_f32_e32 v[121:122], v57
	v_cvt_f64_f32_e32 v[57:58], v58
	;; [unrolled: 1-line block ×3, first 2 shown]
	s_wait_kmcnt 0x0
	v_add_co_u32 v51, vcc_lo, s4, v51
	s_wait_alu 0xfffd
	v_add_co_ci_u32_e64 v52, null, s5, v52, vcc_lo
	v_cvt_f64_f32_e32 v[127:128], v11
	v_cvt_f64_f32_e32 v[129:130], v12
	;; [unrolled: 1-line block ×3, first 2 shown]
	s_clause 0x1
	global_load_b128 v[61:64], v[51:52], off
	global_load_b128 v[65:68], v[51:52], off offset:16
	s_clause 0x3
	global_load_b128 v[69:72], v[47:48], off offset:16
	global_load_b128 v[73:76], v[47:48], off offset:48
	;; [unrolled: 1-line block ×4, first 2 shown]
	s_clause 0x1
	global_load_b128 v[85:88], v[51:52], off offset:32
	global_load_b128 v[89:92], v[51:52], off offset:48
	s_clause 0x3
	global_load_b128 v[93:96], v[47:48], off offset:8192
	global_load_b128 v[97:100], v[47:48], off offset:8224
	;; [unrolled: 1-line block ×4, first 2 shown]
	s_wait_loadcnt 0xe
	v_sub_co_u32 v51, vcc_lo, v109, v17
	s_wait_alu 0xfffd
	v_sub_co_ci_u32_e64 v52, null, v110, v18, vcc_lo
	v_cvt_f64_f32_e32 v[109:110], v54
	v_cvt_f64_f32_e32 v[55:56], v56
	;; [unrolled: 1-line block ×3, first 2 shown]
	s_delay_alu instid0(VALU_DEP_4) | instskip(SKIP_1) | instid1(VALU_DEP_2)
	v_lshlrev_b64_e32 v[51:52], 6, v[51:52]
	v_cvt_f64_f32_e32 v[59:60], v60
	v_add_co_u32 v123, vcc_lo, s4, v51
	s_wait_alu 0xfffd
	s_delay_alu instid0(VALU_DEP_3)
	v_add_co_ci_u32_e64 v124, null, s5, v52, vcc_lo
	s_wait_loadcnt 0xd
	v_sub_co_u32 v111, vcc_lo, v111, v17
	s_wait_alu 0xfffd
	v_sub_co_ci_u32_e64 v112, null, v112, v18, vcc_lo
	global_load_b128 v[51:54], v[123:124], off
	s_wait_loadcnt 0xc
	v_fma_f64 v[33:34], v[115:116], v[61:62], v[33:34]
	v_fma_f64 v[27:28], v[13:14], v[61:62], v[27:28]
	;; [unrolled: 1-line block ×8, first 2 shown]
	v_cvt_f64_f32_e32 v[61:62], v15
	s_wait_loadcnt 0x8
	v_cvt_f64_f32_e32 v[135:136], v77
	v_cvt_f64_f32_e32 v[77:78], v78
	s_wait_loadcnt 0x7
	v_cvt_f64_f32_e32 v[137:138], v81
	v_cvt_f64_f32_e32 v[81:82], v82
	v_fma_f64 v[13:14], -v[13:14], v[63:64], v[33:34]
	v_fma_f64 v[15:16], v[115:116], v[63:64], v[27:28]
	v_fma_f64 v[27:28], -v[9:10], v[63:64], v[41:42]
	v_fma_f64 v[31:32], v[117:118], v[63:64], v[31:32]
	;; [unrolled: 2-line block ×4, first 2 shown]
	global_load_b128 v[9:12], v[123:124], off offset:16
	v_cvt_f64_f32_e32 v[119:120], v69
	v_cvt_f64_f32_e32 v[69:70], v70
	v_cvt_f64_f32_e32 v[121:122], v73
	v_cvt_f64_f32_e32 v[73:74], v74
	v_fma_f64 v[39:40], v[61:62], v[65:66], v[13:14]
	v_fma_f64 v[41:42], v[125:126], v[65:66], v[15:16]
	;; [unrolled: 1-line block ×8, first 2 shown]
	s_clause 0x3
	global_load_b128 v[13:16], v[47:48], off offset:8208
	global_load_b128 v[27:30], v[47:48], off offset:8240
	global_load_b128 v[31:34], v[47:48], off offset:8272
	global_load_b128 v[35:38], v[47:48], off offset:8304
	v_fma_f64 v[125:126], -v[125:126], v[67:68], v[39:40]
	v_fma_f64 v[61:62], v[61:62], v[67:68], v[41:42]
	v_fma_f64 v[57:58], -v[129:130], v[67:68], v[57:58]
	v_fma_f64 v[63:64], v[127:128], v[67:68], v[63:64]
	;; [unrolled: 2-line block ×4, first 2 shown]
	global_load_b128 v[39:42], v[123:124], off offset:32
	v_cvt_f64_f32_e32 v[115:116], v72
	v_cvt_f64_f32_e32 v[117:118], v75
	;; [unrolled: 1-line block ×5, first 2 shown]
	s_wait_loadcnt 0xa
	v_cvt_f64_f32_e32 v[129:130], v93
	v_cvt_f64_f32_e32 v[93:94], v94
	s_wait_loadcnt 0x9
	v_cvt_f64_f32_e32 v[131:132], v97
	v_cvt_f64_f32_e32 v[97:98], v98
	;; [unrolled: 3-line block ×3, first 2 shown]
	v_fma_f64 v[67:68], v[119:120], v[85:86], v[125:126]
	v_fma_f64 v[61:62], v[69:70], v[85:86], v[61:62]
	;; [unrolled: 1-line block ×8, first 2 shown]
	v_cvt_f64_f32_e32 v[85:86], v71
	v_cvt_f64_f32_e32 v[125:126], v79
	;; [unrolled: 1-line block ×3, first 2 shown]
	v_fma_f64 v[67:68], -v[69:70], v[87:88], v[67:68]
	v_fma_f64 v[61:62], v[119:120], v[87:88], v[61:62]
	v_fma_f64 v[69:70], -v[73:74], v[87:88], v[57:58]
	v_fma_f64 v[63:64], v[121:122], v[87:88], v[63:64]
	;; [unrolled: 2-line block ×4, first 2 shown]
	global_load_b128 v[55:58], v[123:124], off offset:48
	s_wait_loadcnt 0x8
	v_cvt_f64_f32_e32 v[135:136], v105
	v_cvt_f64_f32_e32 v[105:106], v106
	v_fma_f64 v[77:78], v[85:86], v[89:90], v[67:68]
	v_fma_f64 v[81:82], v[115:116], v[89:90], v[61:62]
	;; [unrolled: 1-line block ×8, first 2 shown]
	s_clause 0x3
	global_load_b128 v[59:62], v[47:48], off offset:16384
	global_load_b128 v[63:66], v[47:48], off offset:16416
	;; [unrolled: 1-line block ×4, first 2 shown]
	v_fma_f64 v[115:116], -v[115:116], v[91:92], v[77:78]
	v_fma_f64 v[81:82], v[85:86], v[91:92], v[81:82]
	v_fma_f64 v[85:86], -v[75:76], v[91:92], v[87:88]
	v_fma_f64 v[87:88], v[117:118], v[91:92], v[109:110]
	;; [unrolled: 2-line block ×4, first 2 shown]
	v_lshlrev_b64_e32 v[75:76], 6, v[111:112]
	v_cvt_f64_f32_e32 v[117:118], v99
	v_cvt_f64_f32_e32 v[99:100], v100
	;; [unrolled: 1-line block ×5, first 2 shown]
	v_add_co_u32 v111, vcc_lo, s4, v75
	s_wait_alu 0xfffd
	v_add_co_ci_u32_e64 v112, null, s5, v76, vcc_lo
	v_cvt_f64_f32_e32 v[107:108], v108
	v_sub_co_u32 v113, vcc_lo, v113, v17
	global_load_b128 v[75:78], v[111:112], off
	s_wait_alu 0xfffd
	v_sub_co_ci_u32_e64 v114, null, v114, v18, vcc_lo
	s_wait_loadcnt 0xc
	v_fma_f64 v[91:92], v[129:130], v[51:52], v[115:116]
	v_fma_f64 v[81:82], v[93:94], v[51:52], v[81:82]
	;; [unrolled: 1-line block ×8, first 2 shown]
	v_cvt_f64_f32_e32 v[115:116], v95
	v_cvt_f64_f32_e32 v[95:96], v96
	v_fma_f64 v[89:90], -v[93:94], v[53:54], v[91:92]
	v_fma_f64 v[81:82], v[129:130], v[53:54], v[81:82]
	v_fma_f64 v[85:86], -v[97:98], v[53:54], v[85:86]
	v_fma_f64 v[87:88], v[131:132], v[53:54], v[87:88]
	;; [unrolled: 2-line block ×4, first 2 shown]
	global_load_b128 v[51:54], v[111:112], off offset:16
	s_wait_loadcnt 0xc
	v_fma_f64 v[97:98], v[115:116], v[9:10], v[89:90]
	v_fma_f64 v[101:102], v[95:96], v[9:10], v[81:82]
	;; [unrolled: 1-line block ×8, first 2 shown]
	s_clause 0x3
	global_load_b128 v[79:82], v[47:48], off offset:16400
	global_load_b128 v[83:86], v[47:48], off offset:16432
	;; [unrolled: 1-line block ×4, first 2 shown]
	s_wait_loadcnt 0xf
	v_cvt_f64_f32_e32 v[129:130], v13
	v_cvt_f64_f32_e32 v[13:14], v14
	s_wait_loadcnt 0xe
	v_cvt_f64_f32_e32 v[131:132], v27
	v_cvt_f64_f32_e32 v[27:28], v28
	;; [unrolled: 3-line block ×4, first 2 shown]
	v_fma_f64 v[95:96], -v[95:96], v[11:12], v[97:98]
	v_fma_f64 v[97:98], v[115:116], v[11:12], v[101:102]
	v_fma_f64 v[99:100], -v[99:100], v[11:12], v[105:106]
	v_fma_f64 v[101:102], v[117:118], v[11:12], v[109:110]
	;; [unrolled: 2-line block ×4, first 2 shown]
	global_load_b128 v[9:12], v[111:112], off offset:32
	v_cvt_f64_f32_e32 v[115:116], v16
	v_cvt_f64_f32_e32 v[117:118], v29
	;; [unrolled: 1-line block ×7, first 2 shown]
	s_wait_loadcnt 0xc
	v_fma_f64 v[95:96], v[129:130], v[39:40], v[95:96]
	v_fma_f64 v[97:98], v[13:14], v[39:40], v[97:98]
	;; [unrolled: 1-line block ×8, first 2 shown]
	v_cvt_f64_f32_e32 v[109:110], v15
	v_fma_f64 v[29:30], -v[13:14], v[41:42], v[95:96]
	v_fma_f64 v[33:34], v[129:130], v[41:42], v[97:98]
	v_fma_f64 v[27:28], -v[27:28], v[41:42], v[99:100]
	v_fma_f64 v[37:38], v[131:132], v[41:42], v[101:102]
	;; [unrolled: 2-line block ×4, first 2 shown]
	global_load_b128 v[13:16], v[111:112], off offset:48
	s_wait_loadcnt 0xc
	v_fma_f64 v[97:98], v[109:110], v[55:56], v[29:30]
	v_fma_f64 v[99:100], v[115:116], v[55:56], v[33:34]
	;; [unrolled: 1-line block ×8, first 2 shown]
	s_clause 0x3
	global_load_b128 v[27:30], v[47:48], off offset:24576
	global_load_b128 v[31:34], v[47:48], off offset:24608
	;; [unrolled: 1-line block ×4, first 2 shown]
	s_wait_loadcnt 0xf
	v_cvt_f64_f32_e32 v[111:112], v59
	v_cvt_f64_f32_e32 v[59:60], v60
	s_wait_loadcnt 0xe
	v_cvt_f64_f32_e32 v[129:130], v63
	v_cvt_f64_f32_e32 v[63:64], v64
	;; [unrolled: 3-line block ×4, first 2 shown]
	v_fma_f64 v[97:98], -v[115:116], v[57:58], v[97:98]
	v_fma_f64 v[99:100], v[109:110], v[57:58], v[99:100]
	v_fma_f64 v[101:102], -v[119:120], v[57:58], v[101:102]
	v_fma_f64 v[103:104], v[117:118], v[57:58], v[103:104]
	;; [unrolled: 2-line block ×4, first 2 shown]
	v_lshlrev_b64_e32 v[55:56], 6, v[113:114]
	v_cvt_f64_f32_e32 v[115:116], v62
	v_cvt_f64_f32_e32 v[117:118], v65
	;; [unrolled: 1-line block ×5, first 2 shown]
	v_add_co_u32 v113, vcc_lo, s4, v55
	s_wait_alu 0xfffd
	v_add_co_ci_u32_e64 v114, null, s5, v56, vcc_lo
	v_cvt_f64_f32_e32 v[125:126], v73
	v_cvt_f64_f32_e32 v[127:128], v74
	v_add_co_u32 v45, vcc_lo, 0x100, v45
	global_load_b128 v[55:58], v[113:114], off
	s_wait_alu 0xfffd
	v_add_co_ci_u32_e64 v46, null, 0, v46, vcc_lo
	s_wait_loadcnt 0xc
	v_fma_f64 v[97:98], v[111:112], v[75:76], v[97:98]
	v_fma_f64 v[99:100], v[59:60], v[75:76], v[99:100]
	;; [unrolled: 1-line block ×8, first 2 shown]
	v_cvt_f64_f32_e32 v[109:110], v61
	v_fma_f64 v[65:66], -v[59:60], v[77:78], v[97:98]
	v_fma_f64 v[69:70], v[111:112], v[77:78], v[99:100]
	v_fma_f64 v[63:64], -v[63:64], v[77:78], v[101:102]
	v_fma_f64 v[73:74], v[129:130], v[77:78], v[103:104]
	;; [unrolled: 2-line block ×4, first 2 shown]
	global_load_b128 v[59:62], v[113:114], off offset:16
	s_wait_loadcnt 0xc
	v_fma_f64 v[97:98], v[109:110], v[51:52], v[65:66]
	v_fma_f64 v[99:100], v[115:116], v[51:52], v[69:70]
	;; [unrolled: 1-line block ×8, first 2 shown]
	s_clause 0x3
	global_load_b128 v[63:66], v[47:48], off offset:24592
	global_load_b128 v[67:70], v[47:48], off offset:24624
	;; [unrolled: 1-line block ×4, first 2 shown]
	v_add_co_u32 v47, vcc_lo, 0x8000, v47
	s_wait_alu 0xfffd
	v_add_co_ci_u32_e64 v48, null, 0, v48, vcc_lo
	v_cmp_ge_i64_e32 vcc_lo, v[45:46], v[23:24]
	s_wait_alu 0xfffe
	s_or_b32 s10, vcc_lo, s10
	s_wait_loadcnt 0xf
	v_cvt_f64_f32_e32 v[111:112], v79
	v_cvt_f64_f32_e32 v[79:80], v80
	s_wait_loadcnt 0xe
	v_cvt_f64_f32_e32 v[129:130], v83
	v_cvt_f64_f32_e32 v[83:84], v84
	;; [unrolled: 3-line block ×4, first 2 shown]
	v_fma_f64 v[97:98], -v[115:116], v[53:54], v[97:98]
	v_fma_f64 v[99:100], v[109:110], v[53:54], v[99:100]
	v_fma_f64 v[101:102], -v[119:120], v[53:54], v[101:102]
	v_fma_f64 v[103:104], v[117:118], v[53:54], v[103:104]
	v_fma_f64 v[105:106], -v[123:124], v[53:54], v[105:106]
	v_fma_f64 v[95:96], v[121:122], v[53:54], v[95:96]
	v_fma_f64 v[107:108], -v[127:128], v[53:54], v[107:108]
	v_fma_f64 v[109:110], v[125:126], v[53:54], v[51:52]
	global_load_b128 v[51:54], v[113:114], off offset:32
	v_cvt_f64_f32_e32 v[115:116], v85
	v_cvt_f64_f32_e32 v[85:86], v86
	;; [unrolled: 1-line block ×6, first 2 shown]
	s_wait_loadcnt 0xc
	v_fma_f64 v[97:98], v[111:112], v[9:10], v[97:98]
	v_fma_f64 v[99:100], v[79:80], v[9:10], v[99:100]
	;; [unrolled: 1-line block ×8, first 2 shown]
	v_cvt_f64_f32_e32 v[109:110], v81
	v_cvt_f64_f32_e32 v[81:82], v82
	v_fma_f64 v[79:80], -v[79:80], v[11:12], v[97:98]
	v_fma_f64 v[97:98], v[111:112], v[11:12], v[99:100]
	v_fma_f64 v[83:84], -v[83:84], v[11:12], v[101:102]
	v_fma_f64 v[99:100], v[129:130], v[11:12], v[103:104]
	;; [unrolled: 2-line block ×4, first 2 shown]
	global_load_b128 v[9:12], v[113:114], off offset:48
	s_wait_loadcnt 0xc
	v_fma_f64 v[79:80], v[109:110], v[13:14], v[79:80]
	v_fma_f64 v[97:98], v[81:82], v[13:14], v[97:98]
	;; [unrolled: 1-line block ×8, first 2 shown]
	s_wait_loadcnt 0xb
	v_cvt_f64_f32_e32 v[101:102], v27
	v_cvt_f64_f32_e32 v[27:28], v28
	s_wait_loadcnt 0xa
	v_cvt_f64_f32_e32 v[103:104], v31
	v_cvt_f64_f32_e32 v[31:32], v32
	s_wait_loadcnt 0x9
	v_cvt_f64_f32_e32 v[105:106], v35
	v_cvt_f64_f32_e32 v[35:36], v36
	s_wait_loadcnt 0x8
	v_cvt_f64_f32_e32 v[107:108], v39
	v_cvt_f64_f32_e32 v[39:40], v40
	v_fma_f64 v[79:80], -v[81:82], v[15:16], v[79:80]
	v_fma_f64 v[81:82], v[109:110], v[15:16], v[97:98]
	v_fma_f64 v[83:84], -v[85:86], v[15:16], v[83:84]
	v_fma_f64 v[85:86], v[115:116], v[15:16], v[99:100]
	;; [unrolled: 2-line block ×4, first 2 shown]
	v_cvt_f64_f32_e32 v[93:94], v37
	v_cvt_f64_f32_e32 v[37:38], v38
	;; [unrolled: 1-line block ×4, first 2 shown]
	s_wait_loadcnt 0x7
	v_fma_f64 v[15:16], v[101:102], v[55:56], v[79:80]
	v_fma_f64 v[79:80], v[27:28], v[55:56], v[81:82]
	;; [unrolled: 1-line block ×8, first 2 shown]
	v_cvt_f64_f32_e32 v[55:56], v29
	v_cvt_f64_f32_e32 v[29:30], v30
	;; [unrolled: 1-line block ×4, first 2 shown]
	v_fma_f64 v[15:16], -v[27:28], v[57:58], v[15:16]
	v_fma_f64 v[27:28], v[101:102], v[57:58], v[79:80]
	v_fma_f64 v[31:32], -v[31:32], v[57:58], v[81:82]
	v_fma_f64 v[79:80], v[103:104], v[57:58], v[83:84]
	;; [unrolled: 2-line block ×4, first 2 shown]
	s_wait_loadcnt 0x6
	v_fma_f64 v[15:16], v[55:56], v[59:60], v[15:16]
	v_fma_f64 v[27:28], v[29:30], v[59:60], v[27:28]
	;; [unrolled: 1-line block ×8, first 2 shown]
	s_wait_loadcnt 0x5
	v_cvt_f64_f32_e32 v[59:60], v63
	v_cvt_f64_f32_e32 v[63:64], v64
	s_wait_loadcnt 0x4
	v_cvt_f64_f32_e32 v[81:82], v67
	v_cvt_f64_f32_e32 v[67:68], v68
	s_wait_loadcnt 0x3
	v_cvt_f64_f32_e32 v[83:84], v71
	v_cvt_f64_f32_e32 v[71:72], v72
	s_wait_loadcnt 0x2
	v_cvt_f64_f32_e32 v[85:86], v75
	v_cvt_f64_f32_e32 v[75:76], v76
	v_fma_f64 v[15:16], -v[29:30], v[61:62], v[15:16]
	v_fma_f64 v[27:28], v[55:56], v[61:62], v[27:28]
	v_fma_f64 v[29:30], -v[33:34], v[61:62], v[31:32]
	v_fma_f64 v[31:32], v[91:92], v[61:62], v[57:58]
	v_fma_f64 v[33:34], -v[37:38], v[61:62], v[35:36]
	v_fma_f64 v[35:36], v[93:94], v[61:62], v[79:80]
	v_fma_f64 v[37:38], -v[41:42], v[61:62], v[39:40]
	v_fma_f64 v[13:14], v[95:96], v[61:62], v[13:14]
	v_cvt_f64_f32_e32 v[39:40], v65
	v_cvt_f64_f32_e32 v[41:42], v66
	;; [unrolled: 1-line block ×6, first 2 shown]
	s_wait_loadcnt 0x1
	v_fma_f64 v[15:16], v[59:60], v[51:52], v[15:16]
	v_fma_f64 v[27:28], v[63:64], v[51:52], v[27:28]
	;; [unrolled: 1-line block ×8, first 2 shown]
	v_cvt_f64_f32_e32 v[51:52], v69
	v_cvt_f64_f32_e32 v[69:70], v78
	v_fma_f64 v[15:16], -v[63:64], v[53:54], v[15:16]
	v_fma_f64 v[27:28], v[59:60], v[53:54], v[27:28]
	v_fma_f64 v[29:30], -v[67:68], v[53:54], v[29:30]
	v_fma_f64 v[31:32], v[81:82], v[53:54], v[31:32]
	;; [unrolled: 2-line block ×4, first 2 shown]
	s_wait_loadcnt 0x0
	v_fma_f64 v[15:16], v[39:40], v[9:10], v[15:16]
	v_fma_f64 v[27:28], v[41:42], v[9:10], v[27:28]
	;; [unrolled: 1-line block ×8, first 2 shown]
	v_fma_f64 v[33:34], -v[41:42], v[11:12], v[15:16]
	v_fma_f64 v[27:28], v[39:40], v[11:12], v[27:28]
	v_fma_f64 v[41:42], -v[55:56], v[11:12], v[29:30]
	v_fma_f64 v[31:32], v[51:52], v[11:12], v[31:32]
	;; [unrolled: 2-line block ×4, first 2 shown]
	s_wait_alu 0xfffe
	s_and_not1_b32 exec_lo, exec_lo, s10
	s_cbranch_execnz .LBB179_21
; %bb.22:
	s_or_b32 exec_lo, exec_lo, s10
.LBB179_23:
	s_wait_alu 0xfffe
	s_or_b32 exec_lo, exec_lo, s7
.LBB179_24:
	s_wait_alu 0xfffe
	s_or_b32 exec_lo, exec_lo, s6
	s_cbranch_execz .LBB179_26
	s_branch .LBB179_37
.LBB179_25:
                                        ; implicit-def: $vgpr27_vgpr28
                                        ; implicit-def: $vgpr33_vgpr34
                                        ; implicit-def: $vgpr31_vgpr32
                                        ; implicit-def: $vgpr41_vgpr42
                                        ; implicit-def: $vgpr37_vgpr38
                                        ; implicit-def: $vgpr39_vgpr40
                                        ; implicit-def: $vgpr35_vgpr36
                                        ; implicit-def: $vgpr29_vgpr30
.LBB179_26:
	v_mov_b32_e32 v27, 0
	v_mov_b32_e32 v31, 0
	;; [unrolled: 1-line block ×3, first 2 shown]
	v_dual_mov_b32 v35, 0 :: v_dual_mov_b32 v28, 0
	v_dual_mov_b32 v33, 0 :: v_dual_mov_b32 v32, 0
	;; [unrolled: 1-line block ×5, first 2 shown]
	v_mov_b32_e32 v42, 0
	v_mov_b32_e32 v40, 0
	;; [unrolled: 1-line block ×3, first 2 shown]
	s_and_saveexec_b32 s3, s2
	s_cbranch_execz .LBB179_36
; %bb.27:
	v_or_b32_e32 v9, 64, v0
	v_not_b32_e32 v13, v43
	v_sub_co_u32 v14, s2, v17, v0
	v_not_b32_e32 v11, v44
	s_delay_alu instid0(VALU_DEP_4)
	v_sub_co_u32 v9, vcc_lo, v9, v17
	s_wait_alu 0xfffd
	v_sub_co_ci_u32_e64 v10, null, 0, v18, vcc_lo
	s_wait_alu 0xf1ff
	v_subrev_co_ci_u32_e64 v15, null, 0, v18, s2
	v_add_co_u32 v9, vcc_lo, v9, v43
	s_wait_alu 0xfffd
	v_add_co_ci_u32_e64 v10, null, v10, v44, vcc_lo
	v_add_co_u32 v13, s2, v14, v13
	s_wait_alu 0xf1ff
	v_add_co_ci_u32_e64 v11, null, v15, v11, s2
	s_delay_alu instid0(VALU_DEP_3)
	v_cmp_gt_i64_e32 vcc_lo, v[9:10], v[23:24]
	v_dual_mov_b32 v12, 0 :: v_dual_mov_b32 v37, 0
	v_mov_b32_e32 v31, 0
	v_mov_b32_e32 v29, 0
	v_dual_mov_b32 v30, 0 :: v_dual_mov_b32 v35, 0
	s_wait_alu 0xfffd
	v_dual_cndmask_b32 v9, v23, v9 :: v_dual_cndmask_b32 v10, v24, v10
	v_dual_mov_b32 v36, 0 :: v_dual_mov_b32 v39, 0
	v_dual_mov_b32 v38, 0 :: v_dual_mov_b32 v41, 0
	s_delay_alu instid0(VALU_DEP_3)
	v_add_co_u32 v9, vcc_lo, v13, v9
	v_dual_mov_b32 v32, 0 :: v_dual_mov_b32 v33, 0
	v_dual_mov_b32 v27, 0 :: v_dual_mov_b32 v40, 0
	s_wait_alu 0xfffd
	v_add_co_ci_u32_e64 v10, null, v11, v10, vcc_lo
	v_dual_mov_b32 v42, 0 :: v_dual_and_b32 v11, 0xc0, v9
	v_mov_b32_e32 v34, 0
	v_mov_b32_e32 v28, 0
	s_mov_b32 s6, exec_lo
	s_delay_alu instid0(VALU_DEP_3)
	v_cmpx_ne_u64_e32 0xc0, v[11:12]
	s_cbranch_execz .LBB179_31
; %bb.28:
	v_lshrrev_b32_e32 v13, 6, v9
	v_mov_b32_e32 v31, 0
	v_mov_b32_e32 v32, 0
	v_lshlrev_b64_e32 v[11:12], 3, v[19:20]
	v_mov_b32_e32 v37, 0
	v_add_nc_u32_e32 v13, 1, v13
	v_mov_b32_e32 v27, 0
	v_dual_mov_b32 v28, 0 :: v_dual_mov_b32 v33, 0
	v_add_co_u32 v11, vcc_lo, s8, v11
	s_delay_alu instid0(VALU_DEP_4) | instskip(SKIP_3) | instid1(VALU_DEP_4)
	v_dual_mov_b32 v38, 0 :: v_dual_and_b32 v13, 3, v13
	v_mov_b32_e32 v41, 0
	v_mov_b32_e32 v39, 0
	;; [unrolled: 1-line block ×3, first 2 shown]
	v_sub_co_u32 v13, s2, 0, v13
	v_dual_mov_b32 v29, 0 :: v_dual_mov_b32 v34, 0
	s_wait_alu 0xfffd
	v_add_co_ci_u32_e64 v12, null, s9, v12, vcc_lo
	v_mov_b32_e32 v42, 0
	v_mov_b32_e32 v40, 0
	;; [unrolled: 1-line block ×4, first 2 shown]
	s_wait_alu 0xf1ff
	v_sub_co_ci_u32_e64 v14, null, 0, 0, s2
	s_mov_b32 s7, 0
.LBB179_29:                             ; =>This Inner Loop Header: Depth=1
	global_load_b64 v[15:16], v[11:12], off
	s_clause 0x1
	global_load_b128 v[43:46], v[25:26], off
	global_load_b128 v[47:50], v[25:26], off offset:16
	v_add_co_u32 v11, s2, 0x200, v11
	s_wait_alu 0xf1ff
	v_add_co_ci_u32_e64 v12, null, 0, v12, s2
	s_wait_loadcnt 0x2
	v_sub_co_u32 v15, vcc_lo, v15, v17
	s_wait_alu 0xfffd
	v_sub_co_ci_u32_e64 v16, null, v16, v18, vcc_lo
	s_wait_loadcnt 0x1
	v_cvt_f64_f32_e32 v[91:92], v45
	v_cvt_f64_f32_e32 v[45:46], v46
	s_wait_loadcnt 0x0
	v_cvt_f64_f32_e32 v[93:94], v47
	v_lshlrev_b64_e32 v[15:16], 6, v[15:16]
	v_cvt_f64_f32_e32 v[47:48], v48
	v_cvt_f64_f32_e32 v[95:96], v49
	;; [unrolled: 1-line block ×3, first 2 shown]
	s_wait_kmcnt 0x0
	s_delay_alu instid0(VALU_DEP_4)
	v_add_co_u32 v15, vcc_lo, s4, v15
	s_wait_alu 0xfffd
	v_add_co_ci_u32_e64 v16, null, s5, v16, vcc_lo
	s_clause 0x1
	global_load_b128 v[51:54], v[15:16], off
	global_load_b128 v[55:58], v[15:16], off offset:16
	s_clause 0x3
	global_load_b128 v[59:62], v[25:26], off offset:32
	global_load_b128 v[63:66], v[25:26], off offset:48
	;; [unrolled: 1-line block ×4, first 2 shown]
	s_clause 0x1
	global_load_b128 v[75:78], v[15:16], off offset:32
	global_load_b128 v[79:82], v[15:16], off offset:48
	s_clause 0x1
	global_load_b128 v[83:86], v[25:26], off offset:96
	global_load_b128 v[87:90], v[25:26], off offset:112
	v_cvt_f64_f32_e32 v[15:16], v43
	v_cvt_f64_f32_e32 v[43:44], v44
	v_add_co_u32 v25, vcc_lo, 0x2000, v25
	s_wait_alu 0xfffd
	v_add_co_ci_u32_e64 v26, null, 0, v26, vcc_lo
	v_add_co_u32 v13, vcc_lo, v13, 1
	s_wait_alu 0xfffd
	v_add_co_ci_u32_e64 v14, null, 0, v14, vcc_lo
	;; [unrolled: 3-line block ×3, first 2 shown]
	s_delay_alu instid0(VALU_DEP_3)
	v_cmp_eq_u64_e32 vcc_lo, 0, v[13:14]
	s_wait_alu 0xfffe
	s_or_b32 s7, vcc_lo, s7
	s_wait_loadcnt 0x9
	v_fma_f64 v[33:34], v[15:16], v[51:52], v[33:34]
	v_fma_f64 v[27:28], v[43:44], v[51:52], v[27:28]
	v_fma_f64 v[41:42], v[91:92], v[51:52], v[41:42]
	v_fma_f64 v[31:32], v[45:46], v[51:52], v[31:32]
	v_fma_f64 v[39:40], v[93:94], v[51:52], v[39:40]
	v_fma_f64 v[37:38], v[47:48], v[51:52], v[37:38]
	v_fma_f64 v[29:30], v[95:96], v[51:52], v[29:30]
	v_fma_f64 v[35:36], v[49:50], v[51:52], v[35:36]
	s_wait_loadcnt 0x7
	v_cvt_f64_f32_e32 v[51:52], v59
	v_cvt_f64_f32_e32 v[59:60], v60
	v_cvt_f64_f32_e32 v[97:98], v61
	v_cvt_f64_f32_e32 v[61:62], v62
	s_wait_loadcnt 0x6
	v_cvt_f64_f32_e32 v[99:100], v63
	v_cvt_f64_f32_e32 v[63:64], v64
	;; [unrolled: 1-line block ×4, first 2 shown]
	v_fma_f64 v[33:34], -v[43:44], v[53:54], v[33:34]
	v_fma_f64 v[15:16], v[15:16], v[53:54], v[27:28]
	v_fma_f64 v[27:28], -v[45:46], v[53:54], v[41:42]
	v_fma_f64 v[31:32], v[91:92], v[53:54], v[31:32]
	v_fma_f64 v[39:40], -v[47:48], v[53:54], v[39:40]
	v_fma_f64 v[37:38], v[93:94], v[53:54], v[37:38]
	v_fma_f64 v[29:30], -v[49:50], v[53:54], v[29:30]
	v_fma_f64 v[35:36], v[95:96], v[53:54], v[35:36]
	s_wait_loadcnt 0x5
	v_cvt_f64_f32_e32 v[41:42], v67
	v_cvt_f64_f32_e32 v[43:44], v68
	;; [unrolled: 1-line block ×4, first 2 shown]
	s_wait_loadcnt 0x4
	v_cvt_f64_f32_e32 v[49:50], v71
	v_cvt_f64_f32_e32 v[53:54], v72
	;; [unrolled: 1-line block ×3, first 2 shown]
	s_wait_loadcnt 0x0
	v_cvt_f64_f32_e32 v[69:70], v89
	v_cvt_f64_f32_e32 v[71:72], v90
	v_fma_f64 v[33:34], v[51:52], v[55:56], v[33:34]
	v_fma_f64 v[15:16], v[59:60], v[55:56], v[15:16]
	;; [unrolled: 1-line block ×8, first 2 shown]
	v_cvt_f64_f32_e32 v[55:56], v73
	v_fma_f64 v[33:34], -v[59:60], v[57:58], v[33:34]
	v_fma_f64 v[15:16], v[51:52], v[57:58], v[15:16]
	v_fma_f64 v[27:28], -v[61:62], v[57:58], v[27:28]
	v_fma_f64 v[31:32], v[97:98], v[57:58], v[31:32]
	;; [unrolled: 2-line block ×4, first 2 shown]
	v_cvt_f64_f32_e32 v[51:52], v83
	v_cvt_f64_f32_e32 v[57:58], v84
	;; [unrolled: 1-line block ×6, first 2 shown]
	v_fma_f64 v[33:34], v[41:42], v[75:76], v[33:34]
	v_fma_f64 v[15:16], v[43:44], v[75:76], v[15:16]
	;; [unrolled: 1-line block ×8, first 2 shown]
	v_fma_f64 v[33:34], -v[43:44], v[77:78], v[33:34]
	v_fma_f64 v[15:16], v[41:42], v[77:78], v[15:16]
	v_fma_f64 v[27:28], -v[47:48], v[77:78], v[27:28]
	v_fma_f64 v[31:32], v[45:46], v[77:78], v[31:32]
	;; [unrolled: 2-line block ×4, first 2 shown]
	v_fma_f64 v[33:34], v[51:52], v[79:80], v[33:34]
	v_fma_f64 v[15:16], v[57:58], v[79:80], v[15:16]
	;; [unrolled: 1-line block ×8, first 2 shown]
	v_fma_f64 v[33:34], -v[57:58], v[81:82], v[33:34]
	v_fma_f64 v[27:28], v[51:52], v[81:82], v[15:16]
	v_fma_f64 v[41:42], -v[61:62], v[81:82], v[41:42]
	v_fma_f64 v[31:32], v[59:60], v[81:82], v[31:32]
	;; [unrolled: 2-line block ×4, first 2 shown]
	s_wait_alu 0xfffe
	s_and_not1_b32 exec_lo, exec_lo, s7
	s_cbranch_execnz .LBB179_29
; %bb.30:
	s_or_b32 exec_lo, exec_lo, s7
.LBB179_31:
	s_wait_alu 0xfffe
	s_or_b32 exec_lo, exec_lo, s6
	s_delay_alu instid0(SALU_CYCLE_1)
	s_mov_b32 s6, exec_lo
	v_cmpx_lt_u64_e32 0xbf, v[9:10]
	s_cbranch_execz .LBB179_35
; %bb.32:
	v_lshlrev_b64_e32 v[9:10], 3, v[19:20]
	s_mov_b32 s7, 0
	s_delay_alu instid0(VALU_DEP_1) | instskip(SKIP_1) | instid1(VALU_DEP_2)
	v_add_co_u32 v9, vcc_lo, s8, v9
	s_wait_alu 0xfffd
	v_add_co_ci_u32_e64 v10, null, s9, v10, vcc_lo
	s_delay_alu instid0(VALU_DEP_2) | instskip(SKIP_1) | instid1(VALU_DEP_2)
	v_add_co_u32 v9, vcc_lo, 0x400, v9
	s_wait_alu 0xfffd
	v_add_co_ci_u32_e64 v10, null, 0, v10, vcc_lo
.LBB179_33:                             ; =>This Inner Loop Header: Depth=1
	global_load_b64 v[15:16], v[9:10], off offset:-1024
	s_clause 0x1
	global_load_b128 v[11:14], v[25:26], off
	global_load_b128 v[43:46], v[25:26], off offset:16
	s_clause 0x2
	global_load_b64 v[95:96], v[9:10], off offset:-512
	global_load_b64 v[97:98], v[9:10], off
	global_load_b64 v[99:100], v[9:10], off offset:512
	v_add_co_u32 v9, s2, 0x800, v9
	s_wait_alu 0xf1ff
	v_add_co_ci_u32_e64 v10, null, 0, v10, s2
	s_wait_loadcnt 0x5
	v_sub_co_u32 v15, vcc_lo, v15, v17
	s_wait_alu 0xfffd
	v_sub_co_ci_u32_e64 v16, null, v16, v18, vcc_lo
	s_wait_loadcnt 0x4
	v_cvt_f64_f32_e32 v[101:102], v12
	v_cvt_f64_f32_e32 v[103:104], v13
	;; [unrolled: 1-line block ×3, first 2 shown]
	v_lshlrev_b64_e32 v[15:16], 6, v[15:16]
	s_wait_loadcnt 0x3
	v_cvt_f64_f32_e32 v[107:108], v43
	v_cvt_f64_f32_e32 v[43:44], v44
	s_wait_kmcnt 0x0
	s_delay_alu instid0(VALU_DEP_3)
	v_add_co_u32 v15, vcc_lo, s4, v15
	s_wait_alu 0xfffd
	v_add_co_ci_u32_e64 v16, null, s5, v16, vcc_lo
	global_load_b128 v[47:50], v[15:16], off
	s_clause 0x1
	global_load_b128 v[51:54], v[25:26], off offset:32
	global_load_b128 v[55:58], v[25:26], off offset:48
	global_load_b128 v[59:62], v[15:16], off offset:16
	s_clause 0x1
	global_load_b128 v[63:66], v[25:26], off offset:64
	global_load_b128 v[67:70], v[25:26], off offset:80
	global_load_b128 v[71:74], v[15:16], off offset:32
	;; [unrolled: 4-line block ×3, first 2 shown]
	s_clause 0x1
	global_load_b128 v[87:90], v[25:26], off offset:8192
	global_load_b128 v[91:94], v[25:26], off offset:8208
	v_cvt_f64_f32_e32 v[15:16], v11
	s_wait_loadcnt 0xe
	v_sub_co_u32 v11, vcc_lo, v95, v17
	s_wait_alu 0xfffd
	v_sub_co_ci_u32_e64 v12, null, v96, v18, vcc_lo
	v_cvt_f64_f32_e32 v[95:96], v45
	v_cvt_f64_f32_e32 v[45:46], v46
	s_delay_alu instid0(VALU_DEP_3) | instskip(NEXT) | instid1(VALU_DEP_1)
	v_lshlrev_b64_e32 v[11:12], 6, v[11:12]
	v_add_co_u32 v109, vcc_lo, s4, v11
	s_wait_alu 0xfffd
	s_delay_alu instid0(VALU_DEP_2)
	v_add_co_ci_u32_e64 v110, null, s5, v12, vcc_lo
	global_load_b128 v[11:14], v[109:110], off
	s_wait_loadcnt 0xc
	v_fma_f64 v[111:112], v[15:16], v[47:48], v[33:34]
	v_fma_f64 v[113:114], v[101:102], v[47:48], v[27:28]
	;; [unrolled: 1-line block ×8, first 2 shown]
	s_clause 0x1
	global_load_b128 v[27:30], v[25:26], off offset:8224
	global_load_b128 v[31:34], v[25:26], off offset:8240
	s_wait_loadcnt 0xd
	v_cvt_f64_f32_e32 v[47:48], v51
	v_cvt_f64_f32_e32 v[51:52], v52
	;; [unrolled: 1-line block ×4, first 2 shown]
	s_wait_loadcnt 0xc
	v_cvt_f64_f32_e32 v[121:122], v55
	v_cvt_f64_f32_e32 v[55:56], v56
	;; [unrolled: 1-line block ×4, first 2 shown]
	s_wait_loadcnt 0x9
	v_cvt_f64_f32_e32 v[125:126], v69
	v_cvt_f64_f32_e32 v[69:70], v70
	v_fma_f64 v[101:102], -v[101:102], v[49:50], v[111:112]
	v_fma_f64 v[15:16], v[15:16], v[49:50], v[113:114]
	v_fma_f64 v[41:42], -v[105:106], v[49:50], v[41:42]
	v_fma_f64 v[103:104], v[103:104], v[49:50], v[115:116]
	v_fma_f64 v[39:40], -v[43:44], v[49:50], v[39:40]
	v_fma_f64 v[43:44], v[107:108], v[49:50], v[37:38]
	v_fma_f64 v[45:46], -v[45:46], v[49:50], v[117:118]
	v_fma_f64 v[49:50], v[95:96], v[49:50], v[35:36]
	global_load_b128 v[35:38], v[109:110], off offset:16
	v_cvt_f64_f32_e32 v[113:114], v63
	v_cvt_f64_f32_e32 v[63:64], v64
	;; [unrolled: 1-line block ×6, first 2 shown]
	v_fma_f64 v[95:96], v[47:48], v[59:60], v[101:102]
	v_fma_f64 v[15:16], v[51:52], v[59:60], v[15:16]
	;; [unrolled: 1-line block ×8, first 2 shown]
	s_clause 0x1
	global_load_b128 v[39:42], v[25:26], off offset:8256
	global_load_b128 v[43:46], v[25:26], off offset:8272
	v_fma_f64 v[59:60], -v[51:52], v[61:62], v[95:96]
	v_fma_f64 v[15:16], v[47:48], v[61:62], v[15:16]
	v_fma_f64 v[95:96], -v[53:54], v[61:62], v[101:102]
	v_fma_f64 v[101:102], v[119:120], v[61:62], v[103:104]
	;; [unrolled: 2-line block ×4, first 2 shown]
	s_clause 0x1
	global_load_b128 v[47:50], v[109:110], off offset:32
	global_load_b128 v[51:54], v[109:110], off offset:48
	s_wait_loadcnt 0xc
	v_cvt_f64_f32_e32 v[111:112], v75
	v_cvt_f64_f32_e32 v[75:76], v76
	;; [unrolled: 1-line block ×4, first 2 shown]
	s_wait_loadcnt 0xb
	v_cvt_f64_f32_e32 v[121:122], v79
	v_cvt_f64_f32_e32 v[79:80], v80
	;; [unrolled: 1-line block ×4, first 2 shown]
	v_fma_f64 v[105:106], v[113:114], v[71:72], v[59:60]
	v_fma_f64 v[15:16], v[63:64], v[71:72], v[15:16]
	;; [unrolled: 1-line block ×8, first 2 shown]
	s_clause 0x1
	global_load_b128 v[55:58], v[25:26], off offset:8288
	global_load_b128 v[59:62], v[25:26], off offset:8304
	v_fma_f64 v[63:64], -v[63:64], v[73:74], v[105:106]
	v_fma_f64 v[15:16], v[113:114], v[73:74], v[15:16]
	v_fma_f64 v[65:66], -v[65:66], v[73:74], v[95:96]
	v_fma_f64 v[95:96], v[115:116], v[73:74], v[101:102]
	;; [unrolled: 2-line block ×4, first 2 shown]
	s_wait_loadcnt 0xb
	v_cvt_f64_f32_e32 v[109:110], v87
	v_cvt_f64_f32_e32 v[87:88], v88
	;; [unrolled: 1-line block ×4, first 2 shown]
	s_wait_loadcnt 0xa
	v_cvt_f64_f32_e32 v[115:116], v91
	v_cvt_f64_f32_e32 v[91:92], v92
	;; [unrolled: 1-line block ×4, first 2 shown]
	v_fma_f64 v[73:74], v[111:112], v[83:84], v[63:64]
	v_fma_f64 v[15:16], v[75:76], v[83:84], v[15:16]
	;; [unrolled: 1-line block ×8, first 2 shown]
	s_clause 0x1
	global_load_b128 v[63:66], v[25:26], off offset:16384
	global_load_b128 v[67:70], v[25:26], off offset:16400
	v_sub_co_u32 v83, vcc_lo, v97, v17
	s_wait_alu 0xfffd
	v_sub_co_ci_u32_e64 v84, null, v98, v18, vcc_lo
	v_fma_f64 v[125:126], -v[75:76], v[85:86], v[73:74]
	v_fma_f64 v[15:16], v[111:112], v[85:86], v[15:16]
	v_fma_f64 v[103:104], -v[77:78], v[85:86], v[103:104]
	v_fma_f64 v[95:96], v[119:120], v[85:86], v[95:96]
	;; [unrolled: 2-line block ×4, first 2 shown]
	v_lshlrev_b64_e32 v[71:72], 6, v[83:84]
	s_delay_alu instid0(VALU_DEP_1) | instskip(SKIP_1) | instid1(VALU_DEP_2)
	v_add_co_u32 v97, vcc_lo, s4, v71
	s_wait_alu 0xfffd
	v_add_co_ci_u32_e64 v98, null, s5, v72, vcc_lo
	s_clause 0x1
	global_load_b128 v[71:74], v[97:98], off
	global_load_b128 v[75:78], v[97:98], off offset:16
	s_wait_loadcnt 0xd
	v_fma_f64 v[105:106], v[109:110], v[11:12], v[125:126]
	v_fma_f64 v[15:16], v[87:88], v[11:12], v[15:16]
	;; [unrolled: 1-line block ×8, first 2 shown]
	s_clause 0x1
	global_load_b128 v[79:82], v[25:26], off offset:16416
	global_load_b128 v[83:86], v[25:26], off offset:16432
	s_wait_loadcnt 0xe
	v_cvt_f64_f32_e32 v[119:120], v27
	v_cvt_f64_f32_e32 v[121:122], v28
	;; [unrolled: 1-line block ×4, first 2 shown]
	s_wait_loadcnt 0xd
	v_cvt_f64_f32_e32 v[127:128], v31
	v_cvt_f64_f32_e32 v[31:32], v32
	;; [unrolled: 1-line block ×4, first 2 shown]
	v_fma_f64 v[27:28], -v[87:88], v[13:14], v[105:106]
	v_fma_f64 v[15:16], v[109:110], v[13:14], v[15:16]
	v_fma_f64 v[29:30], -v[89:90], v[13:14], v[103:104]
	v_fma_f64 v[87:88], v[113:114], v[13:14], v[95:96]
	;; [unrolled: 2-line block ×4, first 2 shown]
	s_wait_loadcnt 0xc
	v_fma_f64 v[95:96], v[119:120], v[35:36], v[27:28]
	v_fma_f64 v[15:16], v[121:122], v[35:36], v[15:16]
	v_fma_f64 v[101:102], v[123:124], v[35:36], v[29:30]
	v_fma_f64 v[87:88], v[125:126], v[35:36], v[87:88]
	v_fma_f64 v[89:90], v[127:128], v[35:36], v[89:90]
	v_fma_f64 v[91:92], v[31:32], v[35:36], v[91:92]
	v_fma_f64 v[93:94], v[129:130], v[35:36], v[93:94]
	v_fma_f64 v[35:36], v[33:34], v[35:36], v[11:12]
	s_clause 0x1
	global_load_b128 v[11:14], v[25:26], off offset:16448
	global_load_b128 v[27:30], v[25:26], off offset:16464
	s_wait_loadcnt 0xd
	v_cvt_f64_f32_e32 v[103:104], v39
	v_cvt_f64_f32_e32 v[105:106], v40
	;; [unrolled: 1-line block ×4, first 2 shown]
	s_wait_loadcnt 0xc
	v_cvt_f64_f32_e32 v[111:112], v43
	v_cvt_f64_f32_e32 v[43:44], v44
	;; [unrolled: 1-line block ×4, first 2 shown]
	v_fma_f64 v[39:40], -v[121:122], v[37:38], v[95:96]
	v_fma_f64 v[15:16], v[119:120], v[37:38], v[15:16]
	v_fma_f64 v[41:42], -v[125:126], v[37:38], v[101:102]
	v_fma_f64 v[87:88], v[123:124], v[37:38], v[87:88]
	v_fma_f64 v[89:90], -v[31:32], v[37:38], v[89:90]
	v_fma_f64 v[91:92], v[127:128], v[37:38], v[91:92]
	v_fma_f64 v[93:94], -v[33:34], v[37:38], v[93:94]
	v_fma_f64 v[35:36], v[129:130], v[37:38], v[35:36]
	global_load_b128 v[31:34], v[97:98], off offset:32
	s_wait_loadcnt 0xc
	v_fma_f64 v[95:96], v[103:104], v[47:48], v[39:40]
	v_fma_f64 v[15:16], v[105:106], v[47:48], v[15:16]
	v_fma_f64 v[101:102], v[107:108], v[47:48], v[41:42]
	v_fma_f64 v[87:88], v[109:110], v[47:48], v[87:88]
	v_fma_f64 v[89:90], v[111:112], v[47:48], v[89:90]
	v_fma_f64 v[91:92], v[43:44], v[47:48], v[91:92]
	v_fma_f64 v[93:94], v[113:114], v[47:48], v[93:94]
	v_fma_f64 v[47:48], v[45:46], v[47:48], v[35:36]
	s_clause 0x1
	global_load_b128 v[35:38], v[25:26], off offset:16480
	global_load_b128 v[39:42], v[25:26], off offset:16496
	s_wait_loadcnt 0xc
	v_cvt_f64_f32_e32 v[115:116], v55
	v_cvt_f64_f32_e32 v[117:118], v56
	;; [unrolled: 1-line block ×4, first 2 shown]
	s_wait_loadcnt 0xb
	v_cvt_f64_f32_e32 v[123:124], v59
	v_cvt_f64_f32_e32 v[59:60], v60
	;; [unrolled: 1-line block ×4, first 2 shown]
	v_fma_f64 v[55:56], -v[105:106], v[49:50], v[95:96]
	v_fma_f64 v[15:16], v[103:104], v[49:50], v[15:16]
	v_fma_f64 v[57:58], -v[109:110], v[49:50], v[101:102]
	v_fma_f64 v[87:88], v[107:108], v[49:50], v[87:88]
	;; [unrolled: 2-line block ×4, first 2 shown]
	global_load_b128 v[43:46], v[97:98], off offset:48
	v_fma_f64 v[95:96], v[115:116], v[51:52], v[55:56]
	v_fma_f64 v[15:16], v[117:118], v[51:52], v[15:16]
	v_fma_f64 v[97:98], v[119:120], v[51:52], v[57:58]
	v_fma_f64 v[87:88], v[121:122], v[51:52], v[87:88]
	v_fma_f64 v[89:90], v[123:124], v[51:52], v[89:90]
	v_fma_f64 v[91:92], v[59:60], v[51:52], v[91:92]
	v_fma_f64 v[93:94], v[125:126], v[51:52], v[93:94]
	v_fma_f64 v[51:52], v[61:62], v[51:52], v[47:48]
	s_clause 0x1
	global_load_b128 v[47:50], v[25:26], off offset:24576
	global_load_b128 v[55:58], v[25:26], off offset:24592
	s_wait_loadcnt 0xd
	v_cvt_f64_f32_e32 v[101:102], v63
	v_cvt_f64_f32_e32 v[103:104], v64
	;; [unrolled: 1-line block ×4, first 2 shown]
	s_wait_loadcnt 0xc
	v_cvt_f64_f32_e32 v[109:110], v67
	v_cvt_f64_f32_e32 v[67:68], v68
	;; [unrolled: 1-line block ×4, first 2 shown]
	v_sub_co_u32 v63, vcc_lo, v99, v17
	s_wait_alu 0xfffd
	v_sub_co_ci_u32_e64 v64, null, v100, v18, vcc_lo
	v_fma_f64 v[65:66], -v[117:118], v[53:54], v[95:96]
	v_fma_f64 v[15:16], v[115:116], v[53:54], v[15:16]
	v_fma_f64 v[95:96], -v[121:122], v[53:54], v[97:98]
	v_fma_f64 v[87:88], v[119:120], v[53:54], v[87:88]
	;; [unrolled: 2-line block ×4, first 2 shown]
	v_lshlrev_b64_e32 v[51:52], 6, v[63:64]
	s_delay_alu instid0(VALU_DEP_1) | instskip(SKIP_1) | instid1(VALU_DEP_2)
	v_add_co_u32 v93, vcc_lo, s4, v51
	s_wait_alu 0xfffd
	v_add_co_ci_u32_e64 v94, null, s5, v52, vcc_lo
	v_add_co_u32 v19, vcc_lo, 0x100, v19
	s_wait_alu 0xfffd
	v_add_co_ci_u32_e64 v20, null, 0, v20, vcc_lo
	global_load_b128 v[51:54], v[93:94], off
	s_wait_loadcnt 0xc
	v_fma_f64 v[97:98], v[101:102], v[71:72], v[65:66]
	v_fma_f64 v[15:16], v[103:104], v[71:72], v[15:16]
	;; [unrolled: 1-line block ×8, first 2 shown]
	s_clause 0x1
	global_load_b128 v[59:62], v[25:26], off offset:24608
	global_load_b128 v[63:66], v[25:26], off offset:24624
	s_wait_loadcnt 0xc
	v_cvt_f64_f32_e32 v[91:92], v79
	v_cvt_f64_f32_e32 v[115:116], v80
	v_cvt_f64_f32_e32 v[117:118], v81
	v_cvt_f64_f32_e32 v[119:120], v82
	s_wait_loadcnt 0xb
	v_cvt_f64_f32_e32 v[121:122], v83
	v_cvt_f64_f32_e32 v[83:84], v84
	;; [unrolled: 1-line block ×4, first 2 shown]
	v_fma_f64 v[79:80], -v[103:104], v[73:74], v[97:98]
	v_fma_f64 v[15:16], v[101:102], v[73:74], v[15:16]
	v_fma_f64 v[81:82], -v[107:108], v[73:74], v[95:96]
	v_fma_f64 v[87:88], v[105:106], v[73:74], v[87:88]
	;; [unrolled: 2-line block ×4, first 2 shown]
	global_load_b128 v[67:70], v[93:94], off offset:16
	v_fma_f64 v[99:100], v[91:92], v[75:76], v[79:80]
	v_fma_f64 v[15:16], v[115:116], v[75:76], v[15:16]
	;; [unrolled: 1-line block ×8, first 2 shown]
	s_clause 0x1
	global_load_b128 v[71:74], v[25:26], off offset:24640
	global_load_b128 v[79:82], v[25:26], off offset:24656
	s_wait_loadcnt 0xd
	v_cvt_f64_f32_e32 v[103:104], v11
	v_cvt_f64_f32_e32 v[105:106], v12
	;; [unrolled: 1-line block ×4, first 2 shown]
	s_wait_loadcnt 0xc
	v_cvt_f64_f32_e32 v[111:112], v27
	v_cvt_f64_f32_e32 v[113:114], v28
	;; [unrolled: 1-line block ×4, first 2 shown]
	global_load_b128 v[11:14], v[93:94], off offset:32
	v_fma_f64 v[27:28], -v[115:116], v[77:78], v[99:100]
	v_fma_f64 v[15:16], v[91:92], v[77:78], v[15:16]
	v_fma_f64 v[29:30], -v[119:120], v[77:78], v[101:102]
	v_fma_f64 v[87:88], v[117:118], v[77:78], v[87:88]
	;; [unrolled: 2-line block ×4, first 2 shown]
	s_wait_loadcnt 0xc
	v_fma_f64 v[91:92], v[103:104], v[31:32], v[27:28]
	v_fma_f64 v[15:16], v[105:106], v[31:32], v[15:16]
	;; [unrolled: 1-line block ×8, first 2 shown]
	s_clause 0x1
	global_load_b128 v[27:30], v[25:26], off offset:24672
	global_load_b128 v[75:78], v[25:26], off offset:24688
	v_add_co_u32 v25, vcc_lo, 0x8000, v25
	s_wait_alu 0xfffd
	v_add_co_ci_u32_e64 v26, null, 0, v26, vcc_lo
	v_cmp_ge_i64_e32 vcc_lo, v[19:20], v[23:24]
	s_wait_alu 0xfffe
	s_or_b32 s7, vcc_lo, s7
	s_wait_loadcnt 0xd
	v_cvt_f64_f32_e32 v[97:98], v35
	v_cvt_f64_f32_e32 v[99:100], v36
	;; [unrolled: 1-line block ×4, first 2 shown]
	s_wait_loadcnt 0xc
	v_cvt_f64_f32_e32 v[115:116], v39
	v_cvt_f64_f32_e32 v[39:40], v40
	v_cvt_f64_f32_e32 v[117:118], v41
	v_cvt_f64_f32_e32 v[41:42], v42
	v_fma_f64 v[91:92], -v[105:106], v[33:34], v[91:92]
	v_fma_f64 v[15:16], v[103:104], v[33:34], v[15:16]
	v_fma_f64 v[95:96], -v[109:110], v[33:34], v[95:96]
	v_fma_f64 v[87:88], v[107:108], v[33:34], v[87:88]
	;; [unrolled: 2-line block ×4, first 2 shown]
	global_load_b128 v[33:36], v[93:94], off offset:48
	s_wait_loadcnt 0xc
	v_fma_f64 v[91:92], v[97:98], v[43:44], v[91:92]
	v_fma_f64 v[15:16], v[99:100], v[43:44], v[15:16]
	v_fma_f64 v[93:94], v[101:102], v[43:44], v[95:96]
	v_fma_f64 v[87:88], v[37:38], v[43:44], v[87:88]
	v_fma_f64 v[83:84], v[115:116], v[43:44], v[83:84]
	v_fma_f64 v[89:90], v[39:40], v[43:44], v[89:90]
	v_fma_f64 v[85:86], v[117:118], v[43:44], v[85:86]
	v_fma_f64 v[31:32], v[41:42], v[43:44], v[31:32]
	s_wait_loadcnt 0xb
	v_cvt_f64_f32_e32 v[43:44], v47
	v_cvt_f64_f32_e32 v[47:48], v48
	v_cvt_f64_f32_e32 v[95:96], v49
	v_cvt_f64_f32_e32 v[49:50], v50
	s_wait_loadcnt 0xa
	v_cvt_f64_f32_e32 v[103:104], v55
	v_cvt_f64_f32_e32 v[55:56], v56
	v_cvt_f64_f32_e32 v[105:106], v57
	v_cvt_f64_f32_e32 v[57:58], v58
	v_fma_f64 v[91:92], -v[99:100], v[45:46], v[91:92]
	v_fma_f64 v[15:16], v[97:98], v[45:46], v[15:16]
	v_fma_f64 v[37:38], -v[37:38], v[45:46], v[93:94]
	v_fma_f64 v[87:88], v[101:102], v[45:46], v[87:88]
	v_fma_f64 v[39:40], -v[39:40], v[45:46], v[83:84]
	v_fma_f64 v[83:84], v[115:116], v[45:46], v[89:90]
	v_fma_f64 v[41:42], -v[41:42], v[45:46], v[85:86]
	v_fma_f64 v[31:32], v[117:118], v[45:46], v[31:32]
	s_wait_loadcnt 0x9
	v_fma_f64 v[45:46], v[43:44], v[51:52], v[91:92]
	v_fma_f64 v[15:16], v[47:48], v[51:52], v[15:16]
	v_fma_f64 v[37:38], v[95:96], v[51:52], v[37:38]
	v_fma_f64 v[85:86], v[49:50], v[51:52], v[87:88]
	v_fma_f64 v[39:40], v[103:104], v[51:52], v[39:40]
	v_fma_f64 v[83:84], v[55:56], v[51:52], v[83:84]
	v_fma_f64 v[41:42], v[105:106], v[51:52], v[41:42]
	v_fma_f64 v[31:32], v[57:58], v[51:52], v[31:32]
	s_wait_loadcnt 0x8
	v_cvt_f64_f32_e32 v[51:52], v59
	v_cvt_f64_f32_e32 v[59:60], v60
	v_cvt_f64_f32_e32 v[87:88], v61
	v_cvt_f64_f32_e32 v[61:62], v62
	s_wait_loadcnt 0x7
	v_cvt_f64_f32_e32 v[89:90], v63
	v_cvt_f64_f32_e32 v[63:64], v64
	v_cvt_f64_f32_e32 v[91:92], v65
	v_cvt_f64_f32_e32 v[65:66], v66
	v_fma_f64 v[45:46], -v[47:48], v[53:54], v[45:46]
	v_fma_f64 v[15:16], v[43:44], v[53:54], v[15:16]
	v_fma_f64 v[37:38], -v[49:50], v[53:54], v[37:38]
	v_fma_f64 v[43:44], v[95:96], v[53:54], v[85:86]
	v_fma_f64 v[39:40], -v[55:56], v[53:54], v[39:40]
	v_fma_f64 v[47:48], v[103:104], v[53:54], v[83:84]
	v_fma_f64 v[41:42], -v[57:58], v[53:54], v[41:42]
	v_fma_f64 v[31:32], v[105:106], v[53:54], v[31:32]
	;; [unrolled: 27-line block ×4, first 2 shown]
	s_wait_loadcnt 0x0
	v_fma_f64 v[13:14], v[31:32], v[33:34], v[45:46]
	v_fma_f64 v[15:16], v[27:28], v[33:34], v[15:16]
	;; [unrolled: 1-line block ×8, first 2 shown]
	v_fma_f64 v[33:34], -v[27:28], v[35:36], v[13:14]
	v_fma_f64 v[27:28], v[31:32], v[35:36], v[15:16]
	v_fma_f64 v[41:42], -v[29:30], v[35:36], v[37:38]
	v_fma_f64 v[31:32], v[51:52], v[35:36], v[43:44]
	;; [unrolled: 2-line block ×4, first 2 shown]
	s_wait_alu 0xfffe
	s_and_not1_b32 exec_lo, exec_lo, s7
	s_cbranch_execnz .LBB179_33
; %bb.34:
	s_or_b32 exec_lo, exec_lo, s7
.LBB179_35:
	s_wait_alu 0xfffe
	s_or_b32 exec_lo, exec_lo, s6
.LBB179_36:
	s_wait_alu 0xfffe
	s_or_b32 exec_lo, exec_lo, s3
.LBB179_37:
	v_mbcnt_lo_u32_b32 v43, -1, 0
	s_delay_alu instid0(VALU_DEP_1) | instskip(NEXT) | instid1(VALU_DEP_1)
	v_or_b32_e32 v9, 32, v43
	v_cmp_gt_i32_e32 vcc_lo, 32, v9
	s_wait_alu 0xfffd
	v_cndmask_b32_e32 v9, v43, v9, vcc_lo
	s_delay_alu instid0(VALU_DEP_1)
	v_lshlrev_b32_e32 v26, 2, v9
	ds_bpermute_b32 v11, v26, v27
	ds_bpermute_b32 v12, v26, v28
	s_wait_dscnt 0x0
	v_add_f64_e32 v[11:12], v[27:28], v[11:12]
	v_xor_b32_e32 v27, 16, v43
	s_delay_alu instid0(VALU_DEP_1)
	v_cmp_gt_i32_e32 vcc_lo, 32, v27
	s_wait_alu 0xfffd
	v_cndmask_b32_e32 v27, v43, v27, vcc_lo
	ds_bpermute_b32 v9, v26, v33
	ds_bpermute_b32 v10, v26, v34
	;; [unrolled: 1-line block ×14, first 2 shown]
	s_wait_dscnt 0xc
	v_add_f64_e32 v[9:10], v[33:34], v[9:10]
	s_wait_dscnt 0xa
	v_add_f64_e32 v[13:14], v[41:42], v[13:14]
	v_lshlrev_b32_e32 v42, 2, v27
	s_wait_dscnt 0x8
	v_add_f64_e32 v[15:16], v[31:32], v[15:16]
	s_wait_dscnt 0x6
	v_add_f64_e32 v[17:18], v[39:40], v[17:18]
	;; [unrolled: 2-line block ×4, first 2 shown]
	ds_bpermute_b32 v29, v42, v11
	s_wait_dscnt 0x1
	v_add_f64_e32 v[25:26], v[35:36], v[25:26]
	ds_bpermute_b32 v30, v42, v12
	s_wait_dscnt 0x0
	v_add_f64_e32 v[11:12], v[11:12], v[29:30]
	ds_bpermute_b32 v27, v42, v9
	ds_bpermute_b32 v28, v42, v10
	;; [unrolled: 1-line block ×14, first 2 shown]
	s_wait_dscnt 0xc
	v_add_f64_e32 v[9:10], v[9:10], v[27:28]
	v_xor_b32_e32 v27, 8, v43
	s_wait_dscnt 0xa
	v_add_f64_e32 v[13:14], v[13:14], v[31:32]
	s_wait_dscnt 0x8
	v_add_f64_e32 v[15:16], v[15:16], v[33:34]
	;; [unrolled: 2-line block ×3, first 2 shown]
	v_cmp_gt_i32_e32 vcc_lo, 32, v27
	s_wait_dscnt 0x4
	v_add_f64_e32 v[19:20], v[19:20], v[37:38]
	s_wait_dscnt 0x2
	v_add_f64_e32 v[23:24], v[23:24], v[39:40]
	;; [unrolled: 2-line block ×3, first 2 shown]
	s_wait_alu 0xfffd
	v_cndmask_b32_e32 v27, v43, v27, vcc_lo
	s_delay_alu instid0(VALU_DEP_1)
	v_lshlrev_b32_e32 v42, 2, v27
	ds_bpermute_b32 v29, v42, v11
	ds_bpermute_b32 v30, v42, v12
	;; [unrolled: 1-line block ×16, first 2 shown]
	s_wait_dscnt 0xe
	v_add_f64_e32 v[11:12], v[11:12], v[29:30]
	s_wait_dscnt 0xc
	v_add_f64_e32 v[9:10], v[9:10], v[27:28]
	v_xor_b32_e32 v27, 4, v43
	s_wait_dscnt 0xa
	v_add_f64_e32 v[13:14], v[13:14], v[31:32]
	s_wait_dscnt 0x8
	v_add_f64_e32 v[15:16], v[15:16], v[33:34]
	;; [unrolled: 2-line block ×3, first 2 shown]
	v_cmp_gt_i32_e32 vcc_lo, 32, v27
	s_wait_dscnt 0x4
	v_add_f64_e32 v[19:20], v[19:20], v[37:38]
	s_wait_dscnt 0x2
	v_add_f64_e32 v[23:24], v[23:24], v[39:40]
	;; [unrolled: 2-line block ×3, first 2 shown]
	s_wait_alu 0xfffd
	v_cndmask_b32_e32 v27, v43, v27, vcc_lo
	s_delay_alu instid0(VALU_DEP_1)
	v_lshlrev_b32_e32 v42, 2, v27
	ds_bpermute_b32 v29, v42, v11
	ds_bpermute_b32 v30, v42, v12
	;; [unrolled: 1-line block ×16, first 2 shown]
	s_wait_dscnt 0xe
	v_add_f64_e32 v[11:12], v[11:12], v[29:30]
	s_wait_dscnt 0xc
	v_add_f64_e32 v[9:10], v[9:10], v[27:28]
	;; [unrolled: 2-line block ×8, first 2 shown]
	v_xor_b32_e32 v25, 2, v43
	s_delay_alu instid0(VALU_DEP_1) | instskip(SKIP_2) | instid1(VALU_DEP_1)
	v_cmp_gt_i32_e32 vcc_lo, 32, v25
	s_wait_alu 0xfffd
	v_cndmask_b32_e32 v25, v43, v25, vcc_lo
	v_lshlrev_b32_e32 v42, 2, v25
	ds_bpermute_b32 v29, v42, v11
	ds_bpermute_b32 v30, v42, v12
	;; [unrolled: 1-line block ×16, first 2 shown]
	s_wait_dscnt 0xe
	v_add_f64_e32 v[29:30], v[11:12], v[29:30]
	s_wait_dscnt 0xc
	v_add_f64_e32 v[9:10], v[9:10], v[25:26]
	;; [unrolled: 2-line block ×7, first 2 shown]
	v_xor_b32_e32 v23, 1, v43
	s_wait_dscnt 0x0
	v_add_f64_e32 v[17:18], v[27:28], v[41:42]
	s_delay_alu instid0(VALU_DEP_2) | instskip(SKIP_3) | instid1(VALU_DEP_2)
	v_cmp_gt_i32_e32 vcc_lo, 32, v23
	s_wait_alu 0xfffd
	v_cndmask_b32_e32 v23, v43, v23, vcc_lo
	v_cmp_eq_u32_e32 vcc_lo, 63, v0
	v_lshlrev_b32_e32 v36, 2, v23
	ds_bpermute_b32 v41, v36, v29
	ds_bpermute_b32 v42, v36, v30
	;; [unrolled: 1-line block ×16, first 2 shown]
	s_and_b32 exec_lo, exec_lo, vcc_lo
	s_cbranch_execz .LBB179_8
; %bb.38:
	s_wait_dscnt 0xe
	v_add_f64_e32 v[29:30], v[29:30], v[41:42]
	s_wait_dscnt 0x8
	v_add_f64_e32 v[25:26], v[25:26], v[39:40]
	s_wait_dscnt 0x4
	v_add_f64_e32 v[19:20], v[19:20], v[37:38]
	s_wait_dscnt 0x0
	v_add_f64_e32 v[17:18], v[17:18], v[35:36]
	v_add_f64_e32 v[9:10], v[9:10], v[23:24]
	v_add_f64_e32 v[11:12], v[11:12], v[27:28]
	;; [unrolled: 1-line block ×4, first 2 shown]
	v_cmp_eq_f64_e32 vcc_lo, 0, v[1:2]
	v_cmp_eq_f64_e64 s2, 0, v[3:4]
	s_load_b64 s[0:1], s[0:1], 0x68
	v_lshlrev_b64_e32 v[21:22], 6, v[21:22]
	v_mul_f64_e64 v[13:14], v[29:30], -v[7:8]
	v_mul_f64_e32 v[15:16], v[5:6], v[29:30]
	v_mul_f64_e64 v[29:30], v[25:26], -v[7:8]
	v_mul_f64_e32 v[25:26], v[5:6], v[25:26]
	v_mul_f64_e64 v[31:32], v[19:20], -v[7:8]
	v_mul_f64_e32 v[33:34], v[5:6], v[19:20]
	v_mul_f64_e64 v[35:36], v[17:18], -v[7:8]
	v_mul_f64_e32 v[37:38], v[5:6], v[17:18]
	s_and_b32 s2, vcc_lo, s2
	v_fma_f64 v[17:18], v[5:6], v[9:10], v[13:14]
	v_fma_f64 v[19:20], v[7:8], v[9:10], v[15:16]
	;; [unrolled: 1-line block ×8, first 2 shown]
	s_wait_alu 0xfffe
	s_and_saveexec_b32 s3, s2
	s_wait_alu 0xfffe
	s_xor_b32 s2, exec_lo, s3
	s_cbranch_execz .LBB179_40
; %bb.39:
	s_wait_kmcnt 0x0
	v_add_co_u32 v0, vcc_lo, s0, v21
	s_wait_alu 0xfffd
	v_add_co_ci_u32_e64 v1, null, s1, v22, vcc_lo
                                        ; implicit-def: $vgpr21_vgpr22
	s_clause 0x3
	global_store_b128 v[0:1], v[17:20], off
	global_store_b128 v[0:1], v[13:16], off offset:16
	global_store_b128 v[0:1], v[9:12], off offset:32
	;; [unrolled: 1-line block ×3, first 2 shown]
                                        ; implicit-def: $vgpr3_vgpr4
                                        ; implicit-def: $vgpr17_vgpr18
                                        ; implicit-def: $vgpr13_vgpr14
                                        ; implicit-def: $vgpr9_vgpr10
                                        ; implicit-def: $vgpr5_vgpr6
.LBB179_40:
	s_wait_alu 0xfffe
	s_and_not1_saveexec_b32 s2, s2
	s_cbranch_execz .LBB179_8
; %bb.41:
	s_wait_kmcnt 0x0
	v_add_co_u32 v37, vcc_lo, s0, v21
	s_wait_alu 0xfffd
	v_add_co_ci_u32_e64 v38, null, s1, v22, vcc_lo
	s_clause 0x3
	global_load_b128 v[21:24], v[37:38], off
	global_load_b128 v[25:28], v[37:38], off offset:16
	global_load_b128 v[29:32], v[37:38], off offset:32
	;; [unrolled: 1-line block ×3, first 2 shown]
	s_wait_loadcnt 0x3
	v_fma_f64 v[17:18], v[1:2], v[21:22], v[17:18]
	v_fma_f64 v[19:20], v[3:4], v[21:22], v[19:20]
	s_wait_loadcnt 0x2
	v_fma_f64 v[13:14], v[1:2], v[25:26], v[13:14]
	v_fma_f64 v[15:16], v[3:4], v[25:26], v[15:16]
	;; [unrolled: 3-line block ×4, first 2 shown]
	v_fma_f64 v[5:6], -v[3:4], v[23:24], v[17:18]
	v_fma_f64 v[7:8], v[1:2], v[23:24], v[19:20]
	v_fma_f64 v[9:10], -v[3:4], v[27:28], v[13:14]
	v_fma_f64 v[11:12], v[1:2], v[27:28], v[15:16]
	;; [unrolled: 2-line block ×4, first 2 shown]
	s_clause 0x3
	global_store_b128 v[37:38], v[5:8], off
	global_store_b128 v[37:38], v[9:12], off offset:16
	global_store_b128 v[37:38], v[13:16], off offset:32
	;; [unrolled: 1-line block ×3, first 2 shown]
	s_nop 0
	s_sendmsg sendmsg(MSG_DEALLOC_VGPRS)
	s_endpgm
	.section	.rodata,"a",@progbits
	.p2align	6, 0x0
	.amdhsa_kernel _ZN9rocsparseL18bsrxmvn_4x4_kernelILj128ELj64E21rocsparse_complex_numIdEllS1_IfES2_S2_EEvT3_20rocsparse_direction_NS_24const_host_device_scalarIT1_EES4_PKS4_PKT2_SD_SA_PKT4_PKT5_S8_PT6_21rocsparse_index_base_b
		.amdhsa_group_segment_fixed_size 0
		.amdhsa_private_segment_fixed_size 0
		.amdhsa_kernarg_size 120
		.amdhsa_user_sgpr_count 2
		.amdhsa_user_sgpr_dispatch_ptr 0
		.amdhsa_user_sgpr_queue_ptr 0
		.amdhsa_user_sgpr_kernarg_segment_ptr 1
		.amdhsa_user_sgpr_dispatch_id 0
		.amdhsa_user_sgpr_private_segment_size 0
		.amdhsa_wavefront_size32 1
		.amdhsa_uses_dynamic_stack 0
		.amdhsa_enable_private_segment 0
		.amdhsa_system_sgpr_workgroup_id_x 1
		.amdhsa_system_sgpr_workgroup_id_y 0
		.amdhsa_system_sgpr_workgroup_id_z 0
		.amdhsa_system_sgpr_workgroup_info 0
		.amdhsa_system_vgpr_workitem_id 0
		.amdhsa_next_free_vgpr 139
		.amdhsa_next_free_sgpr 12
		.amdhsa_reserve_vcc 1
		.amdhsa_float_round_mode_32 0
		.amdhsa_float_round_mode_16_64 0
		.amdhsa_float_denorm_mode_32 3
		.amdhsa_float_denorm_mode_16_64 3
		.amdhsa_fp16_overflow 0
		.amdhsa_workgroup_processor_mode 1
		.amdhsa_memory_ordered 1
		.amdhsa_forward_progress 1
		.amdhsa_inst_pref_size 103
		.amdhsa_round_robin_scheduling 0
		.amdhsa_exception_fp_ieee_invalid_op 0
		.amdhsa_exception_fp_denorm_src 0
		.amdhsa_exception_fp_ieee_div_zero 0
		.amdhsa_exception_fp_ieee_overflow 0
		.amdhsa_exception_fp_ieee_underflow 0
		.amdhsa_exception_fp_ieee_inexact 0
		.amdhsa_exception_int_div_zero 0
	.end_amdhsa_kernel
	.section	.text._ZN9rocsparseL18bsrxmvn_4x4_kernelILj128ELj64E21rocsparse_complex_numIdEllS1_IfES2_S2_EEvT3_20rocsparse_direction_NS_24const_host_device_scalarIT1_EES4_PKS4_PKT2_SD_SA_PKT4_PKT5_S8_PT6_21rocsparse_index_base_b,"axG",@progbits,_ZN9rocsparseL18bsrxmvn_4x4_kernelILj128ELj64E21rocsparse_complex_numIdEllS1_IfES2_S2_EEvT3_20rocsparse_direction_NS_24const_host_device_scalarIT1_EES4_PKS4_PKT2_SD_SA_PKT4_PKT5_S8_PT6_21rocsparse_index_base_b,comdat
.Lfunc_end179:
	.size	_ZN9rocsparseL18bsrxmvn_4x4_kernelILj128ELj64E21rocsparse_complex_numIdEllS1_IfES2_S2_EEvT3_20rocsparse_direction_NS_24const_host_device_scalarIT1_EES4_PKS4_PKT2_SD_SA_PKT4_PKT5_S8_PT6_21rocsparse_index_base_b, .Lfunc_end179-_ZN9rocsparseL18bsrxmvn_4x4_kernelILj128ELj64E21rocsparse_complex_numIdEllS1_IfES2_S2_EEvT3_20rocsparse_direction_NS_24const_host_device_scalarIT1_EES4_PKS4_PKT2_SD_SA_PKT4_PKT5_S8_PT6_21rocsparse_index_base_b
                                        ; -- End function
	.set _ZN9rocsparseL18bsrxmvn_4x4_kernelILj128ELj64E21rocsparse_complex_numIdEllS1_IfES2_S2_EEvT3_20rocsparse_direction_NS_24const_host_device_scalarIT1_EES4_PKS4_PKT2_SD_SA_PKT4_PKT5_S8_PT6_21rocsparse_index_base_b.num_vgpr, 139
	.set _ZN9rocsparseL18bsrxmvn_4x4_kernelILj128ELj64E21rocsparse_complex_numIdEllS1_IfES2_S2_EEvT3_20rocsparse_direction_NS_24const_host_device_scalarIT1_EES4_PKS4_PKT2_SD_SA_PKT4_PKT5_S8_PT6_21rocsparse_index_base_b.num_agpr, 0
	.set _ZN9rocsparseL18bsrxmvn_4x4_kernelILj128ELj64E21rocsparse_complex_numIdEllS1_IfES2_S2_EEvT3_20rocsparse_direction_NS_24const_host_device_scalarIT1_EES4_PKS4_PKT2_SD_SA_PKT4_PKT5_S8_PT6_21rocsparse_index_base_b.numbered_sgpr, 12
	.set _ZN9rocsparseL18bsrxmvn_4x4_kernelILj128ELj64E21rocsparse_complex_numIdEllS1_IfES2_S2_EEvT3_20rocsparse_direction_NS_24const_host_device_scalarIT1_EES4_PKS4_PKT2_SD_SA_PKT4_PKT5_S8_PT6_21rocsparse_index_base_b.num_named_barrier, 0
	.set _ZN9rocsparseL18bsrxmvn_4x4_kernelILj128ELj64E21rocsparse_complex_numIdEllS1_IfES2_S2_EEvT3_20rocsparse_direction_NS_24const_host_device_scalarIT1_EES4_PKS4_PKT2_SD_SA_PKT4_PKT5_S8_PT6_21rocsparse_index_base_b.private_seg_size, 0
	.set _ZN9rocsparseL18bsrxmvn_4x4_kernelILj128ELj64E21rocsparse_complex_numIdEllS1_IfES2_S2_EEvT3_20rocsparse_direction_NS_24const_host_device_scalarIT1_EES4_PKS4_PKT2_SD_SA_PKT4_PKT5_S8_PT6_21rocsparse_index_base_b.uses_vcc, 1
	.set _ZN9rocsparseL18bsrxmvn_4x4_kernelILj128ELj64E21rocsparse_complex_numIdEllS1_IfES2_S2_EEvT3_20rocsparse_direction_NS_24const_host_device_scalarIT1_EES4_PKS4_PKT2_SD_SA_PKT4_PKT5_S8_PT6_21rocsparse_index_base_b.uses_flat_scratch, 0
	.set _ZN9rocsparseL18bsrxmvn_4x4_kernelILj128ELj64E21rocsparse_complex_numIdEllS1_IfES2_S2_EEvT3_20rocsparse_direction_NS_24const_host_device_scalarIT1_EES4_PKS4_PKT2_SD_SA_PKT4_PKT5_S8_PT6_21rocsparse_index_base_b.has_dyn_sized_stack, 0
	.set _ZN9rocsparseL18bsrxmvn_4x4_kernelILj128ELj64E21rocsparse_complex_numIdEllS1_IfES2_S2_EEvT3_20rocsparse_direction_NS_24const_host_device_scalarIT1_EES4_PKS4_PKT2_SD_SA_PKT4_PKT5_S8_PT6_21rocsparse_index_base_b.has_recursion, 0
	.set _ZN9rocsparseL18bsrxmvn_4x4_kernelILj128ELj64E21rocsparse_complex_numIdEllS1_IfES2_S2_EEvT3_20rocsparse_direction_NS_24const_host_device_scalarIT1_EES4_PKS4_PKT2_SD_SA_PKT4_PKT5_S8_PT6_21rocsparse_index_base_b.has_indirect_call, 0
	.section	.AMDGPU.csdata,"",@progbits
; Kernel info:
; codeLenInByte = 13164
; TotalNumSgprs: 14
; NumVgprs: 139
; ScratchSize: 0
; MemoryBound: 0
; FloatMode: 240
; IeeeMode: 1
; LDSByteSize: 0 bytes/workgroup (compile time only)
; SGPRBlocks: 0
; VGPRBlocks: 17
; NumSGPRsForWavesPerEU: 14
; NumVGPRsForWavesPerEU: 139
; Occupancy: 10
; WaveLimiterHint : 1
; COMPUTE_PGM_RSRC2:SCRATCH_EN: 0
; COMPUTE_PGM_RSRC2:USER_SGPR: 2
; COMPUTE_PGM_RSRC2:TRAP_HANDLER: 0
; COMPUTE_PGM_RSRC2:TGID_X_EN: 1
; COMPUTE_PGM_RSRC2:TGID_Y_EN: 0
; COMPUTE_PGM_RSRC2:TGID_Z_EN: 0
; COMPUTE_PGM_RSRC2:TIDIG_COMP_CNT: 0
	.section	.AMDGPU.gpr_maximums,"",@progbits
	.set amdgpu.max_num_vgpr, 0
	.set amdgpu.max_num_agpr, 0
	.set amdgpu.max_num_sgpr, 0
	.section	.AMDGPU.csdata,"",@progbits
	.type	__hip_cuid_7ee0adfd62ea586a,@object ; @__hip_cuid_7ee0adfd62ea586a
	.section	.bss,"aw",@nobits
	.globl	__hip_cuid_7ee0adfd62ea586a
__hip_cuid_7ee0adfd62ea586a:
	.byte	0                               ; 0x0
	.size	__hip_cuid_7ee0adfd62ea586a, 1

	.ident	"AMD clang version 22.0.0git (https://github.com/RadeonOpenCompute/llvm-project roc-7.2.4 26084 f58b06dce1f9c15707c5f808fd002e18c2accf7e)"
	.section	".note.GNU-stack","",@progbits
	.addrsig
	.addrsig_sym __hip_cuid_7ee0adfd62ea586a
	.amdgpu_metadata
---
amdhsa.kernels:
  - .args:
      - .offset:         0
        .size:           4
        .value_kind:     by_value
      - .offset:         4
        .size:           4
        .value_kind:     by_value
      - .offset:         8
        .size:           8
        .value_kind:     by_value
      - .offset:         16
        .size:           4
        .value_kind:     by_value
      - .actual_access:  read_only
        .address_space:  global
        .offset:         24
        .size:           8
        .value_kind:     global_buffer
      - .actual_access:  read_only
        .address_space:  global
        .offset:         32
        .size:           8
        .value_kind:     global_buffer
      - .actual_access:  read_only
        .address_space:  global
        .offset:         40
        .size:           8
        .value_kind:     global_buffer
      - .actual_access:  read_only
        .address_space:  global
        .offset:         48
        .size:           8
        .value_kind:     global_buffer
      - .actual_access:  read_only
        .address_space:  global
        .offset:         56
        .size:           8
        .value_kind:     global_buffer
      - .actual_access:  read_only
        .address_space:  global
        .offset:         64
        .size:           8
        .value_kind:     global_buffer
      - .offset:         72
        .size:           8
        .value_kind:     by_value
      - .address_space:  global
        .offset:         80
        .size:           8
        .value_kind:     global_buffer
      - .offset:         88
        .size:           4
        .value_kind:     by_value
      - .offset:         92
        .size:           1
        .value_kind:     by_value
    .group_segment_fixed_size: 0
    .kernarg_segment_align: 8
    .kernarg_segment_size: 96
    .language:       OpenCL C
    .language_version:
      - 2
      - 0
    .max_flat_workgroup_size: 128
    .name:           _ZN9rocsparseL18bsrxmvn_4x4_kernelILj128ELj4EfiifffEEvT3_20rocsparse_direction_NS_24const_host_device_scalarIT1_EES1_PKS1_PKT2_SA_S7_PKT4_PKT5_S5_PT6_21rocsparse_index_base_b
    .private_segment_fixed_size: 0
    .sgpr_count:     20
    .sgpr_spill_count: 0
    .symbol:         _ZN9rocsparseL18bsrxmvn_4x4_kernelILj128ELj4EfiifffEEvT3_20rocsparse_direction_NS_24const_host_device_scalarIT1_EES1_PKS1_PKT2_SA_S7_PKT4_PKT5_S5_PT6_21rocsparse_index_base_b.kd
    .uniform_work_group_size: 1
    .uses_dynamic_stack: false
    .vgpr_count:     96
    .vgpr_spill_count: 0
    .wavefront_size: 32
    .workgroup_processor_mode: 1
  - .args:
      - .offset:         0
        .size:           4
        .value_kind:     by_value
      - .offset:         4
        .size:           4
        .value_kind:     by_value
      - .offset:         8
        .size:           8
        .value_kind:     by_value
      - .offset:         16
        .size:           4
        .value_kind:     by_value
      - .actual_access:  read_only
        .address_space:  global
        .offset:         24
        .size:           8
        .value_kind:     global_buffer
      - .actual_access:  read_only
        .address_space:  global
        .offset:         32
        .size:           8
        .value_kind:     global_buffer
      - .actual_access:  read_only
        .address_space:  global
        .offset:         40
        .size:           8
        .value_kind:     global_buffer
      - .actual_access:  read_only
        .address_space:  global
        .offset:         48
        .size:           8
        .value_kind:     global_buffer
      - .actual_access:  read_only
        .address_space:  global
        .offset:         56
        .size:           8
        .value_kind:     global_buffer
      - .actual_access:  read_only
        .address_space:  global
        .offset:         64
        .size:           8
        .value_kind:     global_buffer
      - .offset:         72
        .size:           8
        .value_kind:     by_value
      - .address_space:  global
        .offset:         80
        .size:           8
        .value_kind:     global_buffer
      - .offset:         88
        .size:           4
        .value_kind:     by_value
      - .offset:         92
        .size:           1
        .value_kind:     by_value
    .group_segment_fixed_size: 0
    .kernarg_segment_align: 8
    .kernarg_segment_size: 96
    .language:       OpenCL C
    .language_version:
      - 2
      - 0
    .max_flat_workgroup_size: 128
    .name:           _ZN9rocsparseL18bsrxmvn_4x4_kernelILj128ELj8EfiifffEEvT3_20rocsparse_direction_NS_24const_host_device_scalarIT1_EES1_PKS1_PKT2_SA_S7_PKT4_PKT5_S5_PT6_21rocsparse_index_base_b
    .private_segment_fixed_size: 0
    .sgpr_count:     20
    .sgpr_spill_count: 0
    .symbol:         _ZN9rocsparseL18bsrxmvn_4x4_kernelILj128ELj8EfiifffEEvT3_20rocsparse_direction_NS_24const_host_device_scalarIT1_EES1_PKS1_PKT2_SA_S7_PKT4_PKT5_S5_PT6_21rocsparse_index_base_b.kd
    .uniform_work_group_size: 1
    .uses_dynamic_stack: false
    .vgpr_count:     96
    .vgpr_spill_count: 0
    .wavefront_size: 32
    .workgroup_processor_mode: 1
  - .args:
      - .offset:         0
        .size:           4
        .value_kind:     by_value
      - .offset:         4
        .size:           4
        .value_kind:     by_value
      - .offset:         8
        .size:           8
        .value_kind:     by_value
      - .offset:         16
        .size:           4
        .value_kind:     by_value
      - .actual_access:  read_only
        .address_space:  global
        .offset:         24
        .size:           8
        .value_kind:     global_buffer
      - .actual_access:  read_only
        .address_space:  global
        .offset:         32
        .size:           8
        .value_kind:     global_buffer
      - .actual_access:  read_only
        .address_space:  global
        .offset:         40
        .size:           8
        .value_kind:     global_buffer
      - .actual_access:  read_only
        .address_space:  global
        .offset:         48
        .size:           8
        .value_kind:     global_buffer
      - .actual_access:  read_only
        .address_space:  global
        .offset:         56
        .size:           8
        .value_kind:     global_buffer
      - .actual_access:  read_only
        .address_space:  global
        .offset:         64
        .size:           8
        .value_kind:     global_buffer
      - .offset:         72
        .size:           8
        .value_kind:     by_value
      - .address_space:  global
        .offset:         80
        .size:           8
        .value_kind:     global_buffer
      - .offset:         88
        .size:           4
        .value_kind:     by_value
      - .offset:         92
        .size:           1
        .value_kind:     by_value
    .group_segment_fixed_size: 0
    .kernarg_segment_align: 8
    .kernarg_segment_size: 96
    .language:       OpenCL C
    .language_version:
      - 2
      - 0
    .max_flat_workgroup_size: 128
    .name:           _ZN9rocsparseL18bsrxmvn_4x4_kernelILj128ELj16EfiifffEEvT3_20rocsparse_direction_NS_24const_host_device_scalarIT1_EES1_PKS1_PKT2_SA_S7_PKT4_PKT5_S5_PT6_21rocsparse_index_base_b
    .private_segment_fixed_size: 0
    .sgpr_count:     20
    .sgpr_spill_count: 0
    .symbol:         _ZN9rocsparseL18bsrxmvn_4x4_kernelILj128ELj16EfiifffEEvT3_20rocsparse_direction_NS_24const_host_device_scalarIT1_EES1_PKS1_PKT2_SA_S7_PKT4_PKT5_S5_PT6_21rocsparse_index_base_b.kd
    .uniform_work_group_size: 1
    .uses_dynamic_stack: false
    .vgpr_count:     96
    .vgpr_spill_count: 0
    .wavefront_size: 32
    .workgroup_processor_mode: 1
  - .args:
      - .offset:         0
        .size:           4
        .value_kind:     by_value
      - .offset:         4
        .size:           4
        .value_kind:     by_value
      - .offset:         8
        .size:           8
        .value_kind:     by_value
      - .offset:         16
        .size:           4
        .value_kind:     by_value
      - .actual_access:  read_only
        .address_space:  global
        .offset:         24
        .size:           8
        .value_kind:     global_buffer
      - .actual_access:  read_only
        .address_space:  global
        .offset:         32
        .size:           8
        .value_kind:     global_buffer
      - .actual_access:  read_only
        .address_space:  global
        .offset:         40
        .size:           8
        .value_kind:     global_buffer
      - .actual_access:  read_only
        .address_space:  global
        .offset:         48
        .size:           8
        .value_kind:     global_buffer
      - .actual_access:  read_only
        .address_space:  global
        .offset:         56
        .size:           8
        .value_kind:     global_buffer
      - .actual_access:  read_only
        .address_space:  global
        .offset:         64
        .size:           8
        .value_kind:     global_buffer
      - .offset:         72
        .size:           8
        .value_kind:     by_value
      - .address_space:  global
        .offset:         80
        .size:           8
        .value_kind:     global_buffer
      - .offset:         88
        .size:           4
        .value_kind:     by_value
      - .offset:         92
        .size:           1
        .value_kind:     by_value
    .group_segment_fixed_size: 0
    .kernarg_segment_align: 8
    .kernarg_segment_size: 96
    .language:       OpenCL C
    .language_version:
      - 2
      - 0
    .max_flat_workgroup_size: 128
    .name:           _ZN9rocsparseL18bsrxmvn_4x4_kernelILj128ELj32EfiifffEEvT3_20rocsparse_direction_NS_24const_host_device_scalarIT1_EES1_PKS1_PKT2_SA_S7_PKT4_PKT5_S5_PT6_21rocsparse_index_base_b
    .private_segment_fixed_size: 0
    .sgpr_count:     20
    .sgpr_spill_count: 0
    .symbol:         _ZN9rocsparseL18bsrxmvn_4x4_kernelILj128ELj32EfiifffEEvT3_20rocsparse_direction_NS_24const_host_device_scalarIT1_EES1_PKS1_PKT2_SA_S7_PKT4_PKT5_S5_PT6_21rocsparse_index_base_b.kd
    .uniform_work_group_size: 1
    .uses_dynamic_stack: false
    .vgpr_count:     96
    .vgpr_spill_count: 0
    .wavefront_size: 32
    .workgroup_processor_mode: 1
  - .args:
      - .offset:         0
        .size:           4
        .value_kind:     by_value
      - .offset:         4
        .size:           4
        .value_kind:     by_value
      - .offset:         8
        .size:           8
        .value_kind:     by_value
      - .offset:         16
        .size:           4
        .value_kind:     by_value
      - .actual_access:  read_only
        .address_space:  global
        .offset:         24
        .size:           8
        .value_kind:     global_buffer
      - .actual_access:  read_only
        .address_space:  global
        .offset:         32
        .size:           8
        .value_kind:     global_buffer
      - .actual_access:  read_only
        .address_space:  global
        .offset:         40
        .size:           8
        .value_kind:     global_buffer
      - .actual_access:  read_only
        .address_space:  global
        .offset:         48
        .size:           8
        .value_kind:     global_buffer
      - .actual_access:  read_only
        .address_space:  global
        .offset:         56
        .size:           8
        .value_kind:     global_buffer
      - .actual_access:  read_only
        .address_space:  global
        .offset:         64
        .size:           8
        .value_kind:     global_buffer
      - .offset:         72
        .size:           8
        .value_kind:     by_value
      - .address_space:  global
        .offset:         80
        .size:           8
        .value_kind:     global_buffer
      - .offset:         88
        .size:           4
        .value_kind:     by_value
      - .offset:         92
        .size:           1
        .value_kind:     by_value
    .group_segment_fixed_size: 0
    .kernarg_segment_align: 8
    .kernarg_segment_size: 96
    .language:       OpenCL C
    .language_version:
      - 2
      - 0
    .max_flat_workgroup_size: 128
    .name:           _ZN9rocsparseL18bsrxmvn_4x4_kernelILj128ELj64EfiifffEEvT3_20rocsparse_direction_NS_24const_host_device_scalarIT1_EES1_PKS1_PKT2_SA_S7_PKT4_PKT5_S5_PT6_21rocsparse_index_base_b
    .private_segment_fixed_size: 0
    .sgpr_count:     20
    .sgpr_spill_count: 0
    .symbol:         _ZN9rocsparseL18bsrxmvn_4x4_kernelILj128ELj64EfiifffEEvT3_20rocsparse_direction_NS_24const_host_device_scalarIT1_EES1_PKS1_PKT2_SA_S7_PKT4_PKT5_S5_PT6_21rocsparse_index_base_b.kd
    .uniform_work_group_size: 1
    .uses_dynamic_stack: false
    .vgpr_count:     96
    .vgpr_spill_count: 0
    .wavefront_size: 32
    .workgroup_processor_mode: 1
  - .args:
      - .offset:         0
        .size:           4
        .value_kind:     by_value
      - .offset:         4
        .size:           4
        .value_kind:     by_value
      - .offset:         8
        .size:           8
        .value_kind:     by_value
      - .offset:         16
        .size:           4
        .value_kind:     by_value
      - .actual_access:  read_only
        .address_space:  global
        .offset:         24
        .size:           8
        .value_kind:     global_buffer
      - .actual_access:  read_only
        .address_space:  global
        .offset:         32
        .size:           8
        .value_kind:     global_buffer
      - .actual_access:  read_only
        .address_space:  global
        .offset:         40
        .size:           8
        .value_kind:     global_buffer
      - .actual_access:  read_only
        .address_space:  global
        .offset:         48
        .size:           8
        .value_kind:     global_buffer
      - .actual_access:  read_only
        .address_space:  global
        .offset:         56
        .size:           8
        .value_kind:     global_buffer
      - .actual_access:  read_only
        .address_space:  global
        .offset:         64
        .size:           8
        .value_kind:     global_buffer
      - .offset:         72
        .size:           8
        .value_kind:     by_value
      - .address_space:  global
        .offset:         80
        .size:           8
        .value_kind:     global_buffer
      - .offset:         88
        .size:           4
        .value_kind:     by_value
      - .offset:         92
        .size:           1
        .value_kind:     by_value
    .group_segment_fixed_size: 0
    .kernarg_segment_align: 8
    .kernarg_segment_size: 96
    .language:       OpenCL C
    .language_version:
      - 2
      - 0
    .max_flat_workgroup_size: 128
    .name:           _ZN9rocsparseL18bsrxmvn_4x4_kernelILj128ELj4EdiidddEEvT3_20rocsparse_direction_NS_24const_host_device_scalarIT1_EES1_PKS1_PKT2_SA_S7_PKT4_PKT5_S5_PT6_21rocsparse_index_base_b
    .private_segment_fixed_size: 0
    .sgpr_count:     16
    .sgpr_spill_count: 0
    .symbol:         _ZN9rocsparseL18bsrxmvn_4x4_kernelILj128ELj4EdiidddEEvT3_20rocsparse_direction_NS_24const_host_device_scalarIT1_EES1_PKS1_PKT2_SA_S7_PKT4_PKT5_S5_PT6_21rocsparse_index_base_b.kd
    .uniform_work_group_size: 1
    .uses_dynamic_stack: false
    .vgpr_count:     129
    .vgpr_spill_count: 0
    .wavefront_size: 32
    .workgroup_processor_mode: 1
  - .args:
      - .offset:         0
        .size:           4
        .value_kind:     by_value
      - .offset:         4
        .size:           4
        .value_kind:     by_value
      - .offset:         8
        .size:           8
        .value_kind:     by_value
      - .offset:         16
        .size:           4
        .value_kind:     by_value
      - .actual_access:  read_only
        .address_space:  global
        .offset:         24
        .size:           8
        .value_kind:     global_buffer
      - .actual_access:  read_only
        .address_space:  global
        .offset:         32
        .size:           8
        .value_kind:     global_buffer
      - .actual_access:  read_only
        .address_space:  global
        .offset:         40
        .size:           8
        .value_kind:     global_buffer
      - .actual_access:  read_only
        .address_space:  global
        .offset:         48
        .size:           8
        .value_kind:     global_buffer
      - .actual_access:  read_only
        .address_space:  global
        .offset:         56
        .size:           8
        .value_kind:     global_buffer
      - .actual_access:  read_only
        .address_space:  global
        .offset:         64
        .size:           8
        .value_kind:     global_buffer
      - .offset:         72
        .size:           8
        .value_kind:     by_value
      - .address_space:  global
        .offset:         80
        .size:           8
        .value_kind:     global_buffer
      - .offset:         88
        .size:           4
        .value_kind:     by_value
      - .offset:         92
        .size:           1
        .value_kind:     by_value
    .group_segment_fixed_size: 0
    .kernarg_segment_align: 8
    .kernarg_segment_size: 96
    .language:       OpenCL C
    .language_version:
      - 2
      - 0
    .max_flat_workgroup_size: 128
    .name:           _ZN9rocsparseL18bsrxmvn_4x4_kernelILj128ELj8EdiidddEEvT3_20rocsparse_direction_NS_24const_host_device_scalarIT1_EES1_PKS1_PKT2_SA_S7_PKT4_PKT5_S5_PT6_21rocsparse_index_base_b
    .private_segment_fixed_size: 0
    .sgpr_count:     16
    .sgpr_spill_count: 0
    .symbol:         _ZN9rocsparseL18bsrxmvn_4x4_kernelILj128ELj8EdiidddEEvT3_20rocsparse_direction_NS_24const_host_device_scalarIT1_EES1_PKS1_PKT2_SA_S7_PKT4_PKT5_S5_PT6_21rocsparse_index_base_b.kd
    .uniform_work_group_size: 1
    .uses_dynamic_stack: false
    .vgpr_count:     129
    .vgpr_spill_count: 0
    .wavefront_size: 32
    .workgroup_processor_mode: 1
  - .args:
      - .offset:         0
        .size:           4
        .value_kind:     by_value
      - .offset:         4
        .size:           4
        .value_kind:     by_value
      - .offset:         8
        .size:           8
        .value_kind:     by_value
      - .offset:         16
        .size:           4
        .value_kind:     by_value
      - .actual_access:  read_only
        .address_space:  global
        .offset:         24
        .size:           8
        .value_kind:     global_buffer
      - .actual_access:  read_only
        .address_space:  global
        .offset:         32
        .size:           8
        .value_kind:     global_buffer
      - .actual_access:  read_only
        .address_space:  global
        .offset:         40
        .size:           8
        .value_kind:     global_buffer
      - .actual_access:  read_only
        .address_space:  global
        .offset:         48
        .size:           8
        .value_kind:     global_buffer
      - .actual_access:  read_only
        .address_space:  global
        .offset:         56
        .size:           8
        .value_kind:     global_buffer
      - .actual_access:  read_only
        .address_space:  global
        .offset:         64
        .size:           8
        .value_kind:     global_buffer
      - .offset:         72
        .size:           8
        .value_kind:     by_value
      - .address_space:  global
        .offset:         80
        .size:           8
        .value_kind:     global_buffer
      - .offset:         88
        .size:           4
        .value_kind:     by_value
      - .offset:         92
        .size:           1
        .value_kind:     by_value
    .group_segment_fixed_size: 0
    .kernarg_segment_align: 8
    .kernarg_segment_size: 96
    .language:       OpenCL C
    .language_version:
      - 2
      - 0
    .max_flat_workgroup_size: 128
    .name:           _ZN9rocsparseL18bsrxmvn_4x4_kernelILj128ELj16EdiidddEEvT3_20rocsparse_direction_NS_24const_host_device_scalarIT1_EES1_PKS1_PKT2_SA_S7_PKT4_PKT5_S5_PT6_21rocsparse_index_base_b
    .private_segment_fixed_size: 0
    .sgpr_count:     16
    .sgpr_spill_count: 0
    .symbol:         _ZN9rocsparseL18bsrxmvn_4x4_kernelILj128ELj16EdiidddEEvT3_20rocsparse_direction_NS_24const_host_device_scalarIT1_EES1_PKS1_PKT2_SA_S7_PKT4_PKT5_S5_PT6_21rocsparse_index_base_b.kd
    .uniform_work_group_size: 1
    .uses_dynamic_stack: false
    .vgpr_count:     129
    .vgpr_spill_count: 0
    .wavefront_size: 32
    .workgroup_processor_mode: 1
  - .args:
      - .offset:         0
        .size:           4
        .value_kind:     by_value
      - .offset:         4
        .size:           4
        .value_kind:     by_value
      - .offset:         8
        .size:           8
        .value_kind:     by_value
      - .offset:         16
        .size:           4
        .value_kind:     by_value
      - .actual_access:  read_only
        .address_space:  global
        .offset:         24
        .size:           8
        .value_kind:     global_buffer
      - .actual_access:  read_only
        .address_space:  global
        .offset:         32
        .size:           8
        .value_kind:     global_buffer
      - .actual_access:  read_only
        .address_space:  global
        .offset:         40
        .size:           8
        .value_kind:     global_buffer
      - .actual_access:  read_only
        .address_space:  global
        .offset:         48
        .size:           8
        .value_kind:     global_buffer
      - .actual_access:  read_only
        .address_space:  global
        .offset:         56
        .size:           8
        .value_kind:     global_buffer
      - .actual_access:  read_only
        .address_space:  global
        .offset:         64
        .size:           8
        .value_kind:     global_buffer
      - .offset:         72
        .size:           8
        .value_kind:     by_value
      - .address_space:  global
        .offset:         80
        .size:           8
        .value_kind:     global_buffer
      - .offset:         88
        .size:           4
        .value_kind:     by_value
      - .offset:         92
        .size:           1
        .value_kind:     by_value
    .group_segment_fixed_size: 0
    .kernarg_segment_align: 8
    .kernarg_segment_size: 96
    .language:       OpenCL C
    .language_version:
      - 2
      - 0
    .max_flat_workgroup_size: 128
    .name:           _ZN9rocsparseL18bsrxmvn_4x4_kernelILj128ELj32EdiidddEEvT3_20rocsparse_direction_NS_24const_host_device_scalarIT1_EES1_PKS1_PKT2_SA_S7_PKT4_PKT5_S5_PT6_21rocsparse_index_base_b
    .private_segment_fixed_size: 0
    .sgpr_count:     16
    .sgpr_spill_count: 0
    .symbol:         _ZN9rocsparseL18bsrxmvn_4x4_kernelILj128ELj32EdiidddEEvT3_20rocsparse_direction_NS_24const_host_device_scalarIT1_EES1_PKS1_PKT2_SA_S7_PKT4_PKT5_S5_PT6_21rocsparse_index_base_b.kd
    .uniform_work_group_size: 1
    .uses_dynamic_stack: false
    .vgpr_count:     129
    .vgpr_spill_count: 0
    .wavefront_size: 32
    .workgroup_processor_mode: 1
  - .args:
      - .offset:         0
        .size:           4
        .value_kind:     by_value
      - .offset:         4
        .size:           4
        .value_kind:     by_value
      - .offset:         8
        .size:           8
        .value_kind:     by_value
      - .offset:         16
        .size:           4
        .value_kind:     by_value
      - .actual_access:  read_only
        .address_space:  global
        .offset:         24
        .size:           8
        .value_kind:     global_buffer
      - .actual_access:  read_only
        .address_space:  global
        .offset:         32
        .size:           8
        .value_kind:     global_buffer
      - .actual_access:  read_only
        .address_space:  global
        .offset:         40
        .size:           8
        .value_kind:     global_buffer
      - .actual_access:  read_only
        .address_space:  global
        .offset:         48
        .size:           8
        .value_kind:     global_buffer
      - .actual_access:  read_only
        .address_space:  global
        .offset:         56
        .size:           8
        .value_kind:     global_buffer
      - .actual_access:  read_only
        .address_space:  global
        .offset:         64
        .size:           8
        .value_kind:     global_buffer
      - .offset:         72
        .size:           8
        .value_kind:     by_value
      - .address_space:  global
        .offset:         80
        .size:           8
        .value_kind:     global_buffer
      - .offset:         88
        .size:           4
        .value_kind:     by_value
      - .offset:         92
        .size:           1
        .value_kind:     by_value
    .group_segment_fixed_size: 0
    .kernarg_segment_align: 8
    .kernarg_segment_size: 96
    .language:       OpenCL C
    .language_version:
      - 2
      - 0
    .max_flat_workgroup_size: 128
    .name:           _ZN9rocsparseL18bsrxmvn_4x4_kernelILj128ELj64EdiidddEEvT3_20rocsparse_direction_NS_24const_host_device_scalarIT1_EES1_PKS1_PKT2_SA_S7_PKT4_PKT5_S5_PT6_21rocsparse_index_base_b
    .private_segment_fixed_size: 0
    .sgpr_count:     16
    .sgpr_spill_count: 0
    .symbol:         _ZN9rocsparseL18bsrxmvn_4x4_kernelILj128ELj64EdiidddEEvT3_20rocsparse_direction_NS_24const_host_device_scalarIT1_EES1_PKS1_PKT2_SA_S7_PKT4_PKT5_S5_PT6_21rocsparse_index_base_b.kd
    .uniform_work_group_size: 1
    .uses_dynamic_stack: false
    .vgpr_count:     129
    .vgpr_spill_count: 0
    .wavefront_size: 32
    .workgroup_processor_mode: 1
  - .args:
      - .offset:         0
        .size:           4
        .value_kind:     by_value
      - .offset:         4
        .size:           4
        .value_kind:     by_value
      - .offset:         8
        .size:           8
        .value_kind:     by_value
      - .offset:         16
        .size:           4
        .value_kind:     by_value
      - .actual_access:  read_only
        .address_space:  global
        .offset:         24
        .size:           8
        .value_kind:     global_buffer
      - .actual_access:  read_only
        .address_space:  global
        .offset:         32
        .size:           8
        .value_kind:     global_buffer
      - .actual_access:  read_only
        .address_space:  global
        .offset:         40
        .size:           8
        .value_kind:     global_buffer
      - .actual_access:  read_only
        .address_space:  global
        .offset:         48
        .size:           8
        .value_kind:     global_buffer
      - .actual_access:  read_only
        .address_space:  global
        .offset:         56
        .size:           8
        .value_kind:     global_buffer
      - .actual_access:  read_only
        .address_space:  global
        .offset:         64
        .size:           8
        .value_kind:     global_buffer
      - .offset:         72
        .size:           8
        .value_kind:     by_value
      - .address_space:  global
        .offset:         80
        .size:           8
        .value_kind:     global_buffer
      - .offset:         88
        .size:           4
        .value_kind:     by_value
      - .offset:         92
        .size:           1
        .value_kind:     by_value
    .group_segment_fixed_size: 0
    .kernarg_segment_align: 8
    .kernarg_segment_size: 96
    .language:       OpenCL C
    .language_version:
      - 2
      - 0
    .max_flat_workgroup_size: 128
    .name:           _ZN9rocsparseL18bsrxmvn_4x4_kernelILj128ELj4E21rocsparse_complex_numIfEiiS2_S2_S2_EEvT3_20rocsparse_direction_NS_24const_host_device_scalarIT1_EES3_PKS3_PKT2_SC_S9_PKT4_PKT5_S7_PT6_21rocsparse_index_base_b
    .private_segment_fixed_size: 0
    .sgpr_count:     16
    .sgpr_spill_count: 0
    .symbol:         _ZN9rocsparseL18bsrxmvn_4x4_kernelILj128ELj4E21rocsparse_complex_numIfEiiS2_S2_S2_EEvT3_20rocsparse_direction_NS_24const_host_device_scalarIT1_EES3_PKS3_PKT2_SC_S9_PKT4_PKT5_S7_PT6_21rocsparse_index_base_b.kd
    .uniform_work_group_size: 1
    .uses_dynamic_stack: false
    .vgpr_count:     152
    .vgpr_spill_count: 0
    .wavefront_size: 32
    .workgroup_processor_mode: 1
  - .args:
      - .offset:         0
        .size:           4
        .value_kind:     by_value
      - .offset:         4
        .size:           4
        .value_kind:     by_value
      - .offset:         8
        .size:           8
        .value_kind:     by_value
      - .offset:         16
        .size:           4
        .value_kind:     by_value
      - .actual_access:  read_only
        .address_space:  global
        .offset:         24
        .size:           8
        .value_kind:     global_buffer
      - .actual_access:  read_only
        .address_space:  global
        .offset:         32
        .size:           8
        .value_kind:     global_buffer
      - .actual_access:  read_only
        .address_space:  global
        .offset:         40
        .size:           8
        .value_kind:     global_buffer
      - .actual_access:  read_only
        .address_space:  global
        .offset:         48
        .size:           8
        .value_kind:     global_buffer
      - .actual_access:  read_only
        .address_space:  global
        .offset:         56
        .size:           8
        .value_kind:     global_buffer
      - .actual_access:  read_only
        .address_space:  global
        .offset:         64
        .size:           8
        .value_kind:     global_buffer
      - .offset:         72
        .size:           8
        .value_kind:     by_value
      - .address_space:  global
        .offset:         80
        .size:           8
        .value_kind:     global_buffer
      - .offset:         88
        .size:           4
        .value_kind:     by_value
      - .offset:         92
        .size:           1
        .value_kind:     by_value
    .group_segment_fixed_size: 0
    .kernarg_segment_align: 8
    .kernarg_segment_size: 96
    .language:       OpenCL C
    .language_version:
      - 2
      - 0
    .max_flat_workgroup_size: 128
    .name:           _ZN9rocsparseL18bsrxmvn_4x4_kernelILj128ELj8E21rocsparse_complex_numIfEiiS2_S2_S2_EEvT3_20rocsparse_direction_NS_24const_host_device_scalarIT1_EES3_PKS3_PKT2_SC_S9_PKT4_PKT5_S7_PT6_21rocsparse_index_base_b
    .private_segment_fixed_size: 0
    .sgpr_count:     16
    .sgpr_spill_count: 0
    .symbol:         _ZN9rocsparseL18bsrxmvn_4x4_kernelILj128ELj8E21rocsparse_complex_numIfEiiS2_S2_S2_EEvT3_20rocsparse_direction_NS_24const_host_device_scalarIT1_EES3_PKS3_PKT2_SC_S9_PKT4_PKT5_S7_PT6_21rocsparse_index_base_b.kd
    .uniform_work_group_size: 1
    .uses_dynamic_stack: false
    .vgpr_count:     152
    .vgpr_spill_count: 0
    .wavefront_size: 32
    .workgroup_processor_mode: 1
  - .args:
      - .offset:         0
        .size:           4
        .value_kind:     by_value
      - .offset:         4
        .size:           4
        .value_kind:     by_value
      - .offset:         8
        .size:           8
        .value_kind:     by_value
      - .offset:         16
        .size:           4
        .value_kind:     by_value
      - .actual_access:  read_only
        .address_space:  global
        .offset:         24
        .size:           8
        .value_kind:     global_buffer
      - .actual_access:  read_only
        .address_space:  global
        .offset:         32
        .size:           8
        .value_kind:     global_buffer
      - .actual_access:  read_only
        .address_space:  global
        .offset:         40
        .size:           8
        .value_kind:     global_buffer
      - .actual_access:  read_only
        .address_space:  global
        .offset:         48
        .size:           8
        .value_kind:     global_buffer
      - .actual_access:  read_only
        .address_space:  global
        .offset:         56
        .size:           8
        .value_kind:     global_buffer
      - .actual_access:  read_only
        .address_space:  global
        .offset:         64
        .size:           8
        .value_kind:     global_buffer
      - .offset:         72
        .size:           8
        .value_kind:     by_value
      - .address_space:  global
        .offset:         80
        .size:           8
        .value_kind:     global_buffer
      - .offset:         88
        .size:           4
        .value_kind:     by_value
      - .offset:         92
        .size:           1
        .value_kind:     by_value
    .group_segment_fixed_size: 0
    .kernarg_segment_align: 8
    .kernarg_segment_size: 96
    .language:       OpenCL C
    .language_version:
      - 2
      - 0
    .max_flat_workgroup_size: 128
    .name:           _ZN9rocsparseL18bsrxmvn_4x4_kernelILj128ELj16E21rocsparse_complex_numIfEiiS2_S2_S2_EEvT3_20rocsparse_direction_NS_24const_host_device_scalarIT1_EES3_PKS3_PKT2_SC_S9_PKT4_PKT5_S7_PT6_21rocsparse_index_base_b
    .private_segment_fixed_size: 0
    .sgpr_count:     16
    .sgpr_spill_count: 0
    .symbol:         _ZN9rocsparseL18bsrxmvn_4x4_kernelILj128ELj16E21rocsparse_complex_numIfEiiS2_S2_S2_EEvT3_20rocsparse_direction_NS_24const_host_device_scalarIT1_EES3_PKS3_PKT2_SC_S9_PKT4_PKT5_S7_PT6_21rocsparse_index_base_b.kd
    .uniform_work_group_size: 1
    .uses_dynamic_stack: false
    .vgpr_count:     152
    .vgpr_spill_count: 0
    .wavefront_size: 32
    .workgroup_processor_mode: 1
  - .args:
      - .offset:         0
        .size:           4
        .value_kind:     by_value
      - .offset:         4
        .size:           4
        .value_kind:     by_value
      - .offset:         8
        .size:           8
        .value_kind:     by_value
      - .offset:         16
        .size:           4
        .value_kind:     by_value
      - .actual_access:  read_only
        .address_space:  global
        .offset:         24
        .size:           8
        .value_kind:     global_buffer
      - .actual_access:  read_only
        .address_space:  global
        .offset:         32
        .size:           8
        .value_kind:     global_buffer
      - .actual_access:  read_only
        .address_space:  global
        .offset:         40
        .size:           8
        .value_kind:     global_buffer
      - .actual_access:  read_only
        .address_space:  global
        .offset:         48
        .size:           8
        .value_kind:     global_buffer
      - .actual_access:  read_only
        .address_space:  global
        .offset:         56
        .size:           8
        .value_kind:     global_buffer
      - .actual_access:  read_only
        .address_space:  global
        .offset:         64
        .size:           8
        .value_kind:     global_buffer
      - .offset:         72
        .size:           8
        .value_kind:     by_value
      - .address_space:  global
        .offset:         80
        .size:           8
        .value_kind:     global_buffer
      - .offset:         88
        .size:           4
        .value_kind:     by_value
      - .offset:         92
        .size:           1
        .value_kind:     by_value
    .group_segment_fixed_size: 0
    .kernarg_segment_align: 8
    .kernarg_segment_size: 96
    .language:       OpenCL C
    .language_version:
      - 2
      - 0
    .max_flat_workgroup_size: 128
    .name:           _ZN9rocsparseL18bsrxmvn_4x4_kernelILj128ELj32E21rocsparse_complex_numIfEiiS2_S2_S2_EEvT3_20rocsparse_direction_NS_24const_host_device_scalarIT1_EES3_PKS3_PKT2_SC_S9_PKT4_PKT5_S7_PT6_21rocsparse_index_base_b
    .private_segment_fixed_size: 0
    .sgpr_count:     16
    .sgpr_spill_count: 0
    .symbol:         _ZN9rocsparseL18bsrxmvn_4x4_kernelILj128ELj32E21rocsparse_complex_numIfEiiS2_S2_S2_EEvT3_20rocsparse_direction_NS_24const_host_device_scalarIT1_EES3_PKS3_PKT2_SC_S9_PKT4_PKT5_S7_PT6_21rocsparse_index_base_b.kd
    .uniform_work_group_size: 1
    .uses_dynamic_stack: false
    .vgpr_count:     152
    .vgpr_spill_count: 0
    .wavefront_size: 32
    .workgroup_processor_mode: 1
  - .args:
      - .offset:         0
        .size:           4
        .value_kind:     by_value
      - .offset:         4
        .size:           4
        .value_kind:     by_value
      - .offset:         8
        .size:           8
        .value_kind:     by_value
      - .offset:         16
        .size:           4
        .value_kind:     by_value
      - .actual_access:  read_only
        .address_space:  global
        .offset:         24
        .size:           8
        .value_kind:     global_buffer
      - .actual_access:  read_only
        .address_space:  global
        .offset:         32
        .size:           8
        .value_kind:     global_buffer
      - .actual_access:  read_only
        .address_space:  global
        .offset:         40
        .size:           8
        .value_kind:     global_buffer
      - .actual_access:  read_only
        .address_space:  global
        .offset:         48
        .size:           8
        .value_kind:     global_buffer
      - .actual_access:  read_only
        .address_space:  global
        .offset:         56
        .size:           8
        .value_kind:     global_buffer
      - .actual_access:  read_only
        .address_space:  global
        .offset:         64
        .size:           8
        .value_kind:     global_buffer
      - .offset:         72
        .size:           8
        .value_kind:     by_value
      - .address_space:  global
        .offset:         80
        .size:           8
        .value_kind:     global_buffer
      - .offset:         88
        .size:           4
        .value_kind:     by_value
      - .offset:         92
        .size:           1
        .value_kind:     by_value
    .group_segment_fixed_size: 0
    .kernarg_segment_align: 8
    .kernarg_segment_size: 96
    .language:       OpenCL C
    .language_version:
      - 2
      - 0
    .max_flat_workgroup_size: 128
    .name:           _ZN9rocsparseL18bsrxmvn_4x4_kernelILj128ELj64E21rocsparse_complex_numIfEiiS2_S2_S2_EEvT3_20rocsparse_direction_NS_24const_host_device_scalarIT1_EES3_PKS3_PKT2_SC_S9_PKT4_PKT5_S7_PT6_21rocsparse_index_base_b
    .private_segment_fixed_size: 0
    .sgpr_count:     16
    .sgpr_spill_count: 0
    .symbol:         _ZN9rocsparseL18bsrxmvn_4x4_kernelILj128ELj64E21rocsparse_complex_numIfEiiS2_S2_S2_EEvT3_20rocsparse_direction_NS_24const_host_device_scalarIT1_EES3_PKS3_PKT2_SC_S9_PKT4_PKT5_S7_PT6_21rocsparse_index_base_b.kd
    .uniform_work_group_size: 1
    .uses_dynamic_stack: false
    .vgpr_count:     152
    .vgpr_spill_count: 0
    .wavefront_size: 32
    .workgroup_processor_mode: 1
  - .args:
      - .offset:         0
        .size:           4
        .value_kind:     by_value
      - .offset:         4
        .size:           4
        .value_kind:     by_value
      - .offset:         8
        .size:           16
        .value_kind:     by_value
      - .offset:         24
        .size:           4
        .value_kind:     by_value
      - .actual_access:  read_only
        .address_space:  global
        .offset:         32
        .size:           8
        .value_kind:     global_buffer
      - .actual_access:  read_only
        .address_space:  global
        .offset:         40
        .size:           8
        .value_kind:     global_buffer
      - .actual_access:  read_only
        .address_space:  global
        .offset:         48
        .size:           8
        .value_kind:     global_buffer
      - .actual_access:  read_only
        .address_space:  global
        .offset:         56
        .size:           8
        .value_kind:     global_buffer
      - .actual_access:  read_only
        .address_space:  global
        .offset:         64
        .size:           8
        .value_kind:     global_buffer
      - .actual_access:  read_only
        .address_space:  global
        .offset:         72
        .size:           8
        .value_kind:     global_buffer
      - .offset:         80
        .size:           16
        .value_kind:     by_value
      - .address_space:  global
        .offset:         96
        .size:           8
        .value_kind:     global_buffer
      - .offset:         104
        .size:           4
        .value_kind:     by_value
      - .offset:         108
        .size:           1
        .value_kind:     by_value
    .group_segment_fixed_size: 0
    .kernarg_segment_align: 8
    .kernarg_segment_size: 112
    .language:       OpenCL C
    .language_version:
      - 2
      - 0
    .max_flat_workgroup_size: 128
    .name:           _ZN9rocsparseL18bsrxmvn_4x4_kernelILj128ELj4E21rocsparse_complex_numIdEiiS2_S2_S2_EEvT3_20rocsparse_direction_NS_24const_host_device_scalarIT1_EES3_PKS3_PKT2_SC_S9_PKT4_PKT5_S7_PT6_21rocsparse_index_base_b
    .private_segment_fixed_size: 0
    .sgpr_count:     16
    .sgpr_spill_count: 0
    .symbol:         _ZN9rocsparseL18bsrxmvn_4x4_kernelILj128ELj4E21rocsparse_complex_numIdEiiS2_S2_S2_EEvT3_20rocsparse_direction_NS_24const_host_device_scalarIT1_EES3_PKS3_PKT2_SC_S9_PKT4_PKT5_S7_PT6_21rocsparse_index_base_b.kd
    .uniform_work_group_size: 1
    .uses_dynamic_stack: false
    .vgpr_count:     153
    .vgpr_spill_count: 0
    .wavefront_size: 32
    .workgroup_processor_mode: 1
  - .args:
      - .offset:         0
        .size:           4
        .value_kind:     by_value
      - .offset:         4
        .size:           4
        .value_kind:     by_value
      - .offset:         8
        .size:           16
        .value_kind:     by_value
      - .offset:         24
        .size:           4
        .value_kind:     by_value
      - .actual_access:  read_only
        .address_space:  global
        .offset:         32
        .size:           8
        .value_kind:     global_buffer
      - .actual_access:  read_only
        .address_space:  global
        .offset:         40
        .size:           8
        .value_kind:     global_buffer
      - .actual_access:  read_only
        .address_space:  global
        .offset:         48
        .size:           8
        .value_kind:     global_buffer
      - .actual_access:  read_only
        .address_space:  global
        .offset:         56
        .size:           8
        .value_kind:     global_buffer
      - .actual_access:  read_only
        .address_space:  global
        .offset:         64
        .size:           8
        .value_kind:     global_buffer
      - .actual_access:  read_only
        .address_space:  global
        .offset:         72
        .size:           8
        .value_kind:     global_buffer
      - .offset:         80
        .size:           16
        .value_kind:     by_value
      - .address_space:  global
        .offset:         96
        .size:           8
        .value_kind:     global_buffer
      - .offset:         104
        .size:           4
        .value_kind:     by_value
      - .offset:         108
        .size:           1
        .value_kind:     by_value
    .group_segment_fixed_size: 0
    .kernarg_segment_align: 8
    .kernarg_segment_size: 112
    .language:       OpenCL C
    .language_version:
      - 2
      - 0
    .max_flat_workgroup_size: 128
    .name:           _ZN9rocsparseL18bsrxmvn_4x4_kernelILj128ELj8E21rocsparse_complex_numIdEiiS2_S2_S2_EEvT3_20rocsparse_direction_NS_24const_host_device_scalarIT1_EES3_PKS3_PKT2_SC_S9_PKT4_PKT5_S7_PT6_21rocsparse_index_base_b
    .private_segment_fixed_size: 0
    .sgpr_count:     16
    .sgpr_spill_count: 0
    .symbol:         _ZN9rocsparseL18bsrxmvn_4x4_kernelILj128ELj8E21rocsparse_complex_numIdEiiS2_S2_S2_EEvT3_20rocsparse_direction_NS_24const_host_device_scalarIT1_EES3_PKS3_PKT2_SC_S9_PKT4_PKT5_S7_PT6_21rocsparse_index_base_b.kd
    .uniform_work_group_size: 1
    .uses_dynamic_stack: false
    .vgpr_count:     153
    .vgpr_spill_count: 0
    .wavefront_size: 32
    .workgroup_processor_mode: 1
  - .args:
      - .offset:         0
        .size:           4
        .value_kind:     by_value
      - .offset:         4
        .size:           4
        .value_kind:     by_value
      - .offset:         8
        .size:           16
        .value_kind:     by_value
      - .offset:         24
        .size:           4
        .value_kind:     by_value
      - .actual_access:  read_only
        .address_space:  global
        .offset:         32
        .size:           8
        .value_kind:     global_buffer
      - .actual_access:  read_only
        .address_space:  global
        .offset:         40
        .size:           8
        .value_kind:     global_buffer
      - .actual_access:  read_only
        .address_space:  global
        .offset:         48
        .size:           8
        .value_kind:     global_buffer
      - .actual_access:  read_only
        .address_space:  global
        .offset:         56
        .size:           8
        .value_kind:     global_buffer
      - .actual_access:  read_only
        .address_space:  global
        .offset:         64
        .size:           8
        .value_kind:     global_buffer
      - .actual_access:  read_only
        .address_space:  global
        .offset:         72
        .size:           8
        .value_kind:     global_buffer
      - .offset:         80
        .size:           16
        .value_kind:     by_value
      - .address_space:  global
        .offset:         96
        .size:           8
        .value_kind:     global_buffer
      - .offset:         104
        .size:           4
        .value_kind:     by_value
      - .offset:         108
        .size:           1
        .value_kind:     by_value
    .group_segment_fixed_size: 0
    .kernarg_segment_align: 8
    .kernarg_segment_size: 112
    .language:       OpenCL C
    .language_version:
      - 2
      - 0
    .max_flat_workgroup_size: 128
    .name:           _ZN9rocsparseL18bsrxmvn_4x4_kernelILj128ELj16E21rocsparse_complex_numIdEiiS2_S2_S2_EEvT3_20rocsparse_direction_NS_24const_host_device_scalarIT1_EES3_PKS3_PKT2_SC_S9_PKT4_PKT5_S7_PT6_21rocsparse_index_base_b
    .private_segment_fixed_size: 0
    .sgpr_count:     16
    .sgpr_spill_count: 0
    .symbol:         _ZN9rocsparseL18bsrxmvn_4x4_kernelILj128ELj16E21rocsparse_complex_numIdEiiS2_S2_S2_EEvT3_20rocsparse_direction_NS_24const_host_device_scalarIT1_EES3_PKS3_PKT2_SC_S9_PKT4_PKT5_S7_PT6_21rocsparse_index_base_b.kd
    .uniform_work_group_size: 1
    .uses_dynamic_stack: false
    .vgpr_count:     153
    .vgpr_spill_count: 0
    .wavefront_size: 32
    .workgroup_processor_mode: 1
  - .args:
      - .offset:         0
        .size:           4
        .value_kind:     by_value
      - .offset:         4
        .size:           4
        .value_kind:     by_value
      - .offset:         8
        .size:           16
        .value_kind:     by_value
      - .offset:         24
        .size:           4
        .value_kind:     by_value
      - .actual_access:  read_only
        .address_space:  global
        .offset:         32
        .size:           8
        .value_kind:     global_buffer
      - .actual_access:  read_only
        .address_space:  global
        .offset:         40
        .size:           8
        .value_kind:     global_buffer
      - .actual_access:  read_only
        .address_space:  global
        .offset:         48
        .size:           8
        .value_kind:     global_buffer
      - .actual_access:  read_only
        .address_space:  global
        .offset:         56
        .size:           8
        .value_kind:     global_buffer
      - .actual_access:  read_only
        .address_space:  global
        .offset:         64
        .size:           8
        .value_kind:     global_buffer
      - .actual_access:  read_only
        .address_space:  global
        .offset:         72
        .size:           8
        .value_kind:     global_buffer
      - .offset:         80
        .size:           16
        .value_kind:     by_value
      - .address_space:  global
        .offset:         96
        .size:           8
        .value_kind:     global_buffer
      - .offset:         104
        .size:           4
        .value_kind:     by_value
      - .offset:         108
        .size:           1
        .value_kind:     by_value
    .group_segment_fixed_size: 0
    .kernarg_segment_align: 8
    .kernarg_segment_size: 112
    .language:       OpenCL C
    .language_version:
      - 2
      - 0
    .max_flat_workgroup_size: 128
    .name:           _ZN9rocsparseL18bsrxmvn_4x4_kernelILj128ELj32E21rocsparse_complex_numIdEiiS2_S2_S2_EEvT3_20rocsparse_direction_NS_24const_host_device_scalarIT1_EES3_PKS3_PKT2_SC_S9_PKT4_PKT5_S7_PT6_21rocsparse_index_base_b
    .private_segment_fixed_size: 0
    .sgpr_count:     16
    .sgpr_spill_count: 0
    .symbol:         _ZN9rocsparseL18bsrxmvn_4x4_kernelILj128ELj32E21rocsparse_complex_numIdEiiS2_S2_S2_EEvT3_20rocsparse_direction_NS_24const_host_device_scalarIT1_EES3_PKS3_PKT2_SC_S9_PKT4_PKT5_S7_PT6_21rocsparse_index_base_b.kd
    .uniform_work_group_size: 1
    .uses_dynamic_stack: false
    .vgpr_count:     153
    .vgpr_spill_count: 0
    .wavefront_size: 32
    .workgroup_processor_mode: 1
  - .args:
      - .offset:         0
        .size:           4
        .value_kind:     by_value
      - .offset:         4
        .size:           4
        .value_kind:     by_value
      - .offset:         8
        .size:           16
        .value_kind:     by_value
      - .offset:         24
        .size:           4
        .value_kind:     by_value
      - .actual_access:  read_only
        .address_space:  global
        .offset:         32
        .size:           8
        .value_kind:     global_buffer
      - .actual_access:  read_only
        .address_space:  global
        .offset:         40
        .size:           8
        .value_kind:     global_buffer
      - .actual_access:  read_only
        .address_space:  global
        .offset:         48
        .size:           8
        .value_kind:     global_buffer
      - .actual_access:  read_only
        .address_space:  global
        .offset:         56
        .size:           8
        .value_kind:     global_buffer
      - .actual_access:  read_only
        .address_space:  global
        .offset:         64
        .size:           8
        .value_kind:     global_buffer
      - .actual_access:  read_only
        .address_space:  global
        .offset:         72
        .size:           8
        .value_kind:     global_buffer
      - .offset:         80
        .size:           16
        .value_kind:     by_value
      - .address_space:  global
        .offset:         96
        .size:           8
        .value_kind:     global_buffer
      - .offset:         104
        .size:           4
        .value_kind:     by_value
      - .offset:         108
        .size:           1
        .value_kind:     by_value
    .group_segment_fixed_size: 0
    .kernarg_segment_align: 8
    .kernarg_segment_size: 112
    .language:       OpenCL C
    .language_version:
      - 2
      - 0
    .max_flat_workgroup_size: 128
    .name:           _ZN9rocsparseL18bsrxmvn_4x4_kernelILj128ELj64E21rocsparse_complex_numIdEiiS2_S2_S2_EEvT3_20rocsparse_direction_NS_24const_host_device_scalarIT1_EES3_PKS3_PKT2_SC_S9_PKT4_PKT5_S7_PT6_21rocsparse_index_base_b
    .private_segment_fixed_size: 0
    .sgpr_count:     16
    .sgpr_spill_count: 0
    .symbol:         _ZN9rocsparseL18bsrxmvn_4x4_kernelILj128ELj64E21rocsparse_complex_numIdEiiS2_S2_S2_EEvT3_20rocsparse_direction_NS_24const_host_device_scalarIT1_EES3_PKS3_PKT2_SC_S9_PKT4_PKT5_S7_PT6_21rocsparse_index_base_b.kd
    .uniform_work_group_size: 1
    .uses_dynamic_stack: false
    .vgpr_count:     153
    .vgpr_spill_count: 0
    .wavefront_size: 32
    .workgroup_processor_mode: 1
  - .args:
      - .offset:         0
        .size:           4
        .value_kind:     by_value
      - .offset:         4
        .size:           4
        .value_kind:     by_value
      - .offset:         8
        .size:           8
        .value_kind:     by_value
      - .offset:         16
        .size:           4
        .value_kind:     by_value
      - .actual_access:  read_only
        .address_space:  global
        .offset:         24
        .size:           8
        .value_kind:     global_buffer
      - .actual_access:  read_only
        .address_space:  global
        .offset:         32
        .size:           8
        .value_kind:     global_buffer
      - .actual_access:  read_only
        .address_space:  global
        .offset:         40
        .size:           8
        .value_kind:     global_buffer
      - .actual_access:  read_only
        .address_space:  global
        .offset:         48
        .size:           8
        .value_kind:     global_buffer
      - .actual_access:  read_only
        .address_space:  global
        .offset:         56
        .size:           8
        .value_kind:     global_buffer
      - .actual_access:  read_only
        .address_space:  global
        .offset:         64
        .size:           8
        .value_kind:     global_buffer
      - .offset:         72
        .size:           8
        .value_kind:     by_value
      - .address_space:  global
        .offset:         80
        .size:           8
        .value_kind:     global_buffer
      - .offset:         88
        .size:           4
        .value_kind:     by_value
      - .offset:         92
        .size:           1
        .value_kind:     by_value
    .group_segment_fixed_size: 0
    .kernarg_segment_align: 8
    .kernarg_segment_size: 96
    .language:       OpenCL C
    .language_version:
      - 2
      - 0
    .max_flat_workgroup_size: 128
    .name:           _ZN9rocsparseL18bsrxmvn_4x4_kernelILj128ELj4EflifffEEvT3_20rocsparse_direction_NS_24const_host_device_scalarIT1_EES1_PKS1_PKT2_SA_S7_PKT4_PKT5_S5_PT6_21rocsparse_index_base_b
    .private_segment_fixed_size: 0
    .sgpr_count:     20
    .sgpr_spill_count: 0
    .symbol:         _ZN9rocsparseL18bsrxmvn_4x4_kernelILj128ELj4EflifffEEvT3_20rocsparse_direction_NS_24const_host_device_scalarIT1_EES1_PKS1_PKT2_SA_S7_PKT4_PKT5_S5_PT6_21rocsparse_index_base_b.kd
    .uniform_work_group_size: 1
    .uses_dynamic_stack: false
    .vgpr_count:     99
    .vgpr_spill_count: 0
    .wavefront_size: 32
    .workgroup_processor_mode: 1
  - .args:
      - .offset:         0
        .size:           4
        .value_kind:     by_value
      - .offset:         4
        .size:           4
        .value_kind:     by_value
      - .offset:         8
        .size:           8
        .value_kind:     by_value
      - .offset:         16
        .size:           4
        .value_kind:     by_value
      - .actual_access:  read_only
        .address_space:  global
        .offset:         24
        .size:           8
        .value_kind:     global_buffer
      - .actual_access:  read_only
        .address_space:  global
        .offset:         32
        .size:           8
        .value_kind:     global_buffer
      - .actual_access:  read_only
        .address_space:  global
        .offset:         40
        .size:           8
        .value_kind:     global_buffer
      - .actual_access:  read_only
        .address_space:  global
        .offset:         48
        .size:           8
        .value_kind:     global_buffer
      - .actual_access:  read_only
        .address_space:  global
        .offset:         56
        .size:           8
        .value_kind:     global_buffer
      - .actual_access:  read_only
        .address_space:  global
        .offset:         64
        .size:           8
        .value_kind:     global_buffer
      - .offset:         72
        .size:           8
        .value_kind:     by_value
      - .address_space:  global
        .offset:         80
        .size:           8
        .value_kind:     global_buffer
      - .offset:         88
        .size:           4
        .value_kind:     by_value
      - .offset:         92
        .size:           1
        .value_kind:     by_value
    .group_segment_fixed_size: 0
    .kernarg_segment_align: 8
    .kernarg_segment_size: 96
    .language:       OpenCL C
    .language_version:
      - 2
      - 0
    .max_flat_workgroup_size: 128
    .name:           _ZN9rocsparseL18bsrxmvn_4x4_kernelILj128ELj8EflifffEEvT3_20rocsparse_direction_NS_24const_host_device_scalarIT1_EES1_PKS1_PKT2_SA_S7_PKT4_PKT5_S5_PT6_21rocsparse_index_base_b
    .private_segment_fixed_size: 0
    .sgpr_count:     20
    .sgpr_spill_count: 0
    .symbol:         _ZN9rocsparseL18bsrxmvn_4x4_kernelILj128ELj8EflifffEEvT3_20rocsparse_direction_NS_24const_host_device_scalarIT1_EES1_PKS1_PKT2_SA_S7_PKT4_PKT5_S5_PT6_21rocsparse_index_base_b.kd
    .uniform_work_group_size: 1
    .uses_dynamic_stack: false
    .vgpr_count:     99
    .vgpr_spill_count: 0
    .wavefront_size: 32
    .workgroup_processor_mode: 1
  - .args:
      - .offset:         0
        .size:           4
        .value_kind:     by_value
      - .offset:         4
        .size:           4
        .value_kind:     by_value
      - .offset:         8
        .size:           8
        .value_kind:     by_value
      - .offset:         16
        .size:           4
        .value_kind:     by_value
      - .actual_access:  read_only
        .address_space:  global
        .offset:         24
        .size:           8
        .value_kind:     global_buffer
      - .actual_access:  read_only
        .address_space:  global
        .offset:         32
        .size:           8
        .value_kind:     global_buffer
      - .actual_access:  read_only
        .address_space:  global
        .offset:         40
        .size:           8
        .value_kind:     global_buffer
      - .actual_access:  read_only
        .address_space:  global
        .offset:         48
        .size:           8
        .value_kind:     global_buffer
      - .actual_access:  read_only
        .address_space:  global
        .offset:         56
        .size:           8
        .value_kind:     global_buffer
      - .actual_access:  read_only
        .address_space:  global
        .offset:         64
        .size:           8
        .value_kind:     global_buffer
      - .offset:         72
        .size:           8
        .value_kind:     by_value
      - .address_space:  global
        .offset:         80
        .size:           8
        .value_kind:     global_buffer
      - .offset:         88
        .size:           4
        .value_kind:     by_value
      - .offset:         92
        .size:           1
        .value_kind:     by_value
    .group_segment_fixed_size: 0
    .kernarg_segment_align: 8
    .kernarg_segment_size: 96
    .language:       OpenCL C
    .language_version:
      - 2
      - 0
    .max_flat_workgroup_size: 128
    .name:           _ZN9rocsparseL18bsrxmvn_4x4_kernelILj128ELj16EflifffEEvT3_20rocsparse_direction_NS_24const_host_device_scalarIT1_EES1_PKS1_PKT2_SA_S7_PKT4_PKT5_S5_PT6_21rocsparse_index_base_b
    .private_segment_fixed_size: 0
    .sgpr_count:     20
    .sgpr_spill_count: 0
    .symbol:         _ZN9rocsparseL18bsrxmvn_4x4_kernelILj128ELj16EflifffEEvT3_20rocsparse_direction_NS_24const_host_device_scalarIT1_EES1_PKS1_PKT2_SA_S7_PKT4_PKT5_S5_PT6_21rocsparse_index_base_b.kd
    .uniform_work_group_size: 1
    .uses_dynamic_stack: false
    .vgpr_count:     99
    .vgpr_spill_count: 0
    .wavefront_size: 32
    .workgroup_processor_mode: 1
  - .args:
      - .offset:         0
        .size:           4
        .value_kind:     by_value
      - .offset:         4
        .size:           4
        .value_kind:     by_value
      - .offset:         8
        .size:           8
        .value_kind:     by_value
      - .offset:         16
        .size:           4
        .value_kind:     by_value
      - .actual_access:  read_only
        .address_space:  global
        .offset:         24
        .size:           8
        .value_kind:     global_buffer
      - .actual_access:  read_only
        .address_space:  global
        .offset:         32
        .size:           8
        .value_kind:     global_buffer
      - .actual_access:  read_only
        .address_space:  global
        .offset:         40
        .size:           8
        .value_kind:     global_buffer
      - .actual_access:  read_only
        .address_space:  global
        .offset:         48
        .size:           8
        .value_kind:     global_buffer
      - .actual_access:  read_only
        .address_space:  global
        .offset:         56
        .size:           8
        .value_kind:     global_buffer
      - .actual_access:  read_only
        .address_space:  global
        .offset:         64
        .size:           8
        .value_kind:     global_buffer
      - .offset:         72
        .size:           8
        .value_kind:     by_value
      - .address_space:  global
        .offset:         80
        .size:           8
        .value_kind:     global_buffer
      - .offset:         88
        .size:           4
        .value_kind:     by_value
      - .offset:         92
        .size:           1
        .value_kind:     by_value
    .group_segment_fixed_size: 0
    .kernarg_segment_align: 8
    .kernarg_segment_size: 96
    .language:       OpenCL C
    .language_version:
      - 2
      - 0
    .max_flat_workgroup_size: 128
    .name:           _ZN9rocsparseL18bsrxmvn_4x4_kernelILj128ELj32EflifffEEvT3_20rocsparse_direction_NS_24const_host_device_scalarIT1_EES1_PKS1_PKT2_SA_S7_PKT4_PKT5_S5_PT6_21rocsparse_index_base_b
    .private_segment_fixed_size: 0
    .sgpr_count:     20
    .sgpr_spill_count: 0
    .symbol:         _ZN9rocsparseL18bsrxmvn_4x4_kernelILj128ELj32EflifffEEvT3_20rocsparse_direction_NS_24const_host_device_scalarIT1_EES1_PKS1_PKT2_SA_S7_PKT4_PKT5_S5_PT6_21rocsparse_index_base_b.kd
    .uniform_work_group_size: 1
    .uses_dynamic_stack: false
    .vgpr_count:     99
    .vgpr_spill_count: 0
    .wavefront_size: 32
    .workgroup_processor_mode: 1
  - .args:
      - .offset:         0
        .size:           4
        .value_kind:     by_value
      - .offset:         4
        .size:           4
        .value_kind:     by_value
      - .offset:         8
        .size:           8
        .value_kind:     by_value
      - .offset:         16
        .size:           4
        .value_kind:     by_value
      - .actual_access:  read_only
        .address_space:  global
        .offset:         24
        .size:           8
        .value_kind:     global_buffer
      - .actual_access:  read_only
        .address_space:  global
        .offset:         32
        .size:           8
        .value_kind:     global_buffer
      - .actual_access:  read_only
        .address_space:  global
        .offset:         40
        .size:           8
        .value_kind:     global_buffer
      - .actual_access:  read_only
        .address_space:  global
        .offset:         48
        .size:           8
        .value_kind:     global_buffer
      - .actual_access:  read_only
        .address_space:  global
        .offset:         56
        .size:           8
        .value_kind:     global_buffer
      - .actual_access:  read_only
        .address_space:  global
        .offset:         64
        .size:           8
        .value_kind:     global_buffer
      - .offset:         72
        .size:           8
        .value_kind:     by_value
      - .address_space:  global
        .offset:         80
        .size:           8
        .value_kind:     global_buffer
      - .offset:         88
        .size:           4
        .value_kind:     by_value
      - .offset:         92
        .size:           1
        .value_kind:     by_value
    .group_segment_fixed_size: 0
    .kernarg_segment_align: 8
    .kernarg_segment_size: 96
    .language:       OpenCL C
    .language_version:
      - 2
      - 0
    .max_flat_workgroup_size: 128
    .name:           _ZN9rocsparseL18bsrxmvn_4x4_kernelILj128ELj64EflifffEEvT3_20rocsparse_direction_NS_24const_host_device_scalarIT1_EES1_PKS1_PKT2_SA_S7_PKT4_PKT5_S5_PT6_21rocsparse_index_base_b
    .private_segment_fixed_size: 0
    .sgpr_count:     20
    .sgpr_spill_count: 0
    .symbol:         _ZN9rocsparseL18bsrxmvn_4x4_kernelILj128ELj64EflifffEEvT3_20rocsparse_direction_NS_24const_host_device_scalarIT1_EES1_PKS1_PKT2_SA_S7_PKT4_PKT5_S5_PT6_21rocsparse_index_base_b.kd
    .uniform_work_group_size: 1
    .uses_dynamic_stack: false
    .vgpr_count:     99
    .vgpr_spill_count: 0
    .wavefront_size: 32
    .workgroup_processor_mode: 1
  - .args:
      - .offset:         0
        .size:           4
        .value_kind:     by_value
      - .offset:         4
        .size:           4
        .value_kind:     by_value
      - .offset:         8
        .size:           8
        .value_kind:     by_value
      - .offset:         16
        .size:           4
        .value_kind:     by_value
      - .actual_access:  read_only
        .address_space:  global
        .offset:         24
        .size:           8
        .value_kind:     global_buffer
      - .actual_access:  read_only
        .address_space:  global
        .offset:         32
        .size:           8
        .value_kind:     global_buffer
      - .actual_access:  read_only
        .address_space:  global
        .offset:         40
        .size:           8
        .value_kind:     global_buffer
      - .actual_access:  read_only
        .address_space:  global
        .offset:         48
        .size:           8
        .value_kind:     global_buffer
      - .actual_access:  read_only
        .address_space:  global
        .offset:         56
        .size:           8
        .value_kind:     global_buffer
      - .actual_access:  read_only
        .address_space:  global
        .offset:         64
        .size:           8
        .value_kind:     global_buffer
      - .offset:         72
        .size:           8
        .value_kind:     by_value
      - .address_space:  global
        .offset:         80
        .size:           8
        .value_kind:     global_buffer
      - .offset:         88
        .size:           4
        .value_kind:     by_value
      - .offset:         92
        .size:           1
        .value_kind:     by_value
    .group_segment_fixed_size: 0
    .kernarg_segment_align: 8
    .kernarg_segment_size: 96
    .language:       OpenCL C
    .language_version:
      - 2
      - 0
    .max_flat_workgroup_size: 128
    .name:           _ZN9rocsparseL18bsrxmvn_4x4_kernelILj128ELj4EdlidddEEvT3_20rocsparse_direction_NS_24const_host_device_scalarIT1_EES1_PKS1_PKT2_SA_S7_PKT4_PKT5_S5_PT6_21rocsparse_index_base_b
    .private_segment_fixed_size: 0
    .sgpr_count:     16
    .sgpr_spill_count: 0
    .symbol:         _ZN9rocsparseL18bsrxmvn_4x4_kernelILj128ELj4EdlidddEEvT3_20rocsparse_direction_NS_24const_host_device_scalarIT1_EES1_PKS1_PKT2_SA_S7_PKT4_PKT5_S5_PT6_21rocsparse_index_base_b.kd
    .uniform_work_group_size: 1
    .uses_dynamic_stack: false
    .vgpr_count:     147
    .vgpr_spill_count: 0
    .wavefront_size: 32
    .workgroup_processor_mode: 1
  - .args:
      - .offset:         0
        .size:           4
        .value_kind:     by_value
      - .offset:         4
        .size:           4
        .value_kind:     by_value
      - .offset:         8
        .size:           8
        .value_kind:     by_value
      - .offset:         16
        .size:           4
        .value_kind:     by_value
      - .actual_access:  read_only
        .address_space:  global
        .offset:         24
        .size:           8
        .value_kind:     global_buffer
      - .actual_access:  read_only
        .address_space:  global
        .offset:         32
        .size:           8
        .value_kind:     global_buffer
      - .actual_access:  read_only
        .address_space:  global
        .offset:         40
        .size:           8
        .value_kind:     global_buffer
      - .actual_access:  read_only
        .address_space:  global
        .offset:         48
        .size:           8
        .value_kind:     global_buffer
      - .actual_access:  read_only
        .address_space:  global
        .offset:         56
        .size:           8
        .value_kind:     global_buffer
      - .actual_access:  read_only
        .address_space:  global
        .offset:         64
        .size:           8
        .value_kind:     global_buffer
      - .offset:         72
        .size:           8
        .value_kind:     by_value
      - .address_space:  global
        .offset:         80
        .size:           8
        .value_kind:     global_buffer
      - .offset:         88
        .size:           4
        .value_kind:     by_value
      - .offset:         92
        .size:           1
        .value_kind:     by_value
    .group_segment_fixed_size: 0
    .kernarg_segment_align: 8
    .kernarg_segment_size: 96
    .language:       OpenCL C
    .language_version:
      - 2
      - 0
    .max_flat_workgroup_size: 128
    .name:           _ZN9rocsparseL18bsrxmvn_4x4_kernelILj128ELj8EdlidddEEvT3_20rocsparse_direction_NS_24const_host_device_scalarIT1_EES1_PKS1_PKT2_SA_S7_PKT4_PKT5_S5_PT6_21rocsparse_index_base_b
    .private_segment_fixed_size: 0
    .sgpr_count:     16
    .sgpr_spill_count: 0
    .symbol:         _ZN9rocsparseL18bsrxmvn_4x4_kernelILj128ELj8EdlidddEEvT3_20rocsparse_direction_NS_24const_host_device_scalarIT1_EES1_PKS1_PKT2_SA_S7_PKT4_PKT5_S5_PT6_21rocsparse_index_base_b.kd
    .uniform_work_group_size: 1
    .uses_dynamic_stack: false
    .vgpr_count:     147
    .vgpr_spill_count: 0
    .wavefront_size: 32
    .workgroup_processor_mode: 1
  - .args:
      - .offset:         0
        .size:           4
        .value_kind:     by_value
      - .offset:         4
        .size:           4
        .value_kind:     by_value
      - .offset:         8
        .size:           8
        .value_kind:     by_value
      - .offset:         16
        .size:           4
        .value_kind:     by_value
      - .actual_access:  read_only
        .address_space:  global
        .offset:         24
        .size:           8
        .value_kind:     global_buffer
      - .actual_access:  read_only
        .address_space:  global
        .offset:         32
        .size:           8
        .value_kind:     global_buffer
      - .actual_access:  read_only
        .address_space:  global
        .offset:         40
        .size:           8
        .value_kind:     global_buffer
      - .actual_access:  read_only
        .address_space:  global
        .offset:         48
        .size:           8
        .value_kind:     global_buffer
      - .actual_access:  read_only
        .address_space:  global
        .offset:         56
        .size:           8
        .value_kind:     global_buffer
      - .actual_access:  read_only
        .address_space:  global
        .offset:         64
        .size:           8
        .value_kind:     global_buffer
      - .offset:         72
        .size:           8
        .value_kind:     by_value
      - .address_space:  global
        .offset:         80
        .size:           8
        .value_kind:     global_buffer
      - .offset:         88
        .size:           4
        .value_kind:     by_value
      - .offset:         92
        .size:           1
        .value_kind:     by_value
    .group_segment_fixed_size: 0
    .kernarg_segment_align: 8
    .kernarg_segment_size: 96
    .language:       OpenCL C
    .language_version:
      - 2
      - 0
    .max_flat_workgroup_size: 128
    .name:           _ZN9rocsparseL18bsrxmvn_4x4_kernelILj128ELj16EdlidddEEvT3_20rocsparse_direction_NS_24const_host_device_scalarIT1_EES1_PKS1_PKT2_SA_S7_PKT4_PKT5_S5_PT6_21rocsparse_index_base_b
    .private_segment_fixed_size: 0
    .sgpr_count:     16
    .sgpr_spill_count: 0
    .symbol:         _ZN9rocsparseL18bsrxmvn_4x4_kernelILj128ELj16EdlidddEEvT3_20rocsparse_direction_NS_24const_host_device_scalarIT1_EES1_PKS1_PKT2_SA_S7_PKT4_PKT5_S5_PT6_21rocsparse_index_base_b.kd
    .uniform_work_group_size: 1
    .uses_dynamic_stack: false
    .vgpr_count:     147
    .vgpr_spill_count: 0
    .wavefront_size: 32
    .workgroup_processor_mode: 1
  - .args:
      - .offset:         0
        .size:           4
        .value_kind:     by_value
      - .offset:         4
        .size:           4
        .value_kind:     by_value
      - .offset:         8
        .size:           8
        .value_kind:     by_value
      - .offset:         16
        .size:           4
        .value_kind:     by_value
      - .actual_access:  read_only
        .address_space:  global
        .offset:         24
        .size:           8
        .value_kind:     global_buffer
      - .actual_access:  read_only
        .address_space:  global
        .offset:         32
        .size:           8
        .value_kind:     global_buffer
      - .actual_access:  read_only
        .address_space:  global
        .offset:         40
        .size:           8
        .value_kind:     global_buffer
      - .actual_access:  read_only
        .address_space:  global
        .offset:         48
        .size:           8
        .value_kind:     global_buffer
      - .actual_access:  read_only
        .address_space:  global
        .offset:         56
        .size:           8
        .value_kind:     global_buffer
      - .actual_access:  read_only
        .address_space:  global
        .offset:         64
        .size:           8
        .value_kind:     global_buffer
      - .offset:         72
        .size:           8
        .value_kind:     by_value
      - .address_space:  global
        .offset:         80
        .size:           8
        .value_kind:     global_buffer
      - .offset:         88
        .size:           4
        .value_kind:     by_value
      - .offset:         92
        .size:           1
        .value_kind:     by_value
    .group_segment_fixed_size: 0
    .kernarg_segment_align: 8
    .kernarg_segment_size: 96
    .language:       OpenCL C
    .language_version:
      - 2
      - 0
    .max_flat_workgroup_size: 128
    .name:           _ZN9rocsparseL18bsrxmvn_4x4_kernelILj128ELj32EdlidddEEvT3_20rocsparse_direction_NS_24const_host_device_scalarIT1_EES1_PKS1_PKT2_SA_S7_PKT4_PKT5_S5_PT6_21rocsparse_index_base_b
    .private_segment_fixed_size: 0
    .sgpr_count:     16
    .sgpr_spill_count: 0
    .symbol:         _ZN9rocsparseL18bsrxmvn_4x4_kernelILj128ELj32EdlidddEEvT3_20rocsparse_direction_NS_24const_host_device_scalarIT1_EES1_PKS1_PKT2_SA_S7_PKT4_PKT5_S5_PT6_21rocsparse_index_base_b.kd
    .uniform_work_group_size: 1
    .uses_dynamic_stack: false
    .vgpr_count:     147
    .vgpr_spill_count: 0
    .wavefront_size: 32
    .workgroup_processor_mode: 1
  - .args:
      - .offset:         0
        .size:           4
        .value_kind:     by_value
      - .offset:         4
        .size:           4
        .value_kind:     by_value
      - .offset:         8
        .size:           8
        .value_kind:     by_value
      - .offset:         16
        .size:           4
        .value_kind:     by_value
      - .actual_access:  read_only
        .address_space:  global
        .offset:         24
        .size:           8
        .value_kind:     global_buffer
      - .actual_access:  read_only
        .address_space:  global
        .offset:         32
        .size:           8
        .value_kind:     global_buffer
      - .actual_access:  read_only
        .address_space:  global
        .offset:         40
        .size:           8
        .value_kind:     global_buffer
      - .actual_access:  read_only
        .address_space:  global
        .offset:         48
        .size:           8
        .value_kind:     global_buffer
      - .actual_access:  read_only
        .address_space:  global
        .offset:         56
        .size:           8
        .value_kind:     global_buffer
      - .actual_access:  read_only
        .address_space:  global
        .offset:         64
        .size:           8
        .value_kind:     global_buffer
      - .offset:         72
        .size:           8
        .value_kind:     by_value
      - .address_space:  global
        .offset:         80
        .size:           8
        .value_kind:     global_buffer
      - .offset:         88
        .size:           4
        .value_kind:     by_value
      - .offset:         92
        .size:           1
        .value_kind:     by_value
    .group_segment_fixed_size: 0
    .kernarg_segment_align: 8
    .kernarg_segment_size: 96
    .language:       OpenCL C
    .language_version:
      - 2
      - 0
    .max_flat_workgroup_size: 128
    .name:           _ZN9rocsparseL18bsrxmvn_4x4_kernelILj128ELj64EdlidddEEvT3_20rocsparse_direction_NS_24const_host_device_scalarIT1_EES1_PKS1_PKT2_SA_S7_PKT4_PKT5_S5_PT6_21rocsparse_index_base_b
    .private_segment_fixed_size: 0
    .sgpr_count:     16
    .sgpr_spill_count: 0
    .symbol:         _ZN9rocsparseL18bsrxmvn_4x4_kernelILj128ELj64EdlidddEEvT3_20rocsparse_direction_NS_24const_host_device_scalarIT1_EES1_PKS1_PKT2_SA_S7_PKT4_PKT5_S5_PT6_21rocsparse_index_base_b.kd
    .uniform_work_group_size: 1
    .uses_dynamic_stack: false
    .vgpr_count:     147
    .vgpr_spill_count: 0
    .wavefront_size: 32
    .workgroup_processor_mode: 1
  - .args:
      - .offset:         0
        .size:           4
        .value_kind:     by_value
      - .offset:         4
        .size:           4
        .value_kind:     by_value
      - .offset:         8
        .size:           8
        .value_kind:     by_value
      - .offset:         16
        .size:           4
        .value_kind:     by_value
      - .actual_access:  read_only
        .address_space:  global
        .offset:         24
        .size:           8
        .value_kind:     global_buffer
      - .actual_access:  read_only
        .address_space:  global
        .offset:         32
        .size:           8
        .value_kind:     global_buffer
      - .actual_access:  read_only
        .address_space:  global
        .offset:         40
        .size:           8
        .value_kind:     global_buffer
      - .actual_access:  read_only
        .address_space:  global
        .offset:         48
        .size:           8
        .value_kind:     global_buffer
      - .actual_access:  read_only
        .address_space:  global
        .offset:         56
        .size:           8
        .value_kind:     global_buffer
      - .actual_access:  read_only
        .address_space:  global
        .offset:         64
        .size:           8
        .value_kind:     global_buffer
      - .offset:         72
        .size:           8
        .value_kind:     by_value
      - .address_space:  global
        .offset:         80
        .size:           8
        .value_kind:     global_buffer
      - .offset:         88
        .size:           4
        .value_kind:     by_value
      - .offset:         92
        .size:           1
        .value_kind:     by_value
    .group_segment_fixed_size: 0
    .kernarg_segment_align: 8
    .kernarg_segment_size: 96
    .language:       OpenCL C
    .language_version:
      - 2
      - 0
    .max_flat_workgroup_size: 128
    .name:           _ZN9rocsparseL18bsrxmvn_4x4_kernelILj128ELj4E21rocsparse_complex_numIfEliS2_S2_S2_EEvT3_20rocsparse_direction_NS_24const_host_device_scalarIT1_EES3_PKS3_PKT2_SC_S9_PKT4_PKT5_S7_PT6_21rocsparse_index_base_b
    .private_segment_fixed_size: 0
    .sgpr_count:     16
    .sgpr_spill_count: 0
    .symbol:         _ZN9rocsparseL18bsrxmvn_4x4_kernelILj128ELj4E21rocsparse_complex_numIfEliS2_S2_S2_EEvT3_20rocsparse_direction_NS_24const_host_device_scalarIT1_EES3_PKS3_PKT2_SC_S9_PKT4_PKT5_S7_PT6_21rocsparse_index_base_b.kd
    .uniform_work_group_size: 1
    .uses_dynamic_stack: false
    .vgpr_count:     175
    .vgpr_spill_count: 0
    .wavefront_size: 32
    .workgroup_processor_mode: 1
  - .args:
      - .offset:         0
        .size:           4
        .value_kind:     by_value
      - .offset:         4
        .size:           4
        .value_kind:     by_value
      - .offset:         8
        .size:           8
        .value_kind:     by_value
      - .offset:         16
        .size:           4
        .value_kind:     by_value
      - .actual_access:  read_only
        .address_space:  global
        .offset:         24
        .size:           8
        .value_kind:     global_buffer
      - .actual_access:  read_only
        .address_space:  global
        .offset:         32
        .size:           8
        .value_kind:     global_buffer
      - .actual_access:  read_only
        .address_space:  global
        .offset:         40
        .size:           8
        .value_kind:     global_buffer
      - .actual_access:  read_only
        .address_space:  global
        .offset:         48
        .size:           8
        .value_kind:     global_buffer
      - .actual_access:  read_only
        .address_space:  global
        .offset:         56
        .size:           8
        .value_kind:     global_buffer
      - .actual_access:  read_only
        .address_space:  global
        .offset:         64
        .size:           8
        .value_kind:     global_buffer
      - .offset:         72
        .size:           8
        .value_kind:     by_value
      - .address_space:  global
        .offset:         80
        .size:           8
        .value_kind:     global_buffer
      - .offset:         88
        .size:           4
        .value_kind:     by_value
      - .offset:         92
        .size:           1
        .value_kind:     by_value
    .group_segment_fixed_size: 0
    .kernarg_segment_align: 8
    .kernarg_segment_size: 96
    .language:       OpenCL C
    .language_version:
      - 2
      - 0
    .max_flat_workgroup_size: 128
    .name:           _ZN9rocsparseL18bsrxmvn_4x4_kernelILj128ELj8E21rocsparse_complex_numIfEliS2_S2_S2_EEvT3_20rocsparse_direction_NS_24const_host_device_scalarIT1_EES3_PKS3_PKT2_SC_S9_PKT4_PKT5_S7_PT6_21rocsparse_index_base_b
    .private_segment_fixed_size: 0
    .sgpr_count:     16
    .sgpr_spill_count: 0
    .symbol:         _ZN9rocsparseL18bsrxmvn_4x4_kernelILj128ELj8E21rocsparse_complex_numIfEliS2_S2_S2_EEvT3_20rocsparse_direction_NS_24const_host_device_scalarIT1_EES3_PKS3_PKT2_SC_S9_PKT4_PKT5_S7_PT6_21rocsparse_index_base_b.kd
    .uniform_work_group_size: 1
    .uses_dynamic_stack: false
    .vgpr_count:     175
    .vgpr_spill_count: 0
    .wavefront_size: 32
    .workgroup_processor_mode: 1
  - .args:
      - .offset:         0
        .size:           4
        .value_kind:     by_value
      - .offset:         4
        .size:           4
        .value_kind:     by_value
      - .offset:         8
        .size:           8
        .value_kind:     by_value
      - .offset:         16
        .size:           4
        .value_kind:     by_value
      - .actual_access:  read_only
        .address_space:  global
        .offset:         24
        .size:           8
        .value_kind:     global_buffer
      - .actual_access:  read_only
        .address_space:  global
        .offset:         32
        .size:           8
        .value_kind:     global_buffer
      - .actual_access:  read_only
        .address_space:  global
        .offset:         40
        .size:           8
        .value_kind:     global_buffer
      - .actual_access:  read_only
        .address_space:  global
        .offset:         48
        .size:           8
        .value_kind:     global_buffer
      - .actual_access:  read_only
        .address_space:  global
        .offset:         56
        .size:           8
        .value_kind:     global_buffer
      - .actual_access:  read_only
        .address_space:  global
        .offset:         64
        .size:           8
        .value_kind:     global_buffer
      - .offset:         72
        .size:           8
        .value_kind:     by_value
      - .address_space:  global
        .offset:         80
        .size:           8
        .value_kind:     global_buffer
      - .offset:         88
        .size:           4
        .value_kind:     by_value
      - .offset:         92
        .size:           1
        .value_kind:     by_value
    .group_segment_fixed_size: 0
    .kernarg_segment_align: 8
    .kernarg_segment_size: 96
    .language:       OpenCL C
    .language_version:
      - 2
      - 0
    .max_flat_workgroup_size: 128
    .name:           _ZN9rocsparseL18bsrxmvn_4x4_kernelILj128ELj16E21rocsparse_complex_numIfEliS2_S2_S2_EEvT3_20rocsparse_direction_NS_24const_host_device_scalarIT1_EES3_PKS3_PKT2_SC_S9_PKT4_PKT5_S7_PT6_21rocsparse_index_base_b
    .private_segment_fixed_size: 0
    .sgpr_count:     16
    .sgpr_spill_count: 0
    .symbol:         _ZN9rocsparseL18bsrxmvn_4x4_kernelILj128ELj16E21rocsparse_complex_numIfEliS2_S2_S2_EEvT3_20rocsparse_direction_NS_24const_host_device_scalarIT1_EES3_PKS3_PKT2_SC_S9_PKT4_PKT5_S7_PT6_21rocsparse_index_base_b.kd
    .uniform_work_group_size: 1
    .uses_dynamic_stack: false
    .vgpr_count:     175
    .vgpr_spill_count: 0
    .wavefront_size: 32
    .workgroup_processor_mode: 1
  - .args:
      - .offset:         0
        .size:           4
        .value_kind:     by_value
      - .offset:         4
        .size:           4
        .value_kind:     by_value
      - .offset:         8
        .size:           8
        .value_kind:     by_value
      - .offset:         16
        .size:           4
        .value_kind:     by_value
      - .actual_access:  read_only
        .address_space:  global
        .offset:         24
        .size:           8
        .value_kind:     global_buffer
      - .actual_access:  read_only
        .address_space:  global
        .offset:         32
        .size:           8
        .value_kind:     global_buffer
      - .actual_access:  read_only
        .address_space:  global
        .offset:         40
        .size:           8
        .value_kind:     global_buffer
      - .actual_access:  read_only
        .address_space:  global
        .offset:         48
        .size:           8
        .value_kind:     global_buffer
      - .actual_access:  read_only
        .address_space:  global
        .offset:         56
        .size:           8
        .value_kind:     global_buffer
      - .actual_access:  read_only
        .address_space:  global
        .offset:         64
        .size:           8
        .value_kind:     global_buffer
      - .offset:         72
        .size:           8
        .value_kind:     by_value
      - .address_space:  global
        .offset:         80
        .size:           8
        .value_kind:     global_buffer
      - .offset:         88
        .size:           4
        .value_kind:     by_value
      - .offset:         92
        .size:           1
        .value_kind:     by_value
    .group_segment_fixed_size: 0
    .kernarg_segment_align: 8
    .kernarg_segment_size: 96
    .language:       OpenCL C
    .language_version:
      - 2
      - 0
    .max_flat_workgroup_size: 128
    .name:           _ZN9rocsparseL18bsrxmvn_4x4_kernelILj128ELj32E21rocsparse_complex_numIfEliS2_S2_S2_EEvT3_20rocsparse_direction_NS_24const_host_device_scalarIT1_EES3_PKS3_PKT2_SC_S9_PKT4_PKT5_S7_PT6_21rocsparse_index_base_b
    .private_segment_fixed_size: 0
    .sgpr_count:     16
    .sgpr_spill_count: 0
    .symbol:         _ZN9rocsparseL18bsrxmvn_4x4_kernelILj128ELj32E21rocsparse_complex_numIfEliS2_S2_S2_EEvT3_20rocsparse_direction_NS_24const_host_device_scalarIT1_EES3_PKS3_PKT2_SC_S9_PKT4_PKT5_S7_PT6_21rocsparse_index_base_b.kd
    .uniform_work_group_size: 1
    .uses_dynamic_stack: false
    .vgpr_count:     175
    .vgpr_spill_count: 0
    .wavefront_size: 32
    .workgroup_processor_mode: 1
  - .args:
      - .offset:         0
        .size:           4
        .value_kind:     by_value
      - .offset:         4
        .size:           4
        .value_kind:     by_value
      - .offset:         8
        .size:           8
        .value_kind:     by_value
      - .offset:         16
        .size:           4
        .value_kind:     by_value
      - .actual_access:  read_only
        .address_space:  global
        .offset:         24
        .size:           8
        .value_kind:     global_buffer
      - .actual_access:  read_only
        .address_space:  global
        .offset:         32
        .size:           8
        .value_kind:     global_buffer
      - .actual_access:  read_only
        .address_space:  global
        .offset:         40
        .size:           8
        .value_kind:     global_buffer
      - .actual_access:  read_only
        .address_space:  global
        .offset:         48
        .size:           8
        .value_kind:     global_buffer
      - .actual_access:  read_only
        .address_space:  global
        .offset:         56
        .size:           8
        .value_kind:     global_buffer
      - .actual_access:  read_only
        .address_space:  global
        .offset:         64
        .size:           8
        .value_kind:     global_buffer
      - .offset:         72
        .size:           8
        .value_kind:     by_value
      - .address_space:  global
        .offset:         80
        .size:           8
        .value_kind:     global_buffer
      - .offset:         88
        .size:           4
        .value_kind:     by_value
      - .offset:         92
        .size:           1
        .value_kind:     by_value
    .group_segment_fixed_size: 0
    .kernarg_segment_align: 8
    .kernarg_segment_size: 96
    .language:       OpenCL C
    .language_version:
      - 2
      - 0
    .max_flat_workgroup_size: 128
    .name:           _ZN9rocsparseL18bsrxmvn_4x4_kernelILj128ELj64E21rocsparse_complex_numIfEliS2_S2_S2_EEvT3_20rocsparse_direction_NS_24const_host_device_scalarIT1_EES3_PKS3_PKT2_SC_S9_PKT4_PKT5_S7_PT6_21rocsparse_index_base_b
    .private_segment_fixed_size: 0
    .sgpr_count:     16
    .sgpr_spill_count: 0
    .symbol:         _ZN9rocsparseL18bsrxmvn_4x4_kernelILj128ELj64E21rocsparse_complex_numIfEliS2_S2_S2_EEvT3_20rocsparse_direction_NS_24const_host_device_scalarIT1_EES3_PKS3_PKT2_SC_S9_PKT4_PKT5_S7_PT6_21rocsparse_index_base_b.kd
    .uniform_work_group_size: 1
    .uses_dynamic_stack: false
    .vgpr_count:     175
    .vgpr_spill_count: 0
    .wavefront_size: 32
    .workgroup_processor_mode: 1
  - .args:
      - .offset:         0
        .size:           4
        .value_kind:     by_value
      - .offset:         4
        .size:           4
        .value_kind:     by_value
      - .offset:         8
        .size:           16
        .value_kind:     by_value
      - .offset:         24
        .size:           4
        .value_kind:     by_value
      - .actual_access:  read_only
        .address_space:  global
        .offset:         32
        .size:           8
        .value_kind:     global_buffer
      - .actual_access:  read_only
        .address_space:  global
        .offset:         40
        .size:           8
        .value_kind:     global_buffer
      - .actual_access:  read_only
        .address_space:  global
        .offset:         48
        .size:           8
        .value_kind:     global_buffer
      - .actual_access:  read_only
        .address_space:  global
        .offset:         56
        .size:           8
        .value_kind:     global_buffer
      - .actual_access:  read_only
        .address_space:  global
        .offset:         64
        .size:           8
        .value_kind:     global_buffer
      - .actual_access:  read_only
        .address_space:  global
        .offset:         72
        .size:           8
        .value_kind:     global_buffer
      - .offset:         80
        .size:           16
        .value_kind:     by_value
      - .address_space:  global
        .offset:         96
        .size:           8
        .value_kind:     global_buffer
      - .offset:         104
        .size:           4
        .value_kind:     by_value
      - .offset:         108
        .size:           1
        .value_kind:     by_value
    .group_segment_fixed_size: 0
    .kernarg_segment_align: 8
    .kernarg_segment_size: 112
    .language:       OpenCL C
    .language_version:
      - 2
      - 0
    .max_flat_workgroup_size: 128
    .name:           _ZN9rocsparseL18bsrxmvn_4x4_kernelILj128ELj4E21rocsparse_complex_numIdEliS2_S2_S2_EEvT3_20rocsparse_direction_NS_24const_host_device_scalarIT1_EES3_PKS3_PKT2_SC_S9_PKT4_PKT5_S7_PT6_21rocsparse_index_base_b
    .private_segment_fixed_size: 0
    .sgpr_count:     16
    .sgpr_spill_count: 0
    .symbol:         _ZN9rocsparseL18bsrxmvn_4x4_kernelILj128ELj4E21rocsparse_complex_numIdEliS2_S2_S2_EEvT3_20rocsparse_direction_NS_24const_host_device_scalarIT1_EES3_PKS3_PKT2_SC_S9_PKT4_PKT5_S7_PT6_21rocsparse_index_base_b.kd
    .uniform_work_group_size: 1
    .uses_dynamic_stack: false
    .vgpr_count:     157
    .vgpr_spill_count: 0
    .wavefront_size: 32
    .workgroup_processor_mode: 1
  - .args:
      - .offset:         0
        .size:           4
        .value_kind:     by_value
      - .offset:         4
        .size:           4
        .value_kind:     by_value
      - .offset:         8
        .size:           16
        .value_kind:     by_value
      - .offset:         24
        .size:           4
        .value_kind:     by_value
      - .actual_access:  read_only
        .address_space:  global
        .offset:         32
        .size:           8
        .value_kind:     global_buffer
      - .actual_access:  read_only
        .address_space:  global
        .offset:         40
        .size:           8
        .value_kind:     global_buffer
      - .actual_access:  read_only
        .address_space:  global
        .offset:         48
        .size:           8
        .value_kind:     global_buffer
      - .actual_access:  read_only
        .address_space:  global
        .offset:         56
        .size:           8
        .value_kind:     global_buffer
      - .actual_access:  read_only
        .address_space:  global
        .offset:         64
        .size:           8
        .value_kind:     global_buffer
      - .actual_access:  read_only
        .address_space:  global
        .offset:         72
        .size:           8
        .value_kind:     global_buffer
      - .offset:         80
        .size:           16
        .value_kind:     by_value
      - .address_space:  global
        .offset:         96
        .size:           8
        .value_kind:     global_buffer
      - .offset:         104
        .size:           4
        .value_kind:     by_value
      - .offset:         108
        .size:           1
        .value_kind:     by_value
    .group_segment_fixed_size: 0
    .kernarg_segment_align: 8
    .kernarg_segment_size: 112
    .language:       OpenCL C
    .language_version:
      - 2
      - 0
    .max_flat_workgroup_size: 128
    .name:           _ZN9rocsparseL18bsrxmvn_4x4_kernelILj128ELj8E21rocsparse_complex_numIdEliS2_S2_S2_EEvT3_20rocsparse_direction_NS_24const_host_device_scalarIT1_EES3_PKS3_PKT2_SC_S9_PKT4_PKT5_S7_PT6_21rocsparse_index_base_b
    .private_segment_fixed_size: 0
    .sgpr_count:     16
    .sgpr_spill_count: 0
    .symbol:         _ZN9rocsparseL18bsrxmvn_4x4_kernelILj128ELj8E21rocsparse_complex_numIdEliS2_S2_S2_EEvT3_20rocsparse_direction_NS_24const_host_device_scalarIT1_EES3_PKS3_PKT2_SC_S9_PKT4_PKT5_S7_PT6_21rocsparse_index_base_b.kd
    .uniform_work_group_size: 1
    .uses_dynamic_stack: false
    .vgpr_count:     157
    .vgpr_spill_count: 0
    .wavefront_size: 32
    .workgroup_processor_mode: 1
  - .args:
      - .offset:         0
        .size:           4
        .value_kind:     by_value
      - .offset:         4
        .size:           4
        .value_kind:     by_value
      - .offset:         8
        .size:           16
        .value_kind:     by_value
      - .offset:         24
        .size:           4
        .value_kind:     by_value
      - .actual_access:  read_only
        .address_space:  global
        .offset:         32
        .size:           8
        .value_kind:     global_buffer
      - .actual_access:  read_only
        .address_space:  global
        .offset:         40
        .size:           8
        .value_kind:     global_buffer
      - .actual_access:  read_only
        .address_space:  global
        .offset:         48
        .size:           8
        .value_kind:     global_buffer
      - .actual_access:  read_only
        .address_space:  global
        .offset:         56
        .size:           8
        .value_kind:     global_buffer
      - .actual_access:  read_only
        .address_space:  global
        .offset:         64
        .size:           8
        .value_kind:     global_buffer
      - .actual_access:  read_only
        .address_space:  global
        .offset:         72
        .size:           8
        .value_kind:     global_buffer
      - .offset:         80
        .size:           16
        .value_kind:     by_value
      - .address_space:  global
        .offset:         96
        .size:           8
        .value_kind:     global_buffer
      - .offset:         104
        .size:           4
        .value_kind:     by_value
      - .offset:         108
        .size:           1
        .value_kind:     by_value
    .group_segment_fixed_size: 0
    .kernarg_segment_align: 8
    .kernarg_segment_size: 112
    .language:       OpenCL C
    .language_version:
      - 2
      - 0
    .max_flat_workgroup_size: 128
    .name:           _ZN9rocsparseL18bsrxmvn_4x4_kernelILj128ELj16E21rocsparse_complex_numIdEliS2_S2_S2_EEvT3_20rocsparse_direction_NS_24const_host_device_scalarIT1_EES3_PKS3_PKT2_SC_S9_PKT4_PKT5_S7_PT6_21rocsparse_index_base_b
    .private_segment_fixed_size: 0
    .sgpr_count:     16
    .sgpr_spill_count: 0
    .symbol:         _ZN9rocsparseL18bsrxmvn_4x4_kernelILj128ELj16E21rocsparse_complex_numIdEliS2_S2_S2_EEvT3_20rocsparse_direction_NS_24const_host_device_scalarIT1_EES3_PKS3_PKT2_SC_S9_PKT4_PKT5_S7_PT6_21rocsparse_index_base_b.kd
    .uniform_work_group_size: 1
    .uses_dynamic_stack: false
    .vgpr_count:     157
    .vgpr_spill_count: 0
    .wavefront_size: 32
    .workgroup_processor_mode: 1
  - .args:
      - .offset:         0
        .size:           4
        .value_kind:     by_value
      - .offset:         4
        .size:           4
        .value_kind:     by_value
      - .offset:         8
        .size:           16
        .value_kind:     by_value
      - .offset:         24
        .size:           4
        .value_kind:     by_value
      - .actual_access:  read_only
        .address_space:  global
        .offset:         32
        .size:           8
        .value_kind:     global_buffer
      - .actual_access:  read_only
        .address_space:  global
        .offset:         40
        .size:           8
        .value_kind:     global_buffer
      - .actual_access:  read_only
        .address_space:  global
        .offset:         48
        .size:           8
        .value_kind:     global_buffer
      - .actual_access:  read_only
        .address_space:  global
        .offset:         56
        .size:           8
        .value_kind:     global_buffer
      - .actual_access:  read_only
        .address_space:  global
        .offset:         64
        .size:           8
        .value_kind:     global_buffer
      - .actual_access:  read_only
        .address_space:  global
        .offset:         72
        .size:           8
        .value_kind:     global_buffer
      - .offset:         80
        .size:           16
        .value_kind:     by_value
      - .address_space:  global
        .offset:         96
        .size:           8
        .value_kind:     global_buffer
      - .offset:         104
        .size:           4
        .value_kind:     by_value
      - .offset:         108
        .size:           1
        .value_kind:     by_value
    .group_segment_fixed_size: 0
    .kernarg_segment_align: 8
    .kernarg_segment_size: 112
    .language:       OpenCL C
    .language_version:
      - 2
      - 0
    .max_flat_workgroup_size: 128
    .name:           _ZN9rocsparseL18bsrxmvn_4x4_kernelILj128ELj32E21rocsparse_complex_numIdEliS2_S2_S2_EEvT3_20rocsparse_direction_NS_24const_host_device_scalarIT1_EES3_PKS3_PKT2_SC_S9_PKT4_PKT5_S7_PT6_21rocsparse_index_base_b
    .private_segment_fixed_size: 0
    .sgpr_count:     16
    .sgpr_spill_count: 0
    .symbol:         _ZN9rocsparseL18bsrxmvn_4x4_kernelILj128ELj32E21rocsparse_complex_numIdEliS2_S2_S2_EEvT3_20rocsparse_direction_NS_24const_host_device_scalarIT1_EES3_PKS3_PKT2_SC_S9_PKT4_PKT5_S7_PT6_21rocsparse_index_base_b.kd
    .uniform_work_group_size: 1
    .uses_dynamic_stack: false
    .vgpr_count:     157
    .vgpr_spill_count: 0
    .wavefront_size: 32
    .workgroup_processor_mode: 1
  - .args:
      - .offset:         0
        .size:           4
        .value_kind:     by_value
      - .offset:         4
        .size:           4
        .value_kind:     by_value
      - .offset:         8
        .size:           16
        .value_kind:     by_value
      - .offset:         24
        .size:           4
        .value_kind:     by_value
      - .actual_access:  read_only
        .address_space:  global
        .offset:         32
        .size:           8
        .value_kind:     global_buffer
      - .actual_access:  read_only
        .address_space:  global
        .offset:         40
        .size:           8
        .value_kind:     global_buffer
      - .actual_access:  read_only
        .address_space:  global
        .offset:         48
        .size:           8
        .value_kind:     global_buffer
      - .actual_access:  read_only
        .address_space:  global
        .offset:         56
        .size:           8
        .value_kind:     global_buffer
      - .actual_access:  read_only
        .address_space:  global
        .offset:         64
        .size:           8
        .value_kind:     global_buffer
      - .actual_access:  read_only
        .address_space:  global
        .offset:         72
        .size:           8
        .value_kind:     global_buffer
      - .offset:         80
        .size:           16
        .value_kind:     by_value
      - .address_space:  global
        .offset:         96
        .size:           8
        .value_kind:     global_buffer
      - .offset:         104
        .size:           4
        .value_kind:     by_value
      - .offset:         108
        .size:           1
        .value_kind:     by_value
    .group_segment_fixed_size: 0
    .kernarg_segment_align: 8
    .kernarg_segment_size: 112
    .language:       OpenCL C
    .language_version:
      - 2
      - 0
    .max_flat_workgroup_size: 128
    .name:           _ZN9rocsparseL18bsrxmvn_4x4_kernelILj128ELj64E21rocsparse_complex_numIdEliS2_S2_S2_EEvT3_20rocsparse_direction_NS_24const_host_device_scalarIT1_EES3_PKS3_PKT2_SC_S9_PKT4_PKT5_S7_PT6_21rocsparse_index_base_b
    .private_segment_fixed_size: 0
    .sgpr_count:     16
    .sgpr_spill_count: 0
    .symbol:         _ZN9rocsparseL18bsrxmvn_4x4_kernelILj128ELj64E21rocsparse_complex_numIdEliS2_S2_S2_EEvT3_20rocsparse_direction_NS_24const_host_device_scalarIT1_EES3_PKS3_PKT2_SC_S9_PKT4_PKT5_S7_PT6_21rocsparse_index_base_b.kd
    .uniform_work_group_size: 1
    .uses_dynamic_stack: false
    .vgpr_count:     157
    .vgpr_spill_count: 0
    .wavefront_size: 32
    .workgroup_processor_mode: 1
  - .args:
      - .offset:         0
        .size:           8
        .value_kind:     by_value
      - .offset:         8
        .size:           4
        .value_kind:     by_value
      - .offset:         16
        .size:           8
        .value_kind:     by_value
      - .offset:         24
        .size:           8
        .value_kind:     by_value
      - .actual_access:  read_only
        .address_space:  global
        .offset:         32
        .size:           8
        .value_kind:     global_buffer
      - .actual_access:  read_only
        .address_space:  global
        .offset:         40
        .size:           8
        .value_kind:     global_buffer
      - .actual_access:  read_only
        .address_space:  global
        .offset:         48
        .size:           8
        .value_kind:     global_buffer
      - .actual_access:  read_only
        .address_space:  global
        .offset:         56
        .size:           8
        .value_kind:     global_buffer
      - .actual_access:  read_only
        .address_space:  global
        .offset:         64
        .size:           8
        .value_kind:     global_buffer
      - .actual_access:  read_only
        .address_space:  global
        .offset:         72
        .size:           8
        .value_kind:     global_buffer
      - .offset:         80
        .size:           8
        .value_kind:     by_value
      - .address_space:  global
        .offset:         88
        .size:           8
        .value_kind:     global_buffer
      - .offset:         96
        .size:           4
        .value_kind:     by_value
      - .offset:         100
        .size:           1
        .value_kind:     by_value
    .group_segment_fixed_size: 0
    .kernarg_segment_align: 8
    .kernarg_segment_size: 104
    .language:       OpenCL C
    .language_version:
      - 2
      - 0
    .max_flat_workgroup_size: 128
    .name:           _ZN9rocsparseL18bsrxmvn_4x4_kernelILj128ELj4EfllfffEEvT3_20rocsparse_direction_NS_24const_host_device_scalarIT1_EES1_PKS1_PKT2_SA_S7_PKT4_PKT5_S5_PT6_21rocsparse_index_base_b
    .private_segment_fixed_size: 0
    .sgpr_count:     20
    .sgpr_spill_count: 0
    .symbol:         _ZN9rocsparseL18bsrxmvn_4x4_kernelILj128ELj4EfllfffEEvT3_20rocsparse_direction_NS_24const_host_device_scalarIT1_EES1_PKS1_PKT2_SA_S7_PKT4_PKT5_S5_PT6_21rocsparse_index_base_b.kd
    .uniform_work_group_size: 1
    .uses_dynamic_stack: false
    .vgpr_count:     100
    .vgpr_spill_count: 0
    .wavefront_size: 32
    .workgroup_processor_mode: 1
  - .args:
      - .offset:         0
        .size:           8
        .value_kind:     by_value
      - .offset:         8
        .size:           4
        .value_kind:     by_value
      - .offset:         16
        .size:           8
        .value_kind:     by_value
      - .offset:         24
        .size:           8
        .value_kind:     by_value
      - .actual_access:  read_only
        .address_space:  global
        .offset:         32
        .size:           8
        .value_kind:     global_buffer
      - .actual_access:  read_only
        .address_space:  global
        .offset:         40
        .size:           8
        .value_kind:     global_buffer
      - .actual_access:  read_only
        .address_space:  global
        .offset:         48
        .size:           8
        .value_kind:     global_buffer
      - .actual_access:  read_only
        .address_space:  global
        .offset:         56
        .size:           8
        .value_kind:     global_buffer
      - .actual_access:  read_only
        .address_space:  global
        .offset:         64
        .size:           8
        .value_kind:     global_buffer
      - .actual_access:  read_only
        .address_space:  global
        .offset:         72
        .size:           8
        .value_kind:     global_buffer
      - .offset:         80
        .size:           8
        .value_kind:     by_value
      - .address_space:  global
        .offset:         88
        .size:           8
        .value_kind:     global_buffer
      - .offset:         96
        .size:           4
        .value_kind:     by_value
      - .offset:         100
        .size:           1
        .value_kind:     by_value
    .group_segment_fixed_size: 0
    .kernarg_segment_align: 8
    .kernarg_segment_size: 104
    .language:       OpenCL C
    .language_version:
      - 2
      - 0
    .max_flat_workgroup_size: 128
    .name:           _ZN9rocsparseL18bsrxmvn_4x4_kernelILj128ELj8EfllfffEEvT3_20rocsparse_direction_NS_24const_host_device_scalarIT1_EES1_PKS1_PKT2_SA_S7_PKT4_PKT5_S5_PT6_21rocsparse_index_base_b
    .private_segment_fixed_size: 0
    .sgpr_count:     20
    .sgpr_spill_count: 0
    .symbol:         _ZN9rocsparseL18bsrxmvn_4x4_kernelILj128ELj8EfllfffEEvT3_20rocsparse_direction_NS_24const_host_device_scalarIT1_EES1_PKS1_PKT2_SA_S7_PKT4_PKT5_S5_PT6_21rocsparse_index_base_b.kd
    .uniform_work_group_size: 1
    .uses_dynamic_stack: false
    .vgpr_count:     100
    .vgpr_spill_count: 0
    .wavefront_size: 32
    .workgroup_processor_mode: 1
  - .args:
      - .offset:         0
        .size:           8
        .value_kind:     by_value
      - .offset:         8
        .size:           4
        .value_kind:     by_value
      - .offset:         16
        .size:           8
        .value_kind:     by_value
      - .offset:         24
        .size:           8
        .value_kind:     by_value
      - .actual_access:  read_only
        .address_space:  global
        .offset:         32
        .size:           8
        .value_kind:     global_buffer
      - .actual_access:  read_only
        .address_space:  global
        .offset:         40
        .size:           8
        .value_kind:     global_buffer
      - .actual_access:  read_only
        .address_space:  global
        .offset:         48
        .size:           8
        .value_kind:     global_buffer
      - .actual_access:  read_only
        .address_space:  global
        .offset:         56
        .size:           8
        .value_kind:     global_buffer
      - .actual_access:  read_only
        .address_space:  global
        .offset:         64
        .size:           8
        .value_kind:     global_buffer
      - .actual_access:  read_only
        .address_space:  global
        .offset:         72
        .size:           8
        .value_kind:     global_buffer
      - .offset:         80
        .size:           8
        .value_kind:     by_value
      - .address_space:  global
        .offset:         88
        .size:           8
        .value_kind:     global_buffer
      - .offset:         96
        .size:           4
        .value_kind:     by_value
      - .offset:         100
        .size:           1
        .value_kind:     by_value
    .group_segment_fixed_size: 0
    .kernarg_segment_align: 8
    .kernarg_segment_size: 104
    .language:       OpenCL C
    .language_version:
      - 2
      - 0
    .max_flat_workgroup_size: 128
    .name:           _ZN9rocsparseL18bsrxmvn_4x4_kernelILj128ELj16EfllfffEEvT3_20rocsparse_direction_NS_24const_host_device_scalarIT1_EES1_PKS1_PKT2_SA_S7_PKT4_PKT5_S5_PT6_21rocsparse_index_base_b
    .private_segment_fixed_size: 0
    .sgpr_count:     20
    .sgpr_spill_count: 0
    .symbol:         _ZN9rocsparseL18bsrxmvn_4x4_kernelILj128ELj16EfllfffEEvT3_20rocsparse_direction_NS_24const_host_device_scalarIT1_EES1_PKS1_PKT2_SA_S7_PKT4_PKT5_S5_PT6_21rocsparse_index_base_b.kd
    .uniform_work_group_size: 1
    .uses_dynamic_stack: false
    .vgpr_count:     100
    .vgpr_spill_count: 0
    .wavefront_size: 32
    .workgroup_processor_mode: 1
  - .args:
      - .offset:         0
        .size:           8
        .value_kind:     by_value
      - .offset:         8
        .size:           4
        .value_kind:     by_value
      - .offset:         16
        .size:           8
        .value_kind:     by_value
      - .offset:         24
        .size:           8
        .value_kind:     by_value
      - .actual_access:  read_only
        .address_space:  global
        .offset:         32
        .size:           8
        .value_kind:     global_buffer
      - .actual_access:  read_only
        .address_space:  global
        .offset:         40
        .size:           8
        .value_kind:     global_buffer
      - .actual_access:  read_only
        .address_space:  global
        .offset:         48
        .size:           8
        .value_kind:     global_buffer
      - .actual_access:  read_only
        .address_space:  global
        .offset:         56
        .size:           8
        .value_kind:     global_buffer
      - .actual_access:  read_only
        .address_space:  global
        .offset:         64
        .size:           8
        .value_kind:     global_buffer
      - .actual_access:  read_only
        .address_space:  global
        .offset:         72
        .size:           8
        .value_kind:     global_buffer
      - .offset:         80
        .size:           8
        .value_kind:     by_value
      - .address_space:  global
        .offset:         88
        .size:           8
        .value_kind:     global_buffer
      - .offset:         96
        .size:           4
        .value_kind:     by_value
      - .offset:         100
        .size:           1
        .value_kind:     by_value
    .group_segment_fixed_size: 0
    .kernarg_segment_align: 8
    .kernarg_segment_size: 104
    .language:       OpenCL C
    .language_version:
      - 2
      - 0
    .max_flat_workgroup_size: 128
    .name:           _ZN9rocsparseL18bsrxmvn_4x4_kernelILj128ELj32EfllfffEEvT3_20rocsparse_direction_NS_24const_host_device_scalarIT1_EES1_PKS1_PKT2_SA_S7_PKT4_PKT5_S5_PT6_21rocsparse_index_base_b
    .private_segment_fixed_size: 0
    .sgpr_count:     20
    .sgpr_spill_count: 0
    .symbol:         _ZN9rocsparseL18bsrxmvn_4x4_kernelILj128ELj32EfllfffEEvT3_20rocsparse_direction_NS_24const_host_device_scalarIT1_EES1_PKS1_PKT2_SA_S7_PKT4_PKT5_S5_PT6_21rocsparse_index_base_b.kd
    .uniform_work_group_size: 1
    .uses_dynamic_stack: false
    .vgpr_count:     100
    .vgpr_spill_count: 0
    .wavefront_size: 32
    .workgroup_processor_mode: 1
  - .args:
      - .offset:         0
        .size:           8
        .value_kind:     by_value
      - .offset:         8
        .size:           4
        .value_kind:     by_value
      - .offset:         16
        .size:           8
        .value_kind:     by_value
      - .offset:         24
        .size:           8
        .value_kind:     by_value
      - .actual_access:  read_only
        .address_space:  global
        .offset:         32
        .size:           8
        .value_kind:     global_buffer
      - .actual_access:  read_only
        .address_space:  global
        .offset:         40
        .size:           8
        .value_kind:     global_buffer
      - .actual_access:  read_only
        .address_space:  global
        .offset:         48
        .size:           8
        .value_kind:     global_buffer
      - .actual_access:  read_only
        .address_space:  global
        .offset:         56
        .size:           8
        .value_kind:     global_buffer
      - .actual_access:  read_only
        .address_space:  global
        .offset:         64
        .size:           8
        .value_kind:     global_buffer
      - .actual_access:  read_only
        .address_space:  global
        .offset:         72
        .size:           8
        .value_kind:     global_buffer
      - .offset:         80
        .size:           8
        .value_kind:     by_value
      - .address_space:  global
        .offset:         88
        .size:           8
        .value_kind:     global_buffer
      - .offset:         96
        .size:           4
        .value_kind:     by_value
      - .offset:         100
        .size:           1
        .value_kind:     by_value
    .group_segment_fixed_size: 0
    .kernarg_segment_align: 8
    .kernarg_segment_size: 104
    .language:       OpenCL C
    .language_version:
      - 2
      - 0
    .max_flat_workgroup_size: 128
    .name:           _ZN9rocsparseL18bsrxmvn_4x4_kernelILj128ELj64EfllfffEEvT3_20rocsparse_direction_NS_24const_host_device_scalarIT1_EES1_PKS1_PKT2_SA_S7_PKT4_PKT5_S5_PT6_21rocsparse_index_base_b
    .private_segment_fixed_size: 0
    .sgpr_count:     20
    .sgpr_spill_count: 0
    .symbol:         _ZN9rocsparseL18bsrxmvn_4x4_kernelILj128ELj64EfllfffEEvT3_20rocsparse_direction_NS_24const_host_device_scalarIT1_EES1_PKS1_PKT2_SA_S7_PKT4_PKT5_S5_PT6_21rocsparse_index_base_b.kd
    .uniform_work_group_size: 1
    .uses_dynamic_stack: false
    .vgpr_count:     100
    .vgpr_spill_count: 0
    .wavefront_size: 32
    .workgroup_processor_mode: 1
  - .args:
      - .offset:         0
        .size:           8
        .value_kind:     by_value
      - .offset:         8
        .size:           4
        .value_kind:     by_value
      - .offset:         16
        .size:           8
        .value_kind:     by_value
      - .offset:         24
        .size:           8
        .value_kind:     by_value
      - .actual_access:  read_only
        .address_space:  global
        .offset:         32
        .size:           8
        .value_kind:     global_buffer
      - .actual_access:  read_only
        .address_space:  global
        .offset:         40
        .size:           8
        .value_kind:     global_buffer
      - .actual_access:  read_only
        .address_space:  global
        .offset:         48
        .size:           8
        .value_kind:     global_buffer
      - .actual_access:  read_only
        .address_space:  global
        .offset:         56
        .size:           8
        .value_kind:     global_buffer
      - .actual_access:  read_only
        .address_space:  global
        .offset:         64
        .size:           8
        .value_kind:     global_buffer
      - .actual_access:  read_only
        .address_space:  global
        .offset:         72
        .size:           8
        .value_kind:     global_buffer
      - .offset:         80
        .size:           8
        .value_kind:     by_value
      - .address_space:  global
        .offset:         88
        .size:           8
        .value_kind:     global_buffer
      - .offset:         96
        .size:           4
        .value_kind:     by_value
      - .offset:         100
        .size:           1
        .value_kind:     by_value
    .group_segment_fixed_size: 0
    .kernarg_segment_align: 8
    .kernarg_segment_size: 104
    .language:       OpenCL C
    .language_version:
      - 2
      - 0
    .max_flat_workgroup_size: 128
    .name:           _ZN9rocsparseL18bsrxmvn_4x4_kernelILj128ELj4EdlldddEEvT3_20rocsparse_direction_NS_24const_host_device_scalarIT1_EES1_PKS1_PKT2_SA_S7_PKT4_PKT5_S5_PT6_21rocsparse_index_base_b
    .private_segment_fixed_size: 0
    .sgpr_count:     14
    .sgpr_spill_count: 0
    .symbol:         _ZN9rocsparseL18bsrxmvn_4x4_kernelILj128ELj4EdlldddEEvT3_20rocsparse_direction_NS_24const_host_device_scalarIT1_EES1_PKS1_PKT2_SA_S7_PKT4_PKT5_S5_PT6_21rocsparse_index_base_b.kd
    .uniform_work_group_size: 1
    .uses_dynamic_stack: false
    .vgpr_count:     151
    .vgpr_spill_count: 0
    .wavefront_size: 32
    .workgroup_processor_mode: 1
  - .args:
      - .offset:         0
        .size:           8
        .value_kind:     by_value
      - .offset:         8
        .size:           4
        .value_kind:     by_value
      - .offset:         16
        .size:           8
        .value_kind:     by_value
      - .offset:         24
        .size:           8
        .value_kind:     by_value
      - .actual_access:  read_only
        .address_space:  global
        .offset:         32
        .size:           8
        .value_kind:     global_buffer
      - .actual_access:  read_only
        .address_space:  global
        .offset:         40
        .size:           8
        .value_kind:     global_buffer
      - .actual_access:  read_only
        .address_space:  global
        .offset:         48
        .size:           8
        .value_kind:     global_buffer
      - .actual_access:  read_only
        .address_space:  global
        .offset:         56
        .size:           8
        .value_kind:     global_buffer
      - .actual_access:  read_only
        .address_space:  global
        .offset:         64
        .size:           8
        .value_kind:     global_buffer
      - .actual_access:  read_only
        .address_space:  global
        .offset:         72
        .size:           8
        .value_kind:     global_buffer
      - .offset:         80
        .size:           8
        .value_kind:     by_value
      - .address_space:  global
        .offset:         88
        .size:           8
        .value_kind:     global_buffer
      - .offset:         96
        .size:           4
        .value_kind:     by_value
      - .offset:         100
        .size:           1
        .value_kind:     by_value
    .group_segment_fixed_size: 0
    .kernarg_segment_align: 8
    .kernarg_segment_size: 104
    .language:       OpenCL C
    .language_version:
      - 2
      - 0
    .max_flat_workgroup_size: 128
    .name:           _ZN9rocsparseL18bsrxmvn_4x4_kernelILj128ELj8EdlldddEEvT3_20rocsparse_direction_NS_24const_host_device_scalarIT1_EES1_PKS1_PKT2_SA_S7_PKT4_PKT5_S5_PT6_21rocsparse_index_base_b
    .private_segment_fixed_size: 0
    .sgpr_count:     14
    .sgpr_spill_count: 0
    .symbol:         _ZN9rocsparseL18bsrxmvn_4x4_kernelILj128ELj8EdlldddEEvT3_20rocsparse_direction_NS_24const_host_device_scalarIT1_EES1_PKS1_PKT2_SA_S7_PKT4_PKT5_S5_PT6_21rocsparse_index_base_b.kd
    .uniform_work_group_size: 1
    .uses_dynamic_stack: false
    .vgpr_count:     151
    .vgpr_spill_count: 0
    .wavefront_size: 32
    .workgroup_processor_mode: 1
  - .args:
      - .offset:         0
        .size:           8
        .value_kind:     by_value
      - .offset:         8
        .size:           4
        .value_kind:     by_value
      - .offset:         16
        .size:           8
        .value_kind:     by_value
      - .offset:         24
        .size:           8
        .value_kind:     by_value
      - .actual_access:  read_only
        .address_space:  global
        .offset:         32
        .size:           8
        .value_kind:     global_buffer
      - .actual_access:  read_only
        .address_space:  global
        .offset:         40
        .size:           8
        .value_kind:     global_buffer
      - .actual_access:  read_only
        .address_space:  global
        .offset:         48
        .size:           8
        .value_kind:     global_buffer
      - .actual_access:  read_only
        .address_space:  global
        .offset:         56
        .size:           8
        .value_kind:     global_buffer
      - .actual_access:  read_only
        .address_space:  global
        .offset:         64
        .size:           8
        .value_kind:     global_buffer
      - .actual_access:  read_only
        .address_space:  global
        .offset:         72
        .size:           8
        .value_kind:     global_buffer
      - .offset:         80
        .size:           8
        .value_kind:     by_value
      - .address_space:  global
        .offset:         88
        .size:           8
        .value_kind:     global_buffer
      - .offset:         96
        .size:           4
        .value_kind:     by_value
      - .offset:         100
        .size:           1
        .value_kind:     by_value
    .group_segment_fixed_size: 0
    .kernarg_segment_align: 8
    .kernarg_segment_size: 104
    .language:       OpenCL C
    .language_version:
      - 2
      - 0
    .max_flat_workgroup_size: 128
    .name:           _ZN9rocsparseL18bsrxmvn_4x4_kernelILj128ELj16EdlldddEEvT3_20rocsparse_direction_NS_24const_host_device_scalarIT1_EES1_PKS1_PKT2_SA_S7_PKT4_PKT5_S5_PT6_21rocsparse_index_base_b
    .private_segment_fixed_size: 0
    .sgpr_count:     14
    .sgpr_spill_count: 0
    .symbol:         _ZN9rocsparseL18bsrxmvn_4x4_kernelILj128ELj16EdlldddEEvT3_20rocsparse_direction_NS_24const_host_device_scalarIT1_EES1_PKS1_PKT2_SA_S7_PKT4_PKT5_S5_PT6_21rocsparse_index_base_b.kd
    .uniform_work_group_size: 1
    .uses_dynamic_stack: false
    .vgpr_count:     151
    .vgpr_spill_count: 0
    .wavefront_size: 32
    .workgroup_processor_mode: 1
  - .args:
      - .offset:         0
        .size:           8
        .value_kind:     by_value
      - .offset:         8
        .size:           4
        .value_kind:     by_value
      - .offset:         16
        .size:           8
        .value_kind:     by_value
      - .offset:         24
        .size:           8
        .value_kind:     by_value
      - .actual_access:  read_only
        .address_space:  global
        .offset:         32
        .size:           8
        .value_kind:     global_buffer
      - .actual_access:  read_only
        .address_space:  global
        .offset:         40
        .size:           8
        .value_kind:     global_buffer
      - .actual_access:  read_only
        .address_space:  global
        .offset:         48
        .size:           8
        .value_kind:     global_buffer
      - .actual_access:  read_only
        .address_space:  global
        .offset:         56
        .size:           8
        .value_kind:     global_buffer
      - .actual_access:  read_only
        .address_space:  global
        .offset:         64
        .size:           8
        .value_kind:     global_buffer
      - .actual_access:  read_only
        .address_space:  global
        .offset:         72
        .size:           8
        .value_kind:     global_buffer
      - .offset:         80
        .size:           8
        .value_kind:     by_value
      - .address_space:  global
        .offset:         88
        .size:           8
        .value_kind:     global_buffer
      - .offset:         96
        .size:           4
        .value_kind:     by_value
      - .offset:         100
        .size:           1
        .value_kind:     by_value
    .group_segment_fixed_size: 0
    .kernarg_segment_align: 8
    .kernarg_segment_size: 104
    .language:       OpenCL C
    .language_version:
      - 2
      - 0
    .max_flat_workgroup_size: 128
    .name:           _ZN9rocsparseL18bsrxmvn_4x4_kernelILj128ELj32EdlldddEEvT3_20rocsparse_direction_NS_24const_host_device_scalarIT1_EES1_PKS1_PKT2_SA_S7_PKT4_PKT5_S5_PT6_21rocsparse_index_base_b
    .private_segment_fixed_size: 0
    .sgpr_count:     14
    .sgpr_spill_count: 0
    .symbol:         _ZN9rocsparseL18bsrxmvn_4x4_kernelILj128ELj32EdlldddEEvT3_20rocsparse_direction_NS_24const_host_device_scalarIT1_EES1_PKS1_PKT2_SA_S7_PKT4_PKT5_S5_PT6_21rocsparse_index_base_b.kd
    .uniform_work_group_size: 1
    .uses_dynamic_stack: false
    .vgpr_count:     151
    .vgpr_spill_count: 0
    .wavefront_size: 32
    .workgroup_processor_mode: 1
  - .args:
      - .offset:         0
        .size:           8
        .value_kind:     by_value
      - .offset:         8
        .size:           4
        .value_kind:     by_value
      - .offset:         16
        .size:           8
        .value_kind:     by_value
      - .offset:         24
        .size:           8
        .value_kind:     by_value
      - .actual_access:  read_only
        .address_space:  global
        .offset:         32
        .size:           8
        .value_kind:     global_buffer
      - .actual_access:  read_only
        .address_space:  global
        .offset:         40
        .size:           8
        .value_kind:     global_buffer
      - .actual_access:  read_only
        .address_space:  global
        .offset:         48
        .size:           8
        .value_kind:     global_buffer
      - .actual_access:  read_only
        .address_space:  global
        .offset:         56
        .size:           8
        .value_kind:     global_buffer
      - .actual_access:  read_only
        .address_space:  global
        .offset:         64
        .size:           8
        .value_kind:     global_buffer
      - .actual_access:  read_only
        .address_space:  global
        .offset:         72
        .size:           8
        .value_kind:     global_buffer
      - .offset:         80
        .size:           8
        .value_kind:     by_value
      - .address_space:  global
        .offset:         88
        .size:           8
        .value_kind:     global_buffer
      - .offset:         96
        .size:           4
        .value_kind:     by_value
      - .offset:         100
        .size:           1
        .value_kind:     by_value
    .group_segment_fixed_size: 0
    .kernarg_segment_align: 8
    .kernarg_segment_size: 104
    .language:       OpenCL C
    .language_version:
      - 2
      - 0
    .max_flat_workgroup_size: 128
    .name:           _ZN9rocsparseL18bsrxmvn_4x4_kernelILj128ELj64EdlldddEEvT3_20rocsparse_direction_NS_24const_host_device_scalarIT1_EES1_PKS1_PKT2_SA_S7_PKT4_PKT5_S5_PT6_21rocsparse_index_base_b
    .private_segment_fixed_size: 0
    .sgpr_count:     14
    .sgpr_spill_count: 0
    .symbol:         _ZN9rocsparseL18bsrxmvn_4x4_kernelILj128ELj64EdlldddEEvT3_20rocsparse_direction_NS_24const_host_device_scalarIT1_EES1_PKS1_PKT2_SA_S7_PKT4_PKT5_S5_PT6_21rocsparse_index_base_b.kd
    .uniform_work_group_size: 1
    .uses_dynamic_stack: false
    .vgpr_count:     151
    .vgpr_spill_count: 0
    .wavefront_size: 32
    .workgroup_processor_mode: 1
  - .args:
      - .offset:         0
        .size:           8
        .value_kind:     by_value
      - .offset:         8
        .size:           4
        .value_kind:     by_value
      - .offset:         16
        .size:           8
        .value_kind:     by_value
      - .offset:         24
        .size:           8
        .value_kind:     by_value
      - .actual_access:  read_only
        .address_space:  global
        .offset:         32
        .size:           8
        .value_kind:     global_buffer
      - .actual_access:  read_only
        .address_space:  global
        .offset:         40
        .size:           8
        .value_kind:     global_buffer
      - .actual_access:  read_only
        .address_space:  global
        .offset:         48
        .size:           8
        .value_kind:     global_buffer
      - .actual_access:  read_only
        .address_space:  global
        .offset:         56
        .size:           8
        .value_kind:     global_buffer
      - .actual_access:  read_only
        .address_space:  global
        .offset:         64
        .size:           8
        .value_kind:     global_buffer
      - .actual_access:  read_only
        .address_space:  global
        .offset:         72
        .size:           8
        .value_kind:     global_buffer
      - .offset:         80
        .size:           8
        .value_kind:     by_value
      - .address_space:  global
        .offset:         88
        .size:           8
        .value_kind:     global_buffer
      - .offset:         96
        .size:           4
        .value_kind:     by_value
      - .offset:         100
        .size:           1
        .value_kind:     by_value
    .group_segment_fixed_size: 0
    .kernarg_segment_align: 8
    .kernarg_segment_size: 104
    .language:       OpenCL C
    .language_version:
      - 2
      - 0
    .max_flat_workgroup_size: 128
    .name:           _ZN9rocsparseL18bsrxmvn_4x4_kernelILj128ELj4E21rocsparse_complex_numIfEllS2_S2_S2_EEvT3_20rocsparse_direction_NS_24const_host_device_scalarIT1_EES3_PKS3_PKT2_SC_S9_PKT4_PKT5_S7_PT6_21rocsparse_index_base_b
    .private_segment_fixed_size: 0
    .sgpr_count:     14
    .sgpr_spill_count: 0
    .symbol:         _ZN9rocsparseL18bsrxmvn_4x4_kernelILj128ELj4E21rocsparse_complex_numIfEllS2_S2_S2_EEvT3_20rocsparse_direction_NS_24const_host_device_scalarIT1_EES3_PKS3_PKT2_SC_S9_PKT4_PKT5_S7_PT6_21rocsparse_index_base_b.kd
    .uniform_work_group_size: 1
    .uses_dynamic_stack: false
    .vgpr_count:     180
    .vgpr_spill_count: 0
    .wavefront_size: 32
    .workgroup_processor_mode: 1
  - .args:
      - .offset:         0
        .size:           8
        .value_kind:     by_value
      - .offset:         8
        .size:           4
        .value_kind:     by_value
      - .offset:         16
        .size:           8
        .value_kind:     by_value
      - .offset:         24
        .size:           8
        .value_kind:     by_value
      - .actual_access:  read_only
        .address_space:  global
        .offset:         32
        .size:           8
        .value_kind:     global_buffer
      - .actual_access:  read_only
        .address_space:  global
        .offset:         40
        .size:           8
        .value_kind:     global_buffer
      - .actual_access:  read_only
        .address_space:  global
        .offset:         48
        .size:           8
        .value_kind:     global_buffer
      - .actual_access:  read_only
        .address_space:  global
        .offset:         56
        .size:           8
        .value_kind:     global_buffer
      - .actual_access:  read_only
        .address_space:  global
        .offset:         64
        .size:           8
        .value_kind:     global_buffer
      - .actual_access:  read_only
        .address_space:  global
        .offset:         72
        .size:           8
        .value_kind:     global_buffer
      - .offset:         80
        .size:           8
        .value_kind:     by_value
      - .address_space:  global
        .offset:         88
        .size:           8
        .value_kind:     global_buffer
      - .offset:         96
        .size:           4
        .value_kind:     by_value
      - .offset:         100
        .size:           1
        .value_kind:     by_value
    .group_segment_fixed_size: 0
    .kernarg_segment_align: 8
    .kernarg_segment_size: 104
    .language:       OpenCL C
    .language_version:
      - 2
      - 0
    .max_flat_workgroup_size: 128
    .name:           _ZN9rocsparseL18bsrxmvn_4x4_kernelILj128ELj8E21rocsparse_complex_numIfEllS2_S2_S2_EEvT3_20rocsparse_direction_NS_24const_host_device_scalarIT1_EES3_PKS3_PKT2_SC_S9_PKT4_PKT5_S7_PT6_21rocsparse_index_base_b
    .private_segment_fixed_size: 0
    .sgpr_count:     14
    .sgpr_spill_count: 0
    .symbol:         _ZN9rocsparseL18bsrxmvn_4x4_kernelILj128ELj8E21rocsparse_complex_numIfEllS2_S2_S2_EEvT3_20rocsparse_direction_NS_24const_host_device_scalarIT1_EES3_PKS3_PKT2_SC_S9_PKT4_PKT5_S7_PT6_21rocsparse_index_base_b.kd
    .uniform_work_group_size: 1
    .uses_dynamic_stack: false
    .vgpr_count:     180
    .vgpr_spill_count: 0
    .wavefront_size: 32
    .workgroup_processor_mode: 1
  - .args:
      - .offset:         0
        .size:           8
        .value_kind:     by_value
      - .offset:         8
        .size:           4
        .value_kind:     by_value
      - .offset:         16
        .size:           8
        .value_kind:     by_value
      - .offset:         24
        .size:           8
        .value_kind:     by_value
      - .actual_access:  read_only
        .address_space:  global
        .offset:         32
        .size:           8
        .value_kind:     global_buffer
      - .actual_access:  read_only
        .address_space:  global
        .offset:         40
        .size:           8
        .value_kind:     global_buffer
      - .actual_access:  read_only
        .address_space:  global
        .offset:         48
        .size:           8
        .value_kind:     global_buffer
      - .actual_access:  read_only
        .address_space:  global
        .offset:         56
        .size:           8
        .value_kind:     global_buffer
      - .actual_access:  read_only
        .address_space:  global
        .offset:         64
        .size:           8
        .value_kind:     global_buffer
      - .actual_access:  read_only
        .address_space:  global
        .offset:         72
        .size:           8
        .value_kind:     global_buffer
      - .offset:         80
        .size:           8
        .value_kind:     by_value
      - .address_space:  global
        .offset:         88
        .size:           8
        .value_kind:     global_buffer
      - .offset:         96
        .size:           4
        .value_kind:     by_value
      - .offset:         100
        .size:           1
        .value_kind:     by_value
    .group_segment_fixed_size: 0
    .kernarg_segment_align: 8
    .kernarg_segment_size: 104
    .language:       OpenCL C
    .language_version:
      - 2
      - 0
    .max_flat_workgroup_size: 128
    .name:           _ZN9rocsparseL18bsrxmvn_4x4_kernelILj128ELj16E21rocsparse_complex_numIfEllS2_S2_S2_EEvT3_20rocsparse_direction_NS_24const_host_device_scalarIT1_EES3_PKS3_PKT2_SC_S9_PKT4_PKT5_S7_PT6_21rocsparse_index_base_b
    .private_segment_fixed_size: 0
    .sgpr_count:     14
    .sgpr_spill_count: 0
    .symbol:         _ZN9rocsparseL18bsrxmvn_4x4_kernelILj128ELj16E21rocsparse_complex_numIfEllS2_S2_S2_EEvT3_20rocsparse_direction_NS_24const_host_device_scalarIT1_EES3_PKS3_PKT2_SC_S9_PKT4_PKT5_S7_PT6_21rocsparse_index_base_b.kd
    .uniform_work_group_size: 1
    .uses_dynamic_stack: false
    .vgpr_count:     180
    .vgpr_spill_count: 0
    .wavefront_size: 32
    .workgroup_processor_mode: 1
  - .args:
      - .offset:         0
        .size:           8
        .value_kind:     by_value
      - .offset:         8
        .size:           4
        .value_kind:     by_value
      - .offset:         16
        .size:           8
        .value_kind:     by_value
      - .offset:         24
        .size:           8
        .value_kind:     by_value
      - .actual_access:  read_only
        .address_space:  global
        .offset:         32
        .size:           8
        .value_kind:     global_buffer
      - .actual_access:  read_only
        .address_space:  global
        .offset:         40
        .size:           8
        .value_kind:     global_buffer
      - .actual_access:  read_only
        .address_space:  global
        .offset:         48
        .size:           8
        .value_kind:     global_buffer
      - .actual_access:  read_only
        .address_space:  global
        .offset:         56
        .size:           8
        .value_kind:     global_buffer
      - .actual_access:  read_only
        .address_space:  global
        .offset:         64
        .size:           8
        .value_kind:     global_buffer
      - .actual_access:  read_only
        .address_space:  global
        .offset:         72
        .size:           8
        .value_kind:     global_buffer
      - .offset:         80
        .size:           8
        .value_kind:     by_value
      - .address_space:  global
        .offset:         88
        .size:           8
        .value_kind:     global_buffer
      - .offset:         96
        .size:           4
        .value_kind:     by_value
      - .offset:         100
        .size:           1
        .value_kind:     by_value
    .group_segment_fixed_size: 0
    .kernarg_segment_align: 8
    .kernarg_segment_size: 104
    .language:       OpenCL C
    .language_version:
      - 2
      - 0
    .max_flat_workgroup_size: 128
    .name:           _ZN9rocsparseL18bsrxmvn_4x4_kernelILj128ELj32E21rocsparse_complex_numIfEllS2_S2_S2_EEvT3_20rocsparse_direction_NS_24const_host_device_scalarIT1_EES3_PKS3_PKT2_SC_S9_PKT4_PKT5_S7_PT6_21rocsparse_index_base_b
    .private_segment_fixed_size: 0
    .sgpr_count:     14
    .sgpr_spill_count: 0
    .symbol:         _ZN9rocsparseL18bsrxmvn_4x4_kernelILj128ELj32E21rocsparse_complex_numIfEllS2_S2_S2_EEvT3_20rocsparse_direction_NS_24const_host_device_scalarIT1_EES3_PKS3_PKT2_SC_S9_PKT4_PKT5_S7_PT6_21rocsparse_index_base_b.kd
    .uniform_work_group_size: 1
    .uses_dynamic_stack: false
    .vgpr_count:     180
    .vgpr_spill_count: 0
    .wavefront_size: 32
    .workgroup_processor_mode: 1
  - .args:
      - .offset:         0
        .size:           8
        .value_kind:     by_value
      - .offset:         8
        .size:           4
        .value_kind:     by_value
      - .offset:         16
        .size:           8
        .value_kind:     by_value
      - .offset:         24
        .size:           8
        .value_kind:     by_value
      - .actual_access:  read_only
        .address_space:  global
        .offset:         32
        .size:           8
        .value_kind:     global_buffer
      - .actual_access:  read_only
        .address_space:  global
        .offset:         40
        .size:           8
        .value_kind:     global_buffer
      - .actual_access:  read_only
        .address_space:  global
        .offset:         48
        .size:           8
        .value_kind:     global_buffer
      - .actual_access:  read_only
        .address_space:  global
        .offset:         56
        .size:           8
        .value_kind:     global_buffer
      - .actual_access:  read_only
        .address_space:  global
        .offset:         64
        .size:           8
        .value_kind:     global_buffer
      - .actual_access:  read_only
        .address_space:  global
        .offset:         72
        .size:           8
        .value_kind:     global_buffer
      - .offset:         80
        .size:           8
        .value_kind:     by_value
      - .address_space:  global
        .offset:         88
        .size:           8
        .value_kind:     global_buffer
      - .offset:         96
        .size:           4
        .value_kind:     by_value
      - .offset:         100
        .size:           1
        .value_kind:     by_value
    .group_segment_fixed_size: 0
    .kernarg_segment_align: 8
    .kernarg_segment_size: 104
    .language:       OpenCL C
    .language_version:
      - 2
      - 0
    .max_flat_workgroup_size: 128
    .name:           _ZN9rocsparseL18bsrxmvn_4x4_kernelILj128ELj64E21rocsparse_complex_numIfEllS2_S2_S2_EEvT3_20rocsparse_direction_NS_24const_host_device_scalarIT1_EES3_PKS3_PKT2_SC_S9_PKT4_PKT5_S7_PT6_21rocsparse_index_base_b
    .private_segment_fixed_size: 0
    .sgpr_count:     14
    .sgpr_spill_count: 0
    .symbol:         _ZN9rocsparseL18bsrxmvn_4x4_kernelILj128ELj64E21rocsparse_complex_numIfEllS2_S2_S2_EEvT3_20rocsparse_direction_NS_24const_host_device_scalarIT1_EES3_PKS3_PKT2_SC_S9_PKT4_PKT5_S7_PT6_21rocsparse_index_base_b.kd
    .uniform_work_group_size: 1
    .uses_dynamic_stack: false
    .vgpr_count:     180
    .vgpr_spill_count: 0
    .wavefront_size: 32
    .workgroup_processor_mode: 1
  - .args:
      - .offset:         0
        .size:           8
        .value_kind:     by_value
      - .offset:         8
        .size:           4
        .value_kind:     by_value
      - .offset:         16
        .size:           16
        .value_kind:     by_value
      - .offset:         32
        .size:           8
        .value_kind:     by_value
      - .actual_access:  read_only
        .address_space:  global
        .offset:         40
        .size:           8
        .value_kind:     global_buffer
      - .actual_access:  read_only
        .address_space:  global
        .offset:         48
        .size:           8
        .value_kind:     global_buffer
      - .actual_access:  read_only
        .address_space:  global
        .offset:         56
        .size:           8
        .value_kind:     global_buffer
      - .actual_access:  read_only
        .address_space:  global
        .offset:         64
        .size:           8
        .value_kind:     global_buffer
      - .actual_access:  read_only
        .address_space:  global
        .offset:         72
        .size:           8
        .value_kind:     global_buffer
      - .actual_access:  read_only
        .address_space:  global
        .offset:         80
        .size:           8
        .value_kind:     global_buffer
      - .offset:         88
        .size:           16
        .value_kind:     by_value
      - .address_space:  global
        .offset:         104
        .size:           8
        .value_kind:     global_buffer
      - .offset:         112
        .size:           4
        .value_kind:     by_value
      - .offset:         116
        .size:           1
        .value_kind:     by_value
    .group_segment_fixed_size: 0
    .kernarg_segment_align: 8
    .kernarg_segment_size: 120
    .language:       OpenCL C
    .language_version:
      - 2
      - 0
    .max_flat_workgroup_size: 128
    .name:           _ZN9rocsparseL18bsrxmvn_4x4_kernelILj128ELj4E21rocsparse_complex_numIdEllS2_S2_S2_EEvT3_20rocsparse_direction_NS_24const_host_device_scalarIT1_EES3_PKS3_PKT2_SC_S9_PKT4_PKT5_S7_PT6_21rocsparse_index_base_b
    .private_segment_fixed_size: 0
    .sgpr_count:     14
    .sgpr_spill_count: 0
    .symbol:         _ZN9rocsparseL18bsrxmvn_4x4_kernelILj128ELj4E21rocsparse_complex_numIdEllS2_S2_S2_EEvT3_20rocsparse_direction_NS_24const_host_device_scalarIT1_EES3_PKS3_PKT2_SC_S9_PKT4_PKT5_S7_PT6_21rocsparse_index_base_b.kd
    .uniform_work_group_size: 1
    .uses_dynamic_stack: false
    .vgpr_count:     161
    .vgpr_spill_count: 0
    .wavefront_size: 32
    .workgroup_processor_mode: 1
  - .args:
      - .offset:         0
        .size:           8
        .value_kind:     by_value
      - .offset:         8
        .size:           4
        .value_kind:     by_value
      - .offset:         16
        .size:           16
        .value_kind:     by_value
      - .offset:         32
        .size:           8
        .value_kind:     by_value
      - .actual_access:  read_only
        .address_space:  global
        .offset:         40
        .size:           8
        .value_kind:     global_buffer
      - .actual_access:  read_only
        .address_space:  global
        .offset:         48
        .size:           8
        .value_kind:     global_buffer
      - .actual_access:  read_only
        .address_space:  global
        .offset:         56
        .size:           8
        .value_kind:     global_buffer
      - .actual_access:  read_only
        .address_space:  global
        .offset:         64
        .size:           8
        .value_kind:     global_buffer
      - .actual_access:  read_only
        .address_space:  global
        .offset:         72
        .size:           8
        .value_kind:     global_buffer
      - .actual_access:  read_only
        .address_space:  global
        .offset:         80
        .size:           8
        .value_kind:     global_buffer
      - .offset:         88
        .size:           16
        .value_kind:     by_value
      - .address_space:  global
        .offset:         104
        .size:           8
        .value_kind:     global_buffer
      - .offset:         112
        .size:           4
        .value_kind:     by_value
      - .offset:         116
        .size:           1
        .value_kind:     by_value
    .group_segment_fixed_size: 0
    .kernarg_segment_align: 8
    .kernarg_segment_size: 120
    .language:       OpenCL C
    .language_version:
      - 2
      - 0
    .max_flat_workgroup_size: 128
    .name:           _ZN9rocsparseL18bsrxmvn_4x4_kernelILj128ELj8E21rocsparse_complex_numIdEllS2_S2_S2_EEvT3_20rocsparse_direction_NS_24const_host_device_scalarIT1_EES3_PKS3_PKT2_SC_S9_PKT4_PKT5_S7_PT6_21rocsparse_index_base_b
    .private_segment_fixed_size: 0
    .sgpr_count:     14
    .sgpr_spill_count: 0
    .symbol:         _ZN9rocsparseL18bsrxmvn_4x4_kernelILj128ELj8E21rocsparse_complex_numIdEllS2_S2_S2_EEvT3_20rocsparse_direction_NS_24const_host_device_scalarIT1_EES3_PKS3_PKT2_SC_S9_PKT4_PKT5_S7_PT6_21rocsparse_index_base_b.kd
    .uniform_work_group_size: 1
    .uses_dynamic_stack: false
    .vgpr_count:     161
    .vgpr_spill_count: 0
    .wavefront_size: 32
    .workgroup_processor_mode: 1
  - .args:
      - .offset:         0
        .size:           8
        .value_kind:     by_value
      - .offset:         8
        .size:           4
        .value_kind:     by_value
      - .offset:         16
        .size:           16
        .value_kind:     by_value
      - .offset:         32
        .size:           8
        .value_kind:     by_value
      - .actual_access:  read_only
        .address_space:  global
        .offset:         40
        .size:           8
        .value_kind:     global_buffer
      - .actual_access:  read_only
        .address_space:  global
        .offset:         48
        .size:           8
        .value_kind:     global_buffer
      - .actual_access:  read_only
        .address_space:  global
        .offset:         56
        .size:           8
        .value_kind:     global_buffer
      - .actual_access:  read_only
        .address_space:  global
        .offset:         64
        .size:           8
        .value_kind:     global_buffer
      - .actual_access:  read_only
        .address_space:  global
        .offset:         72
        .size:           8
        .value_kind:     global_buffer
      - .actual_access:  read_only
        .address_space:  global
        .offset:         80
        .size:           8
        .value_kind:     global_buffer
      - .offset:         88
        .size:           16
        .value_kind:     by_value
      - .address_space:  global
        .offset:         104
        .size:           8
        .value_kind:     global_buffer
      - .offset:         112
        .size:           4
        .value_kind:     by_value
      - .offset:         116
        .size:           1
        .value_kind:     by_value
    .group_segment_fixed_size: 0
    .kernarg_segment_align: 8
    .kernarg_segment_size: 120
    .language:       OpenCL C
    .language_version:
      - 2
      - 0
    .max_flat_workgroup_size: 128
    .name:           _ZN9rocsparseL18bsrxmvn_4x4_kernelILj128ELj16E21rocsparse_complex_numIdEllS2_S2_S2_EEvT3_20rocsparse_direction_NS_24const_host_device_scalarIT1_EES3_PKS3_PKT2_SC_S9_PKT4_PKT5_S7_PT6_21rocsparse_index_base_b
    .private_segment_fixed_size: 0
    .sgpr_count:     14
    .sgpr_spill_count: 0
    .symbol:         _ZN9rocsparseL18bsrxmvn_4x4_kernelILj128ELj16E21rocsparse_complex_numIdEllS2_S2_S2_EEvT3_20rocsparse_direction_NS_24const_host_device_scalarIT1_EES3_PKS3_PKT2_SC_S9_PKT4_PKT5_S7_PT6_21rocsparse_index_base_b.kd
    .uniform_work_group_size: 1
    .uses_dynamic_stack: false
    .vgpr_count:     161
    .vgpr_spill_count: 0
    .wavefront_size: 32
    .workgroup_processor_mode: 1
  - .args:
      - .offset:         0
        .size:           8
        .value_kind:     by_value
      - .offset:         8
        .size:           4
        .value_kind:     by_value
      - .offset:         16
        .size:           16
        .value_kind:     by_value
      - .offset:         32
        .size:           8
        .value_kind:     by_value
      - .actual_access:  read_only
        .address_space:  global
        .offset:         40
        .size:           8
        .value_kind:     global_buffer
      - .actual_access:  read_only
        .address_space:  global
        .offset:         48
        .size:           8
        .value_kind:     global_buffer
      - .actual_access:  read_only
        .address_space:  global
        .offset:         56
        .size:           8
        .value_kind:     global_buffer
      - .actual_access:  read_only
        .address_space:  global
        .offset:         64
        .size:           8
        .value_kind:     global_buffer
      - .actual_access:  read_only
        .address_space:  global
        .offset:         72
        .size:           8
        .value_kind:     global_buffer
      - .actual_access:  read_only
        .address_space:  global
        .offset:         80
        .size:           8
        .value_kind:     global_buffer
      - .offset:         88
        .size:           16
        .value_kind:     by_value
      - .address_space:  global
        .offset:         104
        .size:           8
        .value_kind:     global_buffer
      - .offset:         112
        .size:           4
        .value_kind:     by_value
      - .offset:         116
        .size:           1
        .value_kind:     by_value
    .group_segment_fixed_size: 0
    .kernarg_segment_align: 8
    .kernarg_segment_size: 120
    .language:       OpenCL C
    .language_version:
      - 2
      - 0
    .max_flat_workgroup_size: 128
    .name:           _ZN9rocsparseL18bsrxmvn_4x4_kernelILj128ELj32E21rocsparse_complex_numIdEllS2_S2_S2_EEvT3_20rocsparse_direction_NS_24const_host_device_scalarIT1_EES3_PKS3_PKT2_SC_S9_PKT4_PKT5_S7_PT6_21rocsparse_index_base_b
    .private_segment_fixed_size: 0
    .sgpr_count:     14
    .sgpr_spill_count: 0
    .symbol:         _ZN9rocsparseL18bsrxmvn_4x4_kernelILj128ELj32E21rocsparse_complex_numIdEllS2_S2_S2_EEvT3_20rocsparse_direction_NS_24const_host_device_scalarIT1_EES3_PKS3_PKT2_SC_S9_PKT4_PKT5_S7_PT6_21rocsparse_index_base_b.kd
    .uniform_work_group_size: 1
    .uses_dynamic_stack: false
    .vgpr_count:     161
    .vgpr_spill_count: 0
    .wavefront_size: 32
    .workgroup_processor_mode: 1
  - .args:
      - .offset:         0
        .size:           8
        .value_kind:     by_value
      - .offset:         8
        .size:           4
        .value_kind:     by_value
      - .offset:         16
        .size:           16
        .value_kind:     by_value
      - .offset:         32
        .size:           8
        .value_kind:     by_value
      - .actual_access:  read_only
        .address_space:  global
        .offset:         40
        .size:           8
        .value_kind:     global_buffer
      - .actual_access:  read_only
        .address_space:  global
        .offset:         48
        .size:           8
        .value_kind:     global_buffer
      - .actual_access:  read_only
        .address_space:  global
        .offset:         56
        .size:           8
        .value_kind:     global_buffer
      - .actual_access:  read_only
        .address_space:  global
        .offset:         64
        .size:           8
        .value_kind:     global_buffer
      - .actual_access:  read_only
        .address_space:  global
        .offset:         72
        .size:           8
        .value_kind:     global_buffer
      - .actual_access:  read_only
        .address_space:  global
        .offset:         80
        .size:           8
        .value_kind:     global_buffer
      - .offset:         88
        .size:           16
        .value_kind:     by_value
      - .address_space:  global
        .offset:         104
        .size:           8
        .value_kind:     global_buffer
      - .offset:         112
        .size:           4
        .value_kind:     by_value
      - .offset:         116
        .size:           1
        .value_kind:     by_value
    .group_segment_fixed_size: 0
    .kernarg_segment_align: 8
    .kernarg_segment_size: 120
    .language:       OpenCL C
    .language_version:
      - 2
      - 0
    .max_flat_workgroup_size: 128
    .name:           _ZN9rocsparseL18bsrxmvn_4x4_kernelILj128ELj64E21rocsparse_complex_numIdEllS2_S2_S2_EEvT3_20rocsparse_direction_NS_24const_host_device_scalarIT1_EES3_PKS3_PKT2_SC_S9_PKT4_PKT5_S7_PT6_21rocsparse_index_base_b
    .private_segment_fixed_size: 0
    .sgpr_count:     14
    .sgpr_spill_count: 0
    .symbol:         _ZN9rocsparseL18bsrxmvn_4x4_kernelILj128ELj64E21rocsparse_complex_numIdEllS2_S2_S2_EEvT3_20rocsparse_direction_NS_24const_host_device_scalarIT1_EES3_PKS3_PKT2_SC_S9_PKT4_PKT5_S7_PT6_21rocsparse_index_base_b.kd
    .uniform_work_group_size: 1
    .uses_dynamic_stack: false
    .vgpr_count:     161
    .vgpr_spill_count: 0
    .wavefront_size: 32
    .workgroup_processor_mode: 1
  - .args:
      - .offset:         0
        .size:           4
        .value_kind:     by_value
      - .offset:         4
        .size:           4
        .value_kind:     by_value
      - .offset:         8
        .size:           8
        .value_kind:     by_value
      - .offset:         16
        .size:           4
        .value_kind:     by_value
      - .actual_access:  read_only
        .address_space:  global
        .offset:         24
        .size:           8
        .value_kind:     global_buffer
      - .actual_access:  read_only
        .address_space:  global
        .offset:         32
        .size:           8
        .value_kind:     global_buffer
      - .actual_access:  read_only
        .address_space:  global
        .offset:         40
        .size:           8
        .value_kind:     global_buffer
      - .actual_access:  read_only
        .address_space:  global
        .offset:         48
        .size:           8
        .value_kind:     global_buffer
      - .actual_access:  read_only
        .address_space:  global
        .offset:         56
        .size:           8
        .value_kind:     global_buffer
      - .actual_access:  read_only
        .address_space:  global
        .offset:         64
        .size:           8
        .value_kind:     global_buffer
      - .offset:         72
        .size:           8
        .value_kind:     by_value
      - .address_space:  global
        .offset:         80
        .size:           8
        .value_kind:     global_buffer
      - .offset:         88
        .size:           4
        .value_kind:     by_value
      - .offset:         92
        .size:           1
        .value_kind:     by_value
    .group_segment_fixed_size: 0
    .kernarg_segment_align: 8
    .kernarg_segment_size: 96
    .language:       OpenCL C
    .language_version:
      - 2
      - 0
    .max_flat_workgroup_size: 128
    .name:           _ZN9rocsparseL18bsrxmvn_4x4_kernelILj128ELj4EiiiaaiEEvT3_20rocsparse_direction_NS_24const_host_device_scalarIT1_EES1_PKS1_PKT2_SA_S7_PKT4_PKT5_S5_PT6_21rocsparse_index_base_b
    .private_segment_fixed_size: 0
    .sgpr_count:     18
    .sgpr_spill_count: 0
    .symbol:         _ZN9rocsparseL18bsrxmvn_4x4_kernelILj128ELj4EiiiaaiEEvT3_20rocsparse_direction_NS_24const_host_device_scalarIT1_EES1_PKS1_PKT2_SA_S7_PKT4_PKT5_S5_PT6_21rocsparse_index_base_b.kd
    .uniform_work_group_size: 1
    .uses_dynamic_stack: false
    .vgpr_count:     48
    .vgpr_spill_count: 0
    .wavefront_size: 32
    .workgroup_processor_mode: 1
  - .args:
      - .offset:         0
        .size:           4
        .value_kind:     by_value
      - .offset:         4
        .size:           4
        .value_kind:     by_value
      - .offset:         8
        .size:           8
        .value_kind:     by_value
      - .offset:         16
        .size:           4
        .value_kind:     by_value
      - .actual_access:  read_only
        .address_space:  global
        .offset:         24
        .size:           8
        .value_kind:     global_buffer
      - .actual_access:  read_only
        .address_space:  global
        .offset:         32
        .size:           8
        .value_kind:     global_buffer
      - .actual_access:  read_only
        .address_space:  global
        .offset:         40
        .size:           8
        .value_kind:     global_buffer
      - .actual_access:  read_only
        .address_space:  global
        .offset:         48
        .size:           8
        .value_kind:     global_buffer
      - .actual_access:  read_only
        .address_space:  global
        .offset:         56
        .size:           8
        .value_kind:     global_buffer
      - .actual_access:  read_only
        .address_space:  global
        .offset:         64
        .size:           8
        .value_kind:     global_buffer
      - .offset:         72
        .size:           8
        .value_kind:     by_value
      - .address_space:  global
        .offset:         80
        .size:           8
        .value_kind:     global_buffer
      - .offset:         88
        .size:           4
        .value_kind:     by_value
      - .offset:         92
        .size:           1
        .value_kind:     by_value
    .group_segment_fixed_size: 0
    .kernarg_segment_align: 8
    .kernarg_segment_size: 96
    .language:       OpenCL C
    .language_version:
      - 2
      - 0
    .max_flat_workgroup_size: 128
    .name:           _ZN9rocsparseL18bsrxmvn_4x4_kernelILj128ELj8EiiiaaiEEvT3_20rocsparse_direction_NS_24const_host_device_scalarIT1_EES1_PKS1_PKT2_SA_S7_PKT4_PKT5_S5_PT6_21rocsparse_index_base_b
    .private_segment_fixed_size: 0
    .sgpr_count:     18
    .sgpr_spill_count: 0
    .symbol:         _ZN9rocsparseL18bsrxmvn_4x4_kernelILj128ELj8EiiiaaiEEvT3_20rocsparse_direction_NS_24const_host_device_scalarIT1_EES1_PKS1_PKT2_SA_S7_PKT4_PKT5_S5_PT6_21rocsparse_index_base_b.kd
    .uniform_work_group_size: 1
    .uses_dynamic_stack: false
    .vgpr_count:     48
    .vgpr_spill_count: 0
    .wavefront_size: 32
    .workgroup_processor_mode: 1
  - .args:
      - .offset:         0
        .size:           4
        .value_kind:     by_value
      - .offset:         4
        .size:           4
        .value_kind:     by_value
      - .offset:         8
        .size:           8
        .value_kind:     by_value
      - .offset:         16
        .size:           4
        .value_kind:     by_value
      - .actual_access:  read_only
        .address_space:  global
        .offset:         24
        .size:           8
        .value_kind:     global_buffer
      - .actual_access:  read_only
        .address_space:  global
        .offset:         32
        .size:           8
        .value_kind:     global_buffer
      - .actual_access:  read_only
        .address_space:  global
        .offset:         40
        .size:           8
        .value_kind:     global_buffer
      - .actual_access:  read_only
        .address_space:  global
        .offset:         48
        .size:           8
        .value_kind:     global_buffer
      - .actual_access:  read_only
        .address_space:  global
        .offset:         56
        .size:           8
        .value_kind:     global_buffer
      - .actual_access:  read_only
        .address_space:  global
        .offset:         64
        .size:           8
        .value_kind:     global_buffer
      - .offset:         72
        .size:           8
        .value_kind:     by_value
      - .address_space:  global
        .offset:         80
        .size:           8
        .value_kind:     global_buffer
      - .offset:         88
        .size:           4
        .value_kind:     by_value
      - .offset:         92
        .size:           1
        .value_kind:     by_value
    .group_segment_fixed_size: 0
    .kernarg_segment_align: 8
    .kernarg_segment_size: 96
    .language:       OpenCL C
    .language_version:
      - 2
      - 0
    .max_flat_workgroup_size: 128
    .name:           _ZN9rocsparseL18bsrxmvn_4x4_kernelILj128ELj16EiiiaaiEEvT3_20rocsparse_direction_NS_24const_host_device_scalarIT1_EES1_PKS1_PKT2_SA_S7_PKT4_PKT5_S5_PT6_21rocsparse_index_base_b
    .private_segment_fixed_size: 0
    .sgpr_count:     18
    .sgpr_spill_count: 0
    .symbol:         _ZN9rocsparseL18bsrxmvn_4x4_kernelILj128ELj16EiiiaaiEEvT3_20rocsparse_direction_NS_24const_host_device_scalarIT1_EES1_PKS1_PKT2_SA_S7_PKT4_PKT5_S5_PT6_21rocsparse_index_base_b.kd
    .uniform_work_group_size: 1
    .uses_dynamic_stack: false
    .vgpr_count:     48
    .vgpr_spill_count: 0
    .wavefront_size: 32
    .workgroup_processor_mode: 1
  - .args:
      - .offset:         0
        .size:           4
        .value_kind:     by_value
      - .offset:         4
        .size:           4
        .value_kind:     by_value
      - .offset:         8
        .size:           8
        .value_kind:     by_value
      - .offset:         16
        .size:           4
        .value_kind:     by_value
      - .actual_access:  read_only
        .address_space:  global
        .offset:         24
        .size:           8
        .value_kind:     global_buffer
      - .actual_access:  read_only
        .address_space:  global
        .offset:         32
        .size:           8
        .value_kind:     global_buffer
      - .actual_access:  read_only
        .address_space:  global
        .offset:         40
        .size:           8
        .value_kind:     global_buffer
      - .actual_access:  read_only
        .address_space:  global
        .offset:         48
        .size:           8
        .value_kind:     global_buffer
      - .actual_access:  read_only
        .address_space:  global
        .offset:         56
        .size:           8
        .value_kind:     global_buffer
      - .actual_access:  read_only
        .address_space:  global
        .offset:         64
        .size:           8
        .value_kind:     global_buffer
      - .offset:         72
        .size:           8
        .value_kind:     by_value
      - .address_space:  global
        .offset:         80
        .size:           8
        .value_kind:     global_buffer
      - .offset:         88
        .size:           4
        .value_kind:     by_value
      - .offset:         92
        .size:           1
        .value_kind:     by_value
    .group_segment_fixed_size: 0
    .kernarg_segment_align: 8
    .kernarg_segment_size: 96
    .language:       OpenCL C
    .language_version:
      - 2
      - 0
    .max_flat_workgroup_size: 128
    .name:           _ZN9rocsparseL18bsrxmvn_4x4_kernelILj128ELj32EiiiaaiEEvT3_20rocsparse_direction_NS_24const_host_device_scalarIT1_EES1_PKS1_PKT2_SA_S7_PKT4_PKT5_S5_PT6_21rocsparse_index_base_b
    .private_segment_fixed_size: 0
    .sgpr_count:     18
    .sgpr_spill_count: 0
    .symbol:         _ZN9rocsparseL18bsrxmvn_4x4_kernelILj128ELj32EiiiaaiEEvT3_20rocsparse_direction_NS_24const_host_device_scalarIT1_EES1_PKS1_PKT2_SA_S7_PKT4_PKT5_S5_PT6_21rocsparse_index_base_b.kd
    .uniform_work_group_size: 1
    .uses_dynamic_stack: false
    .vgpr_count:     48
    .vgpr_spill_count: 0
    .wavefront_size: 32
    .workgroup_processor_mode: 1
  - .args:
      - .offset:         0
        .size:           4
        .value_kind:     by_value
      - .offset:         4
        .size:           4
        .value_kind:     by_value
      - .offset:         8
        .size:           8
        .value_kind:     by_value
      - .offset:         16
        .size:           4
        .value_kind:     by_value
      - .actual_access:  read_only
        .address_space:  global
        .offset:         24
        .size:           8
        .value_kind:     global_buffer
      - .actual_access:  read_only
        .address_space:  global
        .offset:         32
        .size:           8
        .value_kind:     global_buffer
      - .actual_access:  read_only
        .address_space:  global
        .offset:         40
        .size:           8
        .value_kind:     global_buffer
      - .actual_access:  read_only
        .address_space:  global
        .offset:         48
        .size:           8
        .value_kind:     global_buffer
      - .actual_access:  read_only
        .address_space:  global
        .offset:         56
        .size:           8
        .value_kind:     global_buffer
      - .actual_access:  read_only
        .address_space:  global
        .offset:         64
        .size:           8
        .value_kind:     global_buffer
      - .offset:         72
        .size:           8
        .value_kind:     by_value
      - .address_space:  global
        .offset:         80
        .size:           8
        .value_kind:     global_buffer
      - .offset:         88
        .size:           4
        .value_kind:     by_value
      - .offset:         92
        .size:           1
        .value_kind:     by_value
    .group_segment_fixed_size: 0
    .kernarg_segment_align: 8
    .kernarg_segment_size: 96
    .language:       OpenCL C
    .language_version:
      - 2
      - 0
    .max_flat_workgroup_size: 128
    .name:           _ZN9rocsparseL18bsrxmvn_4x4_kernelILj128ELj64EiiiaaiEEvT3_20rocsparse_direction_NS_24const_host_device_scalarIT1_EES1_PKS1_PKT2_SA_S7_PKT4_PKT5_S5_PT6_21rocsparse_index_base_b
    .private_segment_fixed_size: 0
    .sgpr_count:     18
    .sgpr_spill_count: 0
    .symbol:         _ZN9rocsparseL18bsrxmvn_4x4_kernelILj128ELj64EiiiaaiEEvT3_20rocsparse_direction_NS_24const_host_device_scalarIT1_EES1_PKS1_PKT2_SA_S7_PKT4_PKT5_S5_PT6_21rocsparse_index_base_b.kd
    .uniform_work_group_size: 1
    .uses_dynamic_stack: false
    .vgpr_count:     48
    .vgpr_spill_count: 0
    .wavefront_size: 32
    .workgroup_processor_mode: 1
  - .args:
      - .offset:         0
        .size:           4
        .value_kind:     by_value
      - .offset:         4
        .size:           4
        .value_kind:     by_value
      - .offset:         8
        .size:           8
        .value_kind:     by_value
      - .offset:         16
        .size:           4
        .value_kind:     by_value
      - .actual_access:  read_only
        .address_space:  global
        .offset:         24
        .size:           8
        .value_kind:     global_buffer
      - .actual_access:  read_only
        .address_space:  global
        .offset:         32
        .size:           8
        .value_kind:     global_buffer
      - .actual_access:  read_only
        .address_space:  global
        .offset:         40
        .size:           8
        .value_kind:     global_buffer
      - .actual_access:  read_only
        .address_space:  global
        .offset:         48
        .size:           8
        .value_kind:     global_buffer
      - .actual_access:  read_only
        .address_space:  global
        .offset:         56
        .size:           8
        .value_kind:     global_buffer
      - .actual_access:  read_only
        .address_space:  global
        .offset:         64
        .size:           8
        .value_kind:     global_buffer
      - .offset:         72
        .size:           8
        .value_kind:     by_value
      - .address_space:  global
        .offset:         80
        .size:           8
        .value_kind:     global_buffer
      - .offset:         88
        .size:           4
        .value_kind:     by_value
      - .offset:         92
        .size:           1
        .value_kind:     by_value
    .group_segment_fixed_size: 0
    .kernarg_segment_align: 8
    .kernarg_segment_size: 96
    .language:       OpenCL C
    .language_version:
      - 2
      - 0
    .max_flat_workgroup_size: 128
    .name:           _ZN9rocsparseL18bsrxmvn_4x4_kernelILj128ELj4EiliaaiEEvT3_20rocsparse_direction_NS_24const_host_device_scalarIT1_EES1_PKS1_PKT2_SA_S7_PKT4_PKT5_S5_PT6_21rocsparse_index_base_b
    .private_segment_fixed_size: 0
    .sgpr_count:     17
    .sgpr_spill_count: 0
    .symbol:         _ZN9rocsparseL18bsrxmvn_4x4_kernelILj128ELj4EiliaaiEEvT3_20rocsparse_direction_NS_24const_host_device_scalarIT1_EES1_PKS1_PKT2_SA_S7_PKT4_PKT5_S5_PT6_21rocsparse_index_base_b.kd
    .uniform_work_group_size: 1
    .uses_dynamic_stack: false
    .vgpr_count:     60
    .vgpr_spill_count: 0
    .wavefront_size: 32
    .workgroup_processor_mode: 1
  - .args:
      - .offset:         0
        .size:           4
        .value_kind:     by_value
      - .offset:         4
        .size:           4
        .value_kind:     by_value
      - .offset:         8
        .size:           8
        .value_kind:     by_value
      - .offset:         16
        .size:           4
        .value_kind:     by_value
      - .actual_access:  read_only
        .address_space:  global
        .offset:         24
        .size:           8
        .value_kind:     global_buffer
      - .actual_access:  read_only
        .address_space:  global
        .offset:         32
        .size:           8
        .value_kind:     global_buffer
      - .actual_access:  read_only
        .address_space:  global
        .offset:         40
        .size:           8
        .value_kind:     global_buffer
      - .actual_access:  read_only
        .address_space:  global
        .offset:         48
        .size:           8
        .value_kind:     global_buffer
      - .actual_access:  read_only
        .address_space:  global
        .offset:         56
        .size:           8
        .value_kind:     global_buffer
      - .actual_access:  read_only
        .address_space:  global
        .offset:         64
        .size:           8
        .value_kind:     global_buffer
      - .offset:         72
        .size:           8
        .value_kind:     by_value
      - .address_space:  global
        .offset:         80
        .size:           8
        .value_kind:     global_buffer
      - .offset:         88
        .size:           4
        .value_kind:     by_value
      - .offset:         92
        .size:           1
        .value_kind:     by_value
    .group_segment_fixed_size: 0
    .kernarg_segment_align: 8
    .kernarg_segment_size: 96
    .language:       OpenCL C
    .language_version:
      - 2
      - 0
    .max_flat_workgroup_size: 128
    .name:           _ZN9rocsparseL18bsrxmvn_4x4_kernelILj128ELj8EiliaaiEEvT3_20rocsparse_direction_NS_24const_host_device_scalarIT1_EES1_PKS1_PKT2_SA_S7_PKT4_PKT5_S5_PT6_21rocsparse_index_base_b
    .private_segment_fixed_size: 0
    .sgpr_count:     17
    .sgpr_spill_count: 0
    .symbol:         _ZN9rocsparseL18bsrxmvn_4x4_kernelILj128ELj8EiliaaiEEvT3_20rocsparse_direction_NS_24const_host_device_scalarIT1_EES1_PKS1_PKT2_SA_S7_PKT4_PKT5_S5_PT6_21rocsparse_index_base_b.kd
    .uniform_work_group_size: 1
    .uses_dynamic_stack: false
    .vgpr_count:     60
    .vgpr_spill_count: 0
    .wavefront_size: 32
    .workgroup_processor_mode: 1
  - .args:
      - .offset:         0
        .size:           4
        .value_kind:     by_value
      - .offset:         4
        .size:           4
        .value_kind:     by_value
      - .offset:         8
        .size:           8
        .value_kind:     by_value
      - .offset:         16
        .size:           4
        .value_kind:     by_value
      - .actual_access:  read_only
        .address_space:  global
        .offset:         24
        .size:           8
        .value_kind:     global_buffer
      - .actual_access:  read_only
        .address_space:  global
        .offset:         32
        .size:           8
        .value_kind:     global_buffer
      - .actual_access:  read_only
        .address_space:  global
        .offset:         40
        .size:           8
        .value_kind:     global_buffer
      - .actual_access:  read_only
        .address_space:  global
        .offset:         48
        .size:           8
        .value_kind:     global_buffer
      - .actual_access:  read_only
        .address_space:  global
        .offset:         56
        .size:           8
        .value_kind:     global_buffer
      - .actual_access:  read_only
        .address_space:  global
        .offset:         64
        .size:           8
        .value_kind:     global_buffer
      - .offset:         72
        .size:           8
        .value_kind:     by_value
      - .address_space:  global
        .offset:         80
        .size:           8
        .value_kind:     global_buffer
      - .offset:         88
        .size:           4
        .value_kind:     by_value
      - .offset:         92
        .size:           1
        .value_kind:     by_value
    .group_segment_fixed_size: 0
    .kernarg_segment_align: 8
    .kernarg_segment_size: 96
    .language:       OpenCL C
    .language_version:
      - 2
      - 0
    .max_flat_workgroup_size: 128
    .name:           _ZN9rocsparseL18bsrxmvn_4x4_kernelILj128ELj16EiliaaiEEvT3_20rocsparse_direction_NS_24const_host_device_scalarIT1_EES1_PKS1_PKT2_SA_S7_PKT4_PKT5_S5_PT6_21rocsparse_index_base_b
    .private_segment_fixed_size: 0
    .sgpr_count:     17
    .sgpr_spill_count: 0
    .symbol:         _ZN9rocsparseL18bsrxmvn_4x4_kernelILj128ELj16EiliaaiEEvT3_20rocsparse_direction_NS_24const_host_device_scalarIT1_EES1_PKS1_PKT2_SA_S7_PKT4_PKT5_S5_PT6_21rocsparse_index_base_b.kd
    .uniform_work_group_size: 1
    .uses_dynamic_stack: false
    .vgpr_count:     60
    .vgpr_spill_count: 0
    .wavefront_size: 32
    .workgroup_processor_mode: 1
  - .args:
      - .offset:         0
        .size:           4
        .value_kind:     by_value
      - .offset:         4
        .size:           4
        .value_kind:     by_value
      - .offset:         8
        .size:           8
        .value_kind:     by_value
      - .offset:         16
        .size:           4
        .value_kind:     by_value
      - .actual_access:  read_only
        .address_space:  global
        .offset:         24
        .size:           8
        .value_kind:     global_buffer
      - .actual_access:  read_only
        .address_space:  global
        .offset:         32
        .size:           8
        .value_kind:     global_buffer
      - .actual_access:  read_only
        .address_space:  global
        .offset:         40
        .size:           8
        .value_kind:     global_buffer
      - .actual_access:  read_only
        .address_space:  global
        .offset:         48
        .size:           8
        .value_kind:     global_buffer
      - .actual_access:  read_only
        .address_space:  global
        .offset:         56
        .size:           8
        .value_kind:     global_buffer
      - .actual_access:  read_only
        .address_space:  global
        .offset:         64
        .size:           8
        .value_kind:     global_buffer
      - .offset:         72
        .size:           8
        .value_kind:     by_value
      - .address_space:  global
        .offset:         80
        .size:           8
        .value_kind:     global_buffer
      - .offset:         88
        .size:           4
        .value_kind:     by_value
      - .offset:         92
        .size:           1
        .value_kind:     by_value
    .group_segment_fixed_size: 0
    .kernarg_segment_align: 8
    .kernarg_segment_size: 96
    .language:       OpenCL C
    .language_version:
      - 2
      - 0
    .max_flat_workgroup_size: 128
    .name:           _ZN9rocsparseL18bsrxmvn_4x4_kernelILj128ELj32EiliaaiEEvT3_20rocsparse_direction_NS_24const_host_device_scalarIT1_EES1_PKS1_PKT2_SA_S7_PKT4_PKT5_S5_PT6_21rocsparse_index_base_b
    .private_segment_fixed_size: 0
    .sgpr_count:     17
    .sgpr_spill_count: 0
    .symbol:         _ZN9rocsparseL18bsrxmvn_4x4_kernelILj128ELj32EiliaaiEEvT3_20rocsparse_direction_NS_24const_host_device_scalarIT1_EES1_PKS1_PKT2_SA_S7_PKT4_PKT5_S5_PT6_21rocsparse_index_base_b.kd
    .uniform_work_group_size: 1
    .uses_dynamic_stack: false
    .vgpr_count:     60
    .vgpr_spill_count: 0
    .wavefront_size: 32
    .workgroup_processor_mode: 1
  - .args:
      - .offset:         0
        .size:           4
        .value_kind:     by_value
      - .offset:         4
        .size:           4
        .value_kind:     by_value
      - .offset:         8
        .size:           8
        .value_kind:     by_value
      - .offset:         16
        .size:           4
        .value_kind:     by_value
      - .actual_access:  read_only
        .address_space:  global
        .offset:         24
        .size:           8
        .value_kind:     global_buffer
      - .actual_access:  read_only
        .address_space:  global
        .offset:         32
        .size:           8
        .value_kind:     global_buffer
      - .actual_access:  read_only
        .address_space:  global
        .offset:         40
        .size:           8
        .value_kind:     global_buffer
      - .actual_access:  read_only
        .address_space:  global
        .offset:         48
        .size:           8
        .value_kind:     global_buffer
      - .actual_access:  read_only
        .address_space:  global
        .offset:         56
        .size:           8
        .value_kind:     global_buffer
      - .actual_access:  read_only
        .address_space:  global
        .offset:         64
        .size:           8
        .value_kind:     global_buffer
      - .offset:         72
        .size:           8
        .value_kind:     by_value
      - .address_space:  global
        .offset:         80
        .size:           8
        .value_kind:     global_buffer
      - .offset:         88
        .size:           4
        .value_kind:     by_value
      - .offset:         92
        .size:           1
        .value_kind:     by_value
    .group_segment_fixed_size: 0
    .kernarg_segment_align: 8
    .kernarg_segment_size: 96
    .language:       OpenCL C
    .language_version:
      - 2
      - 0
    .max_flat_workgroup_size: 128
    .name:           _ZN9rocsparseL18bsrxmvn_4x4_kernelILj128ELj64EiliaaiEEvT3_20rocsparse_direction_NS_24const_host_device_scalarIT1_EES1_PKS1_PKT2_SA_S7_PKT4_PKT5_S5_PT6_21rocsparse_index_base_b
    .private_segment_fixed_size: 0
    .sgpr_count:     17
    .sgpr_spill_count: 0
    .symbol:         _ZN9rocsparseL18bsrxmvn_4x4_kernelILj128ELj64EiliaaiEEvT3_20rocsparse_direction_NS_24const_host_device_scalarIT1_EES1_PKS1_PKT2_SA_S7_PKT4_PKT5_S5_PT6_21rocsparse_index_base_b.kd
    .uniform_work_group_size: 1
    .uses_dynamic_stack: false
    .vgpr_count:     60
    .vgpr_spill_count: 0
    .wavefront_size: 32
    .workgroup_processor_mode: 1
  - .args:
      - .offset:         0
        .size:           8
        .value_kind:     by_value
      - .offset:         8
        .size:           4
        .value_kind:     by_value
      - .offset:         16
        .size:           8
        .value_kind:     by_value
      - .offset:         24
        .size:           8
        .value_kind:     by_value
      - .actual_access:  read_only
        .address_space:  global
        .offset:         32
        .size:           8
        .value_kind:     global_buffer
      - .actual_access:  read_only
        .address_space:  global
        .offset:         40
        .size:           8
        .value_kind:     global_buffer
      - .actual_access:  read_only
        .address_space:  global
        .offset:         48
        .size:           8
        .value_kind:     global_buffer
      - .actual_access:  read_only
        .address_space:  global
        .offset:         56
        .size:           8
        .value_kind:     global_buffer
      - .actual_access:  read_only
        .address_space:  global
        .offset:         64
        .size:           8
        .value_kind:     global_buffer
      - .actual_access:  read_only
        .address_space:  global
        .offset:         72
        .size:           8
        .value_kind:     global_buffer
      - .offset:         80
        .size:           8
        .value_kind:     by_value
      - .address_space:  global
        .offset:         88
        .size:           8
        .value_kind:     global_buffer
      - .offset:         96
        .size:           4
        .value_kind:     by_value
      - .offset:         100
        .size:           1
        .value_kind:     by_value
    .group_segment_fixed_size: 0
    .kernarg_segment_align: 8
    .kernarg_segment_size: 104
    .language:       OpenCL C
    .language_version:
      - 2
      - 0
    .max_flat_workgroup_size: 128
    .name:           _ZN9rocsparseL18bsrxmvn_4x4_kernelILj128ELj4EillaaiEEvT3_20rocsparse_direction_NS_24const_host_device_scalarIT1_EES1_PKS1_PKT2_SA_S7_PKT4_PKT5_S5_PT6_21rocsparse_index_base_b
    .private_segment_fixed_size: 0
    .sgpr_count:     16
    .sgpr_spill_count: 0
    .symbol:         _ZN9rocsparseL18bsrxmvn_4x4_kernelILj128ELj4EillaaiEEvT3_20rocsparse_direction_NS_24const_host_device_scalarIT1_EES1_PKS1_PKT2_SA_S7_PKT4_PKT5_S5_PT6_21rocsparse_index_base_b.kd
    .uniform_work_group_size: 1
    .uses_dynamic_stack: false
    .vgpr_count:     63
    .vgpr_spill_count: 0
    .wavefront_size: 32
    .workgroup_processor_mode: 1
  - .args:
      - .offset:         0
        .size:           8
        .value_kind:     by_value
      - .offset:         8
        .size:           4
        .value_kind:     by_value
      - .offset:         16
        .size:           8
        .value_kind:     by_value
      - .offset:         24
        .size:           8
        .value_kind:     by_value
      - .actual_access:  read_only
        .address_space:  global
        .offset:         32
        .size:           8
        .value_kind:     global_buffer
      - .actual_access:  read_only
        .address_space:  global
        .offset:         40
        .size:           8
        .value_kind:     global_buffer
      - .actual_access:  read_only
        .address_space:  global
        .offset:         48
        .size:           8
        .value_kind:     global_buffer
      - .actual_access:  read_only
        .address_space:  global
        .offset:         56
        .size:           8
        .value_kind:     global_buffer
      - .actual_access:  read_only
        .address_space:  global
        .offset:         64
        .size:           8
        .value_kind:     global_buffer
      - .actual_access:  read_only
        .address_space:  global
        .offset:         72
        .size:           8
        .value_kind:     global_buffer
      - .offset:         80
        .size:           8
        .value_kind:     by_value
      - .address_space:  global
        .offset:         88
        .size:           8
        .value_kind:     global_buffer
      - .offset:         96
        .size:           4
        .value_kind:     by_value
      - .offset:         100
        .size:           1
        .value_kind:     by_value
    .group_segment_fixed_size: 0
    .kernarg_segment_align: 8
    .kernarg_segment_size: 104
    .language:       OpenCL C
    .language_version:
      - 2
      - 0
    .max_flat_workgroup_size: 128
    .name:           _ZN9rocsparseL18bsrxmvn_4x4_kernelILj128ELj8EillaaiEEvT3_20rocsparse_direction_NS_24const_host_device_scalarIT1_EES1_PKS1_PKT2_SA_S7_PKT4_PKT5_S5_PT6_21rocsparse_index_base_b
    .private_segment_fixed_size: 0
    .sgpr_count:     16
    .sgpr_spill_count: 0
    .symbol:         _ZN9rocsparseL18bsrxmvn_4x4_kernelILj128ELj8EillaaiEEvT3_20rocsparse_direction_NS_24const_host_device_scalarIT1_EES1_PKS1_PKT2_SA_S7_PKT4_PKT5_S5_PT6_21rocsparse_index_base_b.kd
    .uniform_work_group_size: 1
    .uses_dynamic_stack: false
    .vgpr_count:     63
    .vgpr_spill_count: 0
    .wavefront_size: 32
    .workgroup_processor_mode: 1
  - .args:
      - .offset:         0
        .size:           8
        .value_kind:     by_value
      - .offset:         8
        .size:           4
        .value_kind:     by_value
      - .offset:         16
        .size:           8
        .value_kind:     by_value
      - .offset:         24
        .size:           8
        .value_kind:     by_value
      - .actual_access:  read_only
        .address_space:  global
        .offset:         32
        .size:           8
        .value_kind:     global_buffer
      - .actual_access:  read_only
        .address_space:  global
        .offset:         40
        .size:           8
        .value_kind:     global_buffer
      - .actual_access:  read_only
        .address_space:  global
        .offset:         48
        .size:           8
        .value_kind:     global_buffer
      - .actual_access:  read_only
        .address_space:  global
        .offset:         56
        .size:           8
        .value_kind:     global_buffer
      - .actual_access:  read_only
        .address_space:  global
        .offset:         64
        .size:           8
        .value_kind:     global_buffer
      - .actual_access:  read_only
        .address_space:  global
        .offset:         72
        .size:           8
        .value_kind:     global_buffer
      - .offset:         80
        .size:           8
        .value_kind:     by_value
      - .address_space:  global
        .offset:         88
        .size:           8
        .value_kind:     global_buffer
      - .offset:         96
        .size:           4
        .value_kind:     by_value
      - .offset:         100
        .size:           1
        .value_kind:     by_value
    .group_segment_fixed_size: 0
    .kernarg_segment_align: 8
    .kernarg_segment_size: 104
    .language:       OpenCL C
    .language_version:
      - 2
      - 0
    .max_flat_workgroup_size: 128
    .name:           _ZN9rocsparseL18bsrxmvn_4x4_kernelILj128ELj16EillaaiEEvT3_20rocsparse_direction_NS_24const_host_device_scalarIT1_EES1_PKS1_PKT2_SA_S7_PKT4_PKT5_S5_PT6_21rocsparse_index_base_b
    .private_segment_fixed_size: 0
    .sgpr_count:     16
    .sgpr_spill_count: 0
    .symbol:         _ZN9rocsparseL18bsrxmvn_4x4_kernelILj128ELj16EillaaiEEvT3_20rocsparse_direction_NS_24const_host_device_scalarIT1_EES1_PKS1_PKT2_SA_S7_PKT4_PKT5_S5_PT6_21rocsparse_index_base_b.kd
    .uniform_work_group_size: 1
    .uses_dynamic_stack: false
    .vgpr_count:     63
    .vgpr_spill_count: 0
    .wavefront_size: 32
    .workgroup_processor_mode: 1
  - .args:
      - .offset:         0
        .size:           8
        .value_kind:     by_value
      - .offset:         8
        .size:           4
        .value_kind:     by_value
      - .offset:         16
        .size:           8
        .value_kind:     by_value
      - .offset:         24
        .size:           8
        .value_kind:     by_value
      - .actual_access:  read_only
        .address_space:  global
        .offset:         32
        .size:           8
        .value_kind:     global_buffer
      - .actual_access:  read_only
        .address_space:  global
        .offset:         40
        .size:           8
        .value_kind:     global_buffer
      - .actual_access:  read_only
        .address_space:  global
        .offset:         48
        .size:           8
        .value_kind:     global_buffer
      - .actual_access:  read_only
        .address_space:  global
        .offset:         56
        .size:           8
        .value_kind:     global_buffer
      - .actual_access:  read_only
        .address_space:  global
        .offset:         64
        .size:           8
        .value_kind:     global_buffer
      - .actual_access:  read_only
        .address_space:  global
        .offset:         72
        .size:           8
        .value_kind:     global_buffer
      - .offset:         80
        .size:           8
        .value_kind:     by_value
      - .address_space:  global
        .offset:         88
        .size:           8
        .value_kind:     global_buffer
      - .offset:         96
        .size:           4
        .value_kind:     by_value
      - .offset:         100
        .size:           1
        .value_kind:     by_value
    .group_segment_fixed_size: 0
    .kernarg_segment_align: 8
    .kernarg_segment_size: 104
    .language:       OpenCL C
    .language_version:
      - 2
      - 0
    .max_flat_workgroup_size: 128
    .name:           _ZN9rocsparseL18bsrxmvn_4x4_kernelILj128ELj32EillaaiEEvT3_20rocsparse_direction_NS_24const_host_device_scalarIT1_EES1_PKS1_PKT2_SA_S7_PKT4_PKT5_S5_PT6_21rocsparse_index_base_b
    .private_segment_fixed_size: 0
    .sgpr_count:     16
    .sgpr_spill_count: 0
    .symbol:         _ZN9rocsparseL18bsrxmvn_4x4_kernelILj128ELj32EillaaiEEvT3_20rocsparse_direction_NS_24const_host_device_scalarIT1_EES1_PKS1_PKT2_SA_S7_PKT4_PKT5_S5_PT6_21rocsparse_index_base_b.kd
    .uniform_work_group_size: 1
    .uses_dynamic_stack: false
    .vgpr_count:     63
    .vgpr_spill_count: 0
    .wavefront_size: 32
    .workgroup_processor_mode: 1
  - .args:
      - .offset:         0
        .size:           8
        .value_kind:     by_value
      - .offset:         8
        .size:           4
        .value_kind:     by_value
      - .offset:         16
        .size:           8
        .value_kind:     by_value
      - .offset:         24
        .size:           8
        .value_kind:     by_value
      - .actual_access:  read_only
        .address_space:  global
        .offset:         32
        .size:           8
        .value_kind:     global_buffer
      - .actual_access:  read_only
        .address_space:  global
        .offset:         40
        .size:           8
        .value_kind:     global_buffer
      - .actual_access:  read_only
        .address_space:  global
        .offset:         48
        .size:           8
        .value_kind:     global_buffer
      - .actual_access:  read_only
        .address_space:  global
        .offset:         56
        .size:           8
        .value_kind:     global_buffer
      - .actual_access:  read_only
        .address_space:  global
        .offset:         64
        .size:           8
        .value_kind:     global_buffer
      - .actual_access:  read_only
        .address_space:  global
        .offset:         72
        .size:           8
        .value_kind:     global_buffer
      - .offset:         80
        .size:           8
        .value_kind:     by_value
      - .address_space:  global
        .offset:         88
        .size:           8
        .value_kind:     global_buffer
      - .offset:         96
        .size:           4
        .value_kind:     by_value
      - .offset:         100
        .size:           1
        .value_kind:     by_value
    .group_segment_fixed_size: 0
    .kernarg_segment_align: 8
    .kernarg_segment_size: 104
    .language:       OpenCL C
    .language_version:
      - 2
      - 0
    .max_flat_workgroup_size: 128
    .name:           _ZN9rocsparseL18bsrxmvn_4x4_kernelILj128ELj64EillaaiEEvT3_20rocsparse_direction_NS_24const_host_device_scalarIT1_EES1_PKS1_PKT2_SA_S7_PKT4_PKT5_S5_PT6_21rocsparse_index_base_b
    .private_segment_fixed_size: 0
    .sgpr_count:     16
    .sgpr_spill_count: 0
    .symbol:         _ZN9rocsparseL18bsrxmvn_4x4_kernelILj128ELj64EillaaiEEvT3_20rocsparse_direction_NS_24const_host_device_scalarIT1_EES1_PKS1_PKT2_SA_S7_PKT4_PKT5_S5_PT6_21rocsparse_index_base_b.kd
    .uniform_work_group_size: 1
    .uses_dynamic_stack: false
    .vgpr_count:     63
    .vgpr_spill_count: 0
    .wavefront_size: 32
    .workgroup_processor_mode: 1
  - .args:
      - .offset:         0
        .size:           4
        .value_kind:     by_value
      - .offset:         4
        .size:           4
        .value_kind:     by_value
      - .offset:         8
        .size:           8
        .value_kind:     by_value
      - .offset:         16
        .size:           4
        .value_kind:     by_value
      - .actual_access:  read_only
        .address_space:  global
        .offset:         24
        .size:           8
        .value_kind:     global_buffer
      - .actual_access:  read_only
        .address_space:  global
        .offset:         32
        .size:           8
        .value_kind:     global_buffer
      - .actual_access:  read_only
        .address_space:  global
        .offset:         40
        .size:           8
        .value_kind:     global_buffer
      - .actual_access:  read_only
        .address_space:  global
        .offset:         48
        .size:           8
        .value_kind:     global_buffer
      - .actual_access:  read_only
        .address_space:  global
        .offset:         56
        .size:           8
        .value_kind:     global_buffer
      - .actual_access:  read_only
        .address_space:  global
        .offset:         64
        .size:           8
        .value_kind:     global_buffer
      - .offset:         72
        .size:           8
        .value_kind:     by_value
      - .address_space:  global
        .offset:         80
        .size:           8
        .value_kind:     global_buffer
      - .offset:         88
        .size:           4
        .value_kind:     by_value
      - .offset:         92
        .size:           1
        .value_kind:     by_value
    .group_segment_fixed_size: 0
    .kernarg_segment_align: 8
    .kernarg_segment_size: 96
    .language:       OpenCL C
    .language_version:
      - 2
      - 0
    .max_flat_workgroup_size: 128
    .name:           _ZN9rocsparseL18bsrxmvn_4x4_kernelILj128ELj4EfiiaafEEvT3_20rocsparse_direction_NS_24const_host_device_scalarIT1_EES1_PKS1_PKT2_SA_S7_PKT4_PKT5_S5_PT6_21rocsparse_index_base_b
    .private_segment_fixed_size: 0
    .sgpr_count:     20
    .sgpr_spill_count: 0
    .symbol:         _ZN9rocsparseL18bsrxmvn_4x4_kernelILj128ELj4EfiiaafEEvT3_20rocsparse_direction_NS_24const_host_device_scalarIT1_EES1_PKS1_PKT2_SA_S7_PKT4_PKT5_S5_PT6_21rocsparse_index_base_b.kd
    .uniform_work_group_size: 1
    .uses_dynamic_stack: false
    .vgpr_count:     94
    .vgpr_spill_count: 0
    .wavefront_size: 32
    .workgroup_processor_mode: 1
  - .args:
      - .offset:         0
        .size:           4
        .value_kind:     by_value
      - .offset:         4
        .size:           4
        .value_kind:     by_value
      - .offset:         8
        .size:           8
        .value_kind:     by_value
      - .offset:         16
        .size:           4
        .value_kind:     by_value
      - .actual_access:  read_only
        .address_space:  global
        .offset:         24
        .size:           8
        .value_kind:     global_buffer
      - .actual_access:  read_only
        .address_space:  global
        .offset:         32
        .size:           8
        .value_kind:     global_buffer
      - .actual_access:  read_only
        .address_space:  global
        .offset:         40
        .size:           8
        .value_kind:     global_buffer
      - .actual_access:  read_only
        .address_space:  global
        .offset:         48
        .size:           8
        .value_kind:     global_buffer
      - .actual_access:  read_only
        .address_space:  global
        .offset:         56
        .size:           8
        .value_kind:     global_buffer
      - .actual_access:  read_only
        .address_space:  global
        .offset:         64
        .size:           8
        .value_kind:     global_buffer
      - .offset:         72
        .size:           8
        .value_kind:     by_value
      - .address_space:  global
        .offset:         80
        .size:           8
        .value_kind:     global_buffer
      - .offset:         88
        .size:           4
        .value_kind:     by_value
      - .offset:         92
        .size:           1
        .value_kind:     by_value
    .group_segment_fixed_size: 0
    .kernarg_segment_align: 8
    .kernarg_segment_size: 96
    .language:       OpenCL C
    .language_version:
      - 2
      - 0
    .max_flat_workgroup_size: 128
    .name:           _ZN9rocsparseL18bsrxmvn_4x4_kernelILj128ELj8EfiiaafEEvT3_20rocsparse_direction_NS_24const_host_device_scalarIT1_EES1_PKS1_PKT2_SA_S7_PKT4_PKT5_S5_PT6_21rocsparse_index_base_b
    .private_segment_fixed_size: 0
    .sgpr_count:     20
    .sgpr_spill_count: 0
    .symbol:         _ZN9rocsparseL18bsrxmvn_4x4_kernelILj128ELj8EfiiaafEEvT3_20rocsparse_direction_NS_24const_host_device_scalarIT1_EES1_PKS1_PKT2_SA_S7_PKT4_PKT5_S5_PT6_21rocsparse_index_base_b.kd
    .uniform_work_group_size: 1
    .uses_dynamic_stack: false
    .vgpr_count:     94
    .vgpr_spill_count: 0
    .wavefront_size: 32
    .workgroup_processor_mode: 1
  - .args:
      - .offset:         0
        .size:           4
        .value_kind:     by_value
      - .offset:         4
        .size:           4
        .value_kind:     by_value
      - .offset:         8
        .size:           8
        .value_kind:     by_value
      - .offset:         16
        .size:           4
        .value_kind:     by_value
      - .actual_access:  read_only
        .address_space:  global
        .offset:         24
        .size:           8
        .value_kind:     global_buffer
      - .actual_access:  read_only
        .address_space:  global
        .offset:         32
        .size:           8
        .value_kind:     global_buffer
      - .actual_access:  read_only
        .address_space:  global
        .offset:         40
        .size:           8
        .value_kind:     global_buffer
      - .actual_access:  read_only
        .address_space:  global
        .offset:         48
        .size:           8
        .value_kind:     global_buffer
      - .actual_access:  read_only
        .address_space:  global
        .offset:         56
        .size:           8
        .value_kind:     global_buffer
      - .actual_access:  read_only
        .address_space:  global
        .offset:         64
        .size:           8
        .value_kind:     global_buffer
      - .offset:         72
        .size:           8
        .value_kind:     by_value
      - .address_space:  global
        .offset:         80
        .size:           8
        .value_kind:     global_buffer
      - .offset:         88
        .size:           4
        .value_kind:     by_value
      - .offset:         92
        .size:           1
        .value_kind:     by_value
    .group_segment_fixed_size: 0
    .kernarg_segment_align: 8
    .kernarg_segment_size: 96
    .language:       OpenCL C
    .language_version:
      - 2
      - 0
    .max_flat_workgroup_size: 128
    .name:           _ZN9rocsparseL18bsrxmvn_4x4_kernelILj128ELj16EfiiaafEEvT3_20rocsparse_direction_NS_24const_host_device_scalarIT1_EES1_PKS1_PKT2_SA_S7_PKT4_PKT5_S5_PT6_21rocsparse_index_base_b
    .private_segment_fixed_size: 0
    .sgpr_count:     20
    .sgpr_spill_count: 0
    .symbol:         _ZN9rocsparseL18bsrxmvn_4x4_kernelILj128ELj16EfiiaafEEvT3_20rocsparse_direction_NS_24const_host_device_scalarIT1_EES1_PKS1_PKT2_SA_S7_PKT4_PKT5_S5_PT6_21rocsparse_index_base_b.kd
    .uniform_work_group_size: 1
    .uses_dynamic_stack: false
    .vgpr_count:     94
    .vgpr_spill_count: 0
    .wavefront_size: 32
    .workgroup_processor_mode: 1
  - .args:
      - .offset:         0
        .size:           4
        .value_kind:     by_value
      - .offset:         4
        .size:           4
        .value_kind:     by_value
      - .offset:         8
        .size:           8
        .value_kind:     by_value
      - .offset:         16
        .size:           4
        .value_kind:     by_value
      - .actual_access:  read_only
        .address_space:  global
        .offset:         24
        .size:           8
        .value_kind:     global_buffer
      - .actual_access:  read_only
        .address_space:  global
        .offset:         32
        .size:           8
        .value_kind:     global_buffer
      - .actual_access:  read_only
        .address_space:  global
        .offset:         40
        .size:           8
        .value_kind:     global_buffer
      - .actual_access:  read_only
        .address_space:  global
        .offset:         48
        .size:           8
        .value_kind:     global_buffer
      - .actual_access:  read_only
        .address_space:  global
        .offset:         56
        .size:           8
        .value_kind:     global_buffer
      - .actual_access:  read_only
        .address_space:  global
        .offset:         64
        .size:           8
        .value_kind:     global_buffer
      - .offset:         72
        .size:           8
        .value_kind:     by_value
      - .address_space:  global
        .offset:         80
        .size:           8
        .value_kind:     global_buffer
      - .offset:         88
        .size:           4
        .value_kind:     by_value
      - .offset:         92
        .size:           1
        .value_kind:     by_value
    .group_segment_fixed_size: 0
    .kernarg_segment_align: 8
    .kernarg_segment_size: 96
    .language:       OpenCL C
    .language_version:
      - 2
      - 0
    .max_flat_workgroup_size: 128
    .name:           _ZN9rocsparseL18bsrxmvn_4x4_kernelILj128ELj32EfiiaafEEvT3_20rocsparse_direction_NS_24const_host_device_scalarIT1_EES1_PKS1_PKT2_SA_S7_PKT4_PKT5_S5_PT6_21rocsparse_index_base_b
    .private_segment_fixed_size: 0
    .sgpr_count:     20
    .sgpr_spill_count: 0
    .symbol:         _ZN9rocsparseL18bsrxmvn_4x4_kernelILj128ELj32EfiiaafEEvT3_20rocsparse_direction_NS_24const_host_device_scalarIT1_EES1_PKS1_PKT2_SA_S7_PKT4_PKT5_S5_PT6_21rocsparse_index_base_b.kd
    .uniform_work_group_size: 1
    .uses_dynamic_stack: false
    .vgpr_count:     94
    .vgpr_spill_count: 0
    .wavefront_size: 32
    .workgroup_processor_mode: 1
  - .args:
      - .offset:         0
        .size:           4
        .value_kind:     by_value
      - .offset:         4
        .size:           4
        .value_kind:     by_value
      - .offset:         8
        .size:           8
        .value_kind:     by_value
      - .offset:         16
        .size:           4
        .value_kind:     by_value
      - .actual_access:  read_only
        .address_space:  global
        .offset:         24
        .size:           8
        .value_kind:     global_buffer
      - .actual_access:  read_only
        .address_space:  global
        .offset:         32
        .size:           8
        .value_kind:     global_buffer
      - .actual_access:  read_only
        .address_space:  global
        .offset:         40
        .size:           8
        .value_kind:     global_buffer
      - .actual_access:  read_only
        .address_space:  global
        .offset:         48
        .size:           8
        .value_kind:     global_buffer
      - .actual_access:  read_only
        .address_space:  global
        .offset:         56
        .size:           8
        .value_kind:     global_buffer
      - .actual_access:  read_only
        .address_space:  global
        .offset:         64
        .size:           8
        .value_kind:     global_buffer
      - .offset:         72
        .size:           8
        .value_kind:     by_value
      - .address_space:  global
        .offset:         80
        .size:           8
        .value_kind:     global_buffer
      - .offset:         88
        .size:           4
        .value_kind:     by_value
      - .offset:         92
        .size:           1
        .value_kind:     by_value
    .group_segment_fixed_size: 0
    .kernarg_segment_align: 8
    .kernarg_segment_size: 96
    .language:       OpenCL C
    .language_version:
      - 2
      - 0
    .max_flat_workgroup_size: 128
    .name:           _ZN9rocsparseL18bsrxmvn_4x4_kernelILj128ELj64EfiiaafEEvT3_20rocsparse_direction_NS_24const_host_device_scalarIT1_EES1_PKS1_PKT2_SA_S7_PKT4_PKT5_S5_PT6_21rocsparse_index_base_b
    .private_segment_fixed_size: 0
    .sgpr_count:     20
    .sgpr_spill_count: 0
    .symbol:         _ZN9rocsparseL18bsrxmvn_4x4_kernelILj128ELj64EfiiaafEEvT3_20rocsparse_direction_NS_24const_host_device_scalarIT1_EES1_PKS1_PKT2_SA_S7_PKT4_PKT5_S5_PT6_21rocsparse_index_base_b.kd
    .uniform_work_group_size: 1
    .uses_dynamic_stack: false
    .vgpr_count:     94
    .vgpr_spill_count: 0
    .wavefront_size: 32
    .workgroup_processor_mode: 1
  - .args:
      - .offset:         0
        .size:           4
        .value_kind:     by_value
      - .offset:         4
        .size:           4
        .value_kind:     by_value
      - .offset:         8
        .size:           8
        .value_kind:     by_value
      - .offset:         16
        .size:           4
        .value_kind:     by_value
      - .actual_access:  read_only
        .address_space:  global
        .offset:         24
        .size:           8
        .value_kind:     global_buffer
      - .actual_access:  read_only
        .address_space:  global
        .offset:         32
        .size:           8
        .value_kind:     global_buffer
      - .actual_access:  read_only
        .address_space:  global
        .offset:         40
        .size:           8
        .value_kind:     global_buffer
      - .actual_access:  read_only
        .address_space:  global
        .offset:         48
        .size:           8
        .value_kind:     global_buffer
      - .actual_access:  read_only
        .address_space:  global
        .offset:         56
        .size:           8
        .value_kind:     global_buffer
      - .actual_access:  read_only
        .address_space:  global
        .offset:         64
        .size:           8
        .value_kind:     global_buffer
      - .offset:         72
        .size:           8
        .value_kind:     by_value
      - .address_space:  global
        .offset:         80
        .size:           8
        .value_kind:     global_buffer
      - .offset:         88
        .size:           4
        .value_kind:     by_value
      - .offset:         92
        .size:           1
        .value_kind:     by_value
    .group_segment_fixed_size: 0
    .kernarg_segment_align: 8
    .kernarg_segment_size: 96
    .language:       OpenCL C
    .language_version:
      - 2
      - 0
    .max_flat_workgroup_size: 128
    .name:           _ZN9rocsparseL18bsrxmvn_4x4_kernelILj128ELj4EfliaafEEvT3_20rocsparse_direction_NS_24const_host_device_scalarIT1_EES1_PKS1_PKT2_SA_S7_PKT4_PKT5_S5_PT6_21rocsparse_index_base_b
    .private_segment_fixed_size: 0
    .sgpr_count:     20
    .sgpr_spill_count: 0
    .symbol:         _ZN9rocsparseL18bsrxmvn_4x4_kernelILj128ELj4EfliaafEEvT3_20rocsparse_direction_NS_24const_host_device_scalarIT1_EES1_PKS1_PKT2_SA_S7_PKT4_PKT5_S5_PT6_21rocsparse_index_base_b.kd
    .uniform_work_group_size: 1
    .uses_dynamic_stack: false
    .vgpr_count:     99
    .vgpr_spill_count: 0
    .wavefront_size: 32
    .workgroup_processor_mode: 1
  - .args:
      - .offset:         0
        .size:           4
        .value_kind:     by_value
      - .offset:         4
        .size:           4
        .value_kind:     by_value
      - .offset:         8
        .size:           8
        .value_kind:     by_value
      - .offset:         16
        .size:           4
        .value_kind:     by_value
      - .actual_access:  read_only
        .address_space:  global
        .offset:         24
        .size:           8
        .value_kind:     global_buffer
      - .actual_access:  read_only
        .address_space:  global
        .offset:         32
        .size:           8
        .value_kind:     global_buffer
      - .actual_access:  read_only
        .address_space:  global
        .offset:         40
        .size:           8
        .value_kind:     global_buffer
      - .actual_access:  read_only
        .address_space:  global
        .offset:         48
        .size:           8
        .value_kind:     global_buffer
      - .actual_access:  read_only
        .address_space:  global
        .offset:         56
        .size:           8
        .value_kind:     global_buffer
      - .actual_access:  read_only
        .address_space:  global
        .offset:         64
        .size:           8
        .value_kind:     global_buffer
      - .offset:         72
        .size:           8
        .value_kind:     by_value
      - .address_space:  global
        .offset:         80
        .size:           8
        .value_kind:     global_buffer
      - .offset:         88
        .size:           4
        .value_kind:     by_value
      - .offset:         92
        .size:           1
        .value_kind:     by_value
    .group_segment_fixed_size: 0
    .kernarg_segment_align: 8
    .kernarg_segment_size: 96
    .language:       OpenCL C
    .language_version:
      - 2
      - 0
    .max_flat_workgroup_size: 128
    .name:           _ZN9rocsparseL18bsrxmvn_4x4_kernelILj128ELj8EfliaafEEvT3_20rocsparse_direction_NS_24const_host_device_scalarIT1_EES1_PKS1_PKT2_SA_S7_PKT4_PKT5_S5_PT6_21rocsparse_index_base_b
    .private_segment_fixed_size: 0
    .sgpr_count:     20
    .sgpr_spill_count: 0
    .symbol:         _ZN9rocsparseL18bsrxmvn_4x4_kernelILj128ELj8EfliaafEEvT3_20rocsparse_direction_NS_24const_host_device_scalarIT1_EES1_PKS1_PKT2_SA_S7_PKT4_PKT5_S5_PT6_21rocsparse_index_base_b.kd
    .uniform_work_group_size: 1
    .uses_dynamic_stack: false
    .vgpr_count:     99
    .vgpr_spill_count: 0
    .wavefront_size: 32
    .workgroup_processor_mode: 1
  - .args:
      - .offset:         0
        .size:           4
        .value_kind:     by_value
      - .offset:         4
        .size:           4
        .value_kind:     by_value
      - .offset:         8
        .size:           8
        .value_kind:     by_value
      - .offset:         16
        .size:           4
        .value_kind:     by_value
      - .actual_access:  read_only
        .address_space:  global
        .offset:         24
        .size:           8
        .value_kind:     global_buffer
      - .actual_access:  read_only
        .address_space:  global
        .offset:         32
        .size:           8
        .value_kind:     global_buffer
      - .actual_access:  read_only
        .address_space:  global
        .offset:         40
        .size:           8
        .value_kind:     global_buffer
      - .actual_access:  read_only
        .address_space:  global
        .offset:         48
        .size:           8
        .value_kind:     global_buffer
      - .actual_access:  read_only
        .address_space:  global
        .offset:         56
        .size:           8
        .value_kind:     global_buffer
      - .actual_access:  read_only
        .address_space:  global
        .offset:         64
        .size:           8
        .value_kind:     global_buffer
      - .offset:         72
        .size:           8
        .value_kind:     by_value
      - .address_space:  global
        .offset:         80
        .size:           8
        .value_kind:     global_buffer
      - .offset:         88
        .size:           4
        .value_kind:     by_value
      - .offset:         92
        .size:           1
        .value_kind:     by_value
    .group_segment_fixed_size: 0
    .kernarg_segment_align: 8
    .kernarg_segment_size: 96
    .language:       OpenCL C
    .language_version:
      - 2
      - 0
    .max_flat_workgroup_size: 128
    .name:           _ZN9rocsparseL18bsrxmvn_4x4_kernelILj128ELj16EfliaafEEvT3_20rocsparse_direction_NS_24const_host_device_scalarIT1_EES1_PKS1_PKT2_SA_S7_PKT4_PKT5_S5_PT6_21rocsparse_index_base_b
    .private_segment_fixed_size: 0
    .sgpr_count:     20
    .sgpr_spill_count: 0
    .symbol:         _ZN9rocsparseL18bsrxmvn_4x4_kernelILj128ELj16EfliaafEEvT3_20rocsparse_direction_NS_24const_host_device_scalarIT1_EES1_PKS1_PKT2_SA_S7_PKT4_PKT5_S5_PT6_21rocsparse_index_base_b.kd
    .uniform_work_group_size: 1
    .uses_dynamic_stack: false
    .vgpr_count:     99
    .vgpr_spill_count: 0
    .wavefront_size: 32
    .workgroup_processor_mode: 1
  - .args:
      - .offset:         0
        .size:           4
        .value_kind:     by_value
      - .offset:         4
        .size:           4
        .value_kind:     by_value
      - .offset:         8
        .size:           8
        .value_kind:     by_value
      - .offset:         16
        .size:           4
        .value_kind:     by_value
      - .actual_access:  read_only
        .address_space:  global
        .offset:         24
        .size:           8
        .value_kind:     global_buffer
      - .actual_access:  read_only
        .address_space:  global
        .offset:         32
        .size:           8
        .value_kind:     global_buffer
      - .actual_access:  read_only
        .address_space:  global
        .offset:         40
        .size:           8
        .value_kind:     global_buffer
      - .actual_access:  read_only
        .address_space:  global
        .offset:         48
        .size:           8
        .value_kind:     global_buffer
      - .actual_access:  read_only
        .address_space:  global
        .offset:         56
        .size:           8
        .value_kind:     global_buffer
      - .actual_access:  read_only
        .address_space:  global
        .offset:         64
        .size:           8
        .value_kind:     global_buffer
      - .offset:         72
        .size:           8
        .value_kind:     by_value
      - .address_space:  global
        .offset:         80
        .size:           8
        .value_kind:     global_buffer
      - .offset:         88
        .size:           4
        .value_kind:     by_value
      - .offset:         92
        .size:           1
        .value_kind:     by_value
    .group_segment_fixed_size: 0
    .kernarg_segment_align: 8
    .kernarg_segment_size: 96
    .language:       OpenCL C
    .language_version:
      - 2
      - 0
    .max_flat_workgroup_size: 128
    .name:           _ZN9rocsparseL18bsrxmvn_4x4_kernelILj128ELj32EfliaafEEvT3_20rocsparse_direction_NS_24const_host_device_scalarIT1_EES1_PKS1_PKT2_SA_S7_PKT4_PKT5_S5_PT6_21rocsparse_index_base_b
    .private_segment_fixed_size: 0
    .sgpr_count:     20
    .sgpr_spill_count: 0
    .symbol:         _ZN9rocsparseL18bsrxmvn_4x4_kernelILj128ELj32EfliaafEEvT3_20rocsparse_direction_NS_24const_host_device_scalarIT1_EES1_PKS1_PKT2_SA_S7_PKT4_PKT5_S5_PT6_21rocsparse_index_base_b.kd
    .uniform_work_group_size: 1
    .uses_dynamic_stack: false
    .vgpr_count:     99
    .vgpr_spill_count: 0
    .wavefront_size: 32
    .workgroup_processor_mode: 1
  - .args:
      - .offset:         0
        .size:           4
        .value_kind:     by_value
      - .offset:         4
        .size:           4
        .value_kind:     by_value
      - .offset:         8
        .size:           8
        .value_kind:     by_value
      - .offset:         16
        .size:           4
        .value_kind:     by_value
      - .actual_access:  read_only
        .address_space:  global
        .offset:         24
        .size:           8
        .value_kind:     global_buffer
      - .actual_access:  read_only
        .address_space:  global
        .offset:         32
        .size:           8
        .value_kind:     global_buffer
      - .actual_access:  read_only
        .address_space:  global
        .offset:         40
        .size:           8
        .value_kind:     global_buffer
      - .actual_access:  read_only
        .address_space:  global
        .offset:         48
        .size:           8
        .value_kind:     global_buffer
      - .actual_access:  read_only
        .address_space:  global
        .offset:         56
        .size:           8
        .value_kind:     global_buffer
      - .actual_access:  read_only
        .address_space:  global
        .offset:         64
        .size:           8
        .value_kind:     global_buffer
      - .offset:         72
        .size:           8
        .value_kind:     by_value
      - .address_space:  global
        .offset:         80
        .size:           8
        .value_kind:     global_buffer
      - .offset:         88
        .size:           4
        .value_kind:     by_value
      - .offset:         92
        .size:           1
        .value_kind:     by_value
    .group_segment_fixed_size: 0
    .kernarg_segment_align: 8
    .kernarg_segment_size: 96
    .language:       OpenCL C
    .language_version:
      - 2
      - 0
    .max_flat_workgroup_size: 128
    .name:           _ZN9rocsparseL18bsrxmvn_4x4_kernelILj128ELj64EfliaafEEvT3_20rocsparse_direction_NS_24const_host_device_scalarIT1_EES1_PKS1_PKT2_SA_S7_PKT4_PKT5_S5_PT6_21rocsparse_index_base_b
    .private_segment_fixed_size: 0
    .sgpr_count:     20
    .sgpr_spill_count: 0
    .symbol:         _ZN9rocsparseL18bsrxmvn_4x4_kernelILj128ELj64EfliaafEEvT3_20rocsparse_direction_NS_24const_host_device_scalarIT1_EES1_PKS1_PKT2_SA_S7_PKT4_PKT5_S5_PT6_21rocsparse_index_base_b.kd
    .uniform_work_group_size: 1
    .uses_dynamic_stack: false
    .vgpr_count:     99
    .vgpr_spill_count: 0
    .wavefront_size: 32
    .workgroup_processor_mode: 1
  - .args:
      - .offset:         0
        .size:           8
        .value_kind:     by_value
      - .offset:         8
        .size:           4
        .value_kind:     by_value
      - .offset:         16
        .size:           8
        .value_kind:     by_value
      - .offset:         24
        .size:           8
        .value_kind:     by_value
      - .actual_access:  read_only
        .address_space:  global
        .offset:         32
        .size:           8
        .value_kind:     global_buffer
      - .actual_access:  read_only
        .address_space:  global
        .offset:         40
        .size:           8
        .value_kind:     global_buffer
      - .actual_access:  read_only
        .address_space:  global
        .offset:         48
        .size:           8
        .value_kind:     global_buffer
      - .actual_access:  read_only
        .address_space:  global
        .offset:         56
        .size:           8
        .value_kind:     global_buffer
      - .actual_access:  read_only
        .address_space:  global
        .offset:         64
        .size:           8
        .value_kind:     global_buffer
      - .actual_access:  read_only
        .address_space:  global
        .offset:         72
        .size:           8
        .value_kind:     global_buffer
      - .offset:         80
        .size:           8
        .value_kind:     by_value
      - .address_space:  global
        .offset:         88
        .size:           8
        .value_kind:     global_buffer
      - .offset:         96
        .size:           4
        .value_kind:     by_value
      - .offset:         100
        .size:           1
        .value_kind:     by_value
    .group_segment_fixed_size: 0
    .kernarg_segment_align: 8
    .kernarg_segment_size: 104
    .language:       OpenCL C
    .language_version:
      - 2
      - 0
    .max_flat_workgroup_size: 128
    .name:           _ZN9rocsparseL18bsrxmvn_4x4_kernelILj128ELj4EfllaafEEvT3_20rocsparse_direction_NS_24const_host_device_scalarIT1_EES1_PKS1_PKT2_SA_S7_PKT4_PKT5_S5_PT6_21rocsparse_index_base_b
    .private_segment_fixed_size: 0
    .sgpr_count:     20
    .sgpr_spill_count: 0
    .symbol:         _ZN9rocsparseL18bsrxmvn_4x4_kernelILj128ELj4EfllaafEEvT3_20rocsparse_direction_NS_24const_host_device_scalarIT1_EES1_PKS1_PKT2_SA_S7_PKT4_PKT5_S5_PT6_21rocsparse_index_base_b.kd
    .uniform_work_group_size: 1
    .uses_dynamic_stack: false
    .vgpr_count:     103
    .vgpr_spill_count: 0
    .wavefront_size: 32
    .workgroup_processor_mode: 1
  - .args:
      - .offset:         0
        .size:           8
        .value_kind:     by_value
      - .offset:         8
        .size:           4
        .value_kind:     by_value
      - .offset:         16
        .size:           8
        .value_kind:     by_value
      - .offset:         24
        .size:           8
        .value_kind:     by_value
      - .actual_access:  read_only
        .address_space:  global
        .offset:         32
        .size:           8
        .value_kind:     global_buffer
      - .actual_access:  read_only
        .address_space:  global
        .offset:         40
        .size:           8
        .value_kind:     global_buffer
      - .actual_access:  read_only
        .address_space:  global
        .offset:         48
        .size:           8
        .value_kind:     global_buffer
      - .actual_access:  read_only
        .address_space:  global
        .offset:         56
        .size:           8
        .value_kind:     global_buffer
      - .actual_access:  read_only
        .address_space:  global
        .offset:         64
        .size:           8
        .value_kind:     global_buffer
      - .actual_access:  read_only
        .address_space:  global
        .offset:         72
        .size:           8
        .value_kind:     global_buffer
      - .offset:         80
        .size:           8
        .value_kind:     by_value
      - .address_space:  global
        .offset:         88
        .size:           8
        .value_kind:     global_buffer
      - .offset:         96
        .size:           4
        .value_kind:     by_value
      - .offset:         100
        .size:           1
        .value_kind:     by_value
    .group_segment_fixed_size: 0
    .kernarg_segment_align: 8
    .kernarg_segment_size: 104
    .language:       OpenCL C
    .language_version:
      - 2
      - 0
    .max_flat_workgroup_size: 128
    .name:           _ZN9rocsparseL18bsrxmvn_4x4_kernelILj128ELj8EfllaafEEvT3_20rocsparse_direction_NS_24const_host_device_scalarIT1_EES1_PKS1_PKT2_SA_S7_PKT4_PKT5_S5_PT6_21rocsparse_index_base_b
    .private_segment_fixed_size: 0
    .sgpr_count:     20
    .sgpr_spill_count: 0
    .symbol:         _ZN9rocsparseL18bsrxmvn_4x4_kernelILj128ELj8EfllaafEEvT3_20rocsparse_direction_NS_24const_host_device_scalarIT1_EES1_PKS1_PKT2_SA_S7_PKT4_PKT5_S5_PT6_21rocsparse_index_base_b.kd
    .uniform_work_group_size: 1
    .uses_dynamic_stack: false
    .vgpr_count:     103
    .vgpr_spill_count: 0
    .wavefront_size: 32
    .workgroup_processor_mode: 1
  - .args:
      - .offset:         0
        .size:           8
        .value_kind:     by_value
      - .offset:         8
        .size:           4
        .value_kind:     by_value
      - .offset:         16
        .size:           8
        .value_kind:     by_value
      - .offset:         24
        .size:           8
        .value_kind:     by_value
      - .actual_access:  read_only
        .address_space:  global
        .offset:         32
        .size:           8
        .value_kind:     global_buffer
      - .actual_access:  read_only
        .address_space:  global
        .offset:         40
        .size:           8
        .value_kind:     global_buffer
      - .actual_access:  read_only
        .address_space:  global
        .offset:         48
        .size:           8
        .value_kind:     global_buffer
      - .actual_access:  read_only
        .address_space:  global
        .offset:         56
        .size:           8
        .value_kind:     global_buffer
      - .actual_access:  read_only
        .address_space:  global
        .offset:         64
        .size:           8
        .value_kind:     global_buffer
      - .actual_access:  read_only
        .address_space:  global
        .offset:         72
        .size:           8
        .value_kind:     global_buffer
      - .offset:         80
        .size:           8
        .value_kind:     by_value
      - .address_space:  global
        .offset:         88
        .size:           8
        .value_kind:     global_buffer
      - .offset:         96
        .size:           4
        .value_kind:     by_value
      - .offset:         100
        .size:           1
        .value_kind:     by_value
    .group_segment_fixed_size: 0
    .kernarg_segment_align: 8
    .kernarg_segment_size: 104
    .language:       OpenCL C
    .language_version:
      - 2
      - 0
    .max_flat_workgroup_size: 128
    .name:           _ZN9rocsparseL18bsrxmvn_4x4_kernelILj128ELj16EfllaafEEvT3_20rocsparse_direction_NS_24const_host_device_scalarIT1_EES1_PKS1_PKT2_SA_S7_PKT4_PKT5_S5_PT6_21rocsparse_index_base_b
    .private_segment_fixed_size: 0
    .sgpr_count:     20
    .sgpr_spill_count: 0
    .symbol:         _ZN9rocsparseL18bsrxmvn_4x4_kernelILj128ELj16EfllaafEEvT3_20rocsparse_direction_NS_24const_host_device_scalarIT1_EES1_PKS1_PKT2_SA_S7_PKT4_PKT5_S5_PT6_21rocsparse_index_base_b.kd
    .uniform_work_group_size: 1
    .uses_dynamic_stack: false
    .vgpr_count:     103
    .vgpr_spill_count: 0
    .wavefront_size: 32
    .workgroup_processor_mode: 1
  - .args:
      - .offset:         0
        .size:           8
        .value_kind:     by_value
      - .offset:         8
        .size:           4
        .value_kind:     by_value
      - .offset:         16
        .size:           8
        .value_kind:     by_value
      - .offset:         24
        .size:           8
        .value_kind:     by_value
      - .actual_access:  read_only
        .address_space:  global
        .offset:         32
        .size:           8
        .value_kind:     global_buffer
      - .actual_access:  read_only
        .address_space:  global
        .offset:         40
        .size:           8
        .value_kind:     global_buffer
      - .actual_access:  read_only
        .address_space:  global
        .offset:         48
        .size:           8
        .value_kind:     global_buffer
      - .actual_access:  read_only
        .address_space:  global
        .offset:         56
        .size:           8
        .value_kind:     global_buffer
      - .actual_access:  read_only
        .address_space:  global
        .offset:         64
        .size:           8
        .value_kind:     global_buffer
      - .actual_access:  read_only
        .address_space:  global
        .offset:         72
        .size:           8
        .value_kind:     global_buffer
      - .offset:         80
        .size:           8
        .value_kind:     by_value
      - .address_space:  global
        .offset:         88
        .size:           8
        .value_kind:     global_buffer
      - .offset:         96
        .size:           4
        .value_kind:     by_value
      - .offset:         100
        .size:           1
        .value_kind:     by_value
    .group_segment_fixed_size: 0
    .kernarg_segment_align: 8
    .kernarg_segment_size: 104
    .language:       OpenCL C
    .language_version:
      - 2
      - 0
    .max_flat_workgroup_size: 128
    .name:           _ZN9rocsparseL18bsrxmvn_4x4_kernelILj128ELj32EfllaafEEvT3_20rocsparse_direction_NS_24const_host_device_scalarIT1_EES1_PKS1_PKT2_SA_S7_PKT4_PKT5_S5_PT6_21rocsparse_index_base_b
    .private_segment_fixed_size: 0
    .sgpr_count:     20
    .sgpr_spill_count: 0
    .symbol:         _ZN9rocsparseL18bsrxmvn_4x4_kernelILj128ELj32EfllaafEEvT3_20rocsparse_direction_NS_24const_host_device_scalarIT1_EES1_PKS1_PKT2_SA_S7_PKT4_PKT5_S5_PT6_21rocsparse_index_base_b.kd
    .uniform_work_group_size: 1
    .uses_dynamic_stack: false
    .vgpr_count:     103
    .vgpr_spill_count: 0
    .wavefront_size: 32
    .workgroup_processor_mode: 1
  - .args:
      - .offset:         0
        .size:           8
        .value_kind:     by_value
      - .offset:         8
        .size:           4
        .value_kind:     by_value
      - .offset:         16
        .size:           8
        .value_kind:     by_value
      - .offset:         24
        .size:           8
        .value_kind:     by_value
      - .actual_access:  read_only
        .address_space:  global
        .offset:         32
        .size:           8
        .value_kind:     global_buffer
      - .actual_access:  read_only
        .address_space:  global
        .offset:         40
        .size:           8
        .value_kind:     global_buffer
      - .actual_access:  read_only
        .address_space:  global
        .offset:         48
        .size:           8
        .value_kind:     global_buffer
      - .actual_access:  read_only
        .address_space:  global
        .offset:         56
        .size:           8
        .value_kind:     global_buffer
      - .actual_access:  read_only
        .address_space:  global
        .offset:         64
        .size:           8
        .value_kind:     global_buffer
      - .actual_access:  read_only
        .address_space:  global
        .offset:         72
        .size:           8
        .value_kind:     global_buffer
      - .offset:         80
        .size:           8
        .value_kind:     by_value
      - .address_space:  global
        .offset:         88
        .size:           8
        .value_kind:     global_buffer
      - .offset:         96
        .size:           4
        .value_kind:     by_value
      - .offset:         100
        .size:           1
        .value_kind:     by_value
    .group_segment_fixed_size: 0
    .kernarg_segment_align: 8
    .kernarg_segment_size: 104
    .language:       OpenCL C
    .language_version:
      - 2
      - 0
    .max_flat_workgroup_size: 128
    .name:           _ZN9rocsparseL18bsrxmvn_4x4_kernelILj128ELj64EfllaafEEvT3_20rocsparse_direction_NS_24const_host_device_scalarIT1_EES1_PKS1_PKT2_SA_S7_PKT4_PKT5_S5_PT6_21rocsparse_index_base_b
    .private_segment_fixed_size: 0
    .sgpr_count:     20
    .sgpr_spill_count: 0
    .symbol:         _ZN9rocsparseL18bsrxmvn_4x4_kernelILj128ELj64EfllaafEEvT3_20rocsparse_direction_NS_24const_host_device_scalarIT1_EES1_PKS1_PKT2_SA_S7_PKT4_PKT5_S5_PT6_21rocsparse_index_base_b.kd
    .uniform_work_group_size: 1
    .uses_dynamic_stack: false
    .vgpr_count:     103
    .vgpr_spill_count: 0
    .wavefront_size: 32
    .workgroup_processor_mode: 1
  - .args:
      - .offset:         0
        .size:           4
        .value_kind:     by_value
      - .offset:         4
        .size:           4
        .value_kind:     by_value
      - .offset:         8
        .size:           8
        .value_kind:     by_value
      - .offset:         16
        .size:           4
        .value_kind:     by_value
      - .actual_access:  read_only
        .address_space:  global
        .offset:         24
        .size:           8
        .value_kind:     global_buffer
      - .actual_access:  read_only
        .address_space:  global
        .offset:         32
        .size:           8
        .value_kind:     global_buffer
      - .actual_access:  read_only
        .address_space:  global
        .offset:         40
        .size:           8
        .value_kind:     global_buffer
      - .actual_access:  read_only
        .address_space:  global
        .offset:         48
        .size:           8
        .value_kind:     global_buffer
      - .actual_access:  read_only
        .address_space:  global
        .offset:         56
        .size:           8
        .value_kind:     global_buffer
      - .actual_access:  read_only
        .address_space:  global
        .offset:         64
        .size:           8
        .value_kind:     global_buffer
      - .offset:         72
        .size:           8
        .value_kind:     by_value
      - .address_space:  global
        .offset:         80
        .size:           8
        .value_kind:     global_buffer
      - .offset:         88
        .size:           4
        .value_kind:     by_value
      - .offset:         92
        .size:           1
        .value_kind:     by_value
    .group_segment_fixed_size: 0
    .kernarg_segment_align: 8
    .kernarg_segment_size: 96
    .language:       OpenCL C
    .language_version:
      - 2
      - 0
    .max_flat_workgroup_size: 128
    .name:           _ZN9rocsparseL18bsrxmvn_4x4_kernelILj128ELj4EfiiDF16_DF16_fEEvT3_20rocsparse_direction_NS_24const_host_device_scalarIT1_EES1_PKS1_PKT2_SA_S7_PKT4_PKT5_S5_PT6_21rocsparse_index_base_b
    .private_segment_fixed_size: 0
    .sgpr_count:     20
    .sgpr_spill_count: 0
    .symbol:         _ZN9rocsparseL18bsrxmvn_4x4_kernelILj128ELj4EfiiDF16_DF16_fEEvT3_20rocsparse_direction_NS_24const_host_device_scalarIT1_EES1_PKS1_PKT2_SA_S7_PKT4_PKT5_S5_PT6_21rocsparse_index_base_b.kd
    .uniform_work_group_size: 1
    .uses_dynamic_stack: false
    .vgpr_count:     56
    .vgpr_spill_count: 0
    .wavefront_size: 32
    .workgroup_processor_mode: 1
  - .args:
      - .offset:         0
        .size:           4
        .value_kind:     by_value
      - .offset:         4
        .size:           4
        .value_kind:     by_value
      - .offset:         8
        .size:           8
        .value_kind:     by_value
      - .offset:         16
        .size:           4
        .value_kind:     by_value
      - .actual_access:  read_only
        .address_space:  global
        .offset:         24
        .size:           8
        .value_kind:     global_buffer
      - .actual_access:  read_only
        .address_space:  global
        .offset:         32
        .size:           8
        .value_kind:     global_buffer
      - .actual_access:  read_only
        .address_space:  global
        .offset:         40
        .size:           8
        .value_kind:     global_buffer
      - .actual_access:  read_only
        .address_space:  global
        .offset:         48
        .size:           8
        .value_kind:     global_buffer
      - .actual_access:  read_only
        .address_space:  global
        .offset:         56
        .size:           8
        .value_kind:     global_buffer
      - .actual_access:  read_only
        .address_space:  global
        .offset:         64
        .size:           8
        .value_kind:     global_buffer
      - .offset:         72
        .size:           8
        .value_kind:     by_value
      - .address_space:  global
        .offset:         80
        .size:           8
        .value_kind:     global_buffer
      - .offset:         88
        .size:           4
        .value_kind:     by_value
      - .offset:         92
        .size:           1
        .value_kind:     by_value
    .group_segment_fixed_size: 0
    .kernarg_segment_align: 8
    .kernarg_segment_size: 96
    .language:       OpenCL C
    .language_version:
      - 2
      - 0
    .max_flat_workgroup_size: 128
    .name:           _ZN9rocsparseL18bsrxmvn_4x4_kernelILj128ELj8EfiiDF16_DF16_fEEvT3_20rocsparse_direction_NS_24const_host_device_scalarIT1_EES1_PKS1_PKT2_SA_S7_PKT4_PKT5_S5_PT6_21rocsparse_index_base_b
    .private_segment_fixed_size: 0
    .sgpr_count:     20
    .sgpr_spill_count: 0
    .symbol:         _ZN9rocsparseL18bsrxmvn_4x4_kernelILj128ELj8EfiiDF16_DF16_fEEvT3_20rocsparse_direction_NS_24const_host_device_scalarIT1_EES1_PKS1_PKT2_SA_S7_PKT4_PKT5_S5_PT6_21rocsparse_index_base_b.kd
    .uniform_work_group_size: 1
    .uses_dynamic_stack: false
    .vgpr_count:     56
    .vgpr_spill_count: 0
    .wavefront_size: 32
    .workgroup_processor_mode: 1
  - .args:
      - .offset:         0
        .size:           4
        .value_kind:     by_value
      - .offset:         4
        .size:           4
        .value_kind:     by_value
      - .offset:         8
        .size:           8
        .value_kind:     by_value
      - .offset:         16
        .size:           4
        .value_kind:     by_value
      - .actual_access:  read_only
        .address_space:  global
        .offset:         24
        .size:           8
        .value_kind:     global_buffer
      - .actual_access:  read_only
        .address_space:  global
        .offset:         32
        .size:           8
        .value_kind:     global_buffer
      - .actual_access:  read_only
        .address_space:  global
        .offset:         40
        .size:           8
        .value_kind:     global_buffer
      - .actual_access:  read_only
        .address_space:  global
        .offset:         48
        .size:           8
        .value_kind:     global_buffer
      - .actual_access:  read_only
        .address_space:  global
        .offset:         56
        .size:           8
        .value_kind:     global_buffer
      - .actual_access:  read_only
        .address_space:  global
        .offset:         64
        .size:           8
        .value_kind:     global_buffer
      - .offset:         72
        .size:           8
        .value_kind:     by_value
      - .address_space:  global
        .offset:         80
        .size:           8
        .value_kind:     global_buffer
      - .offset:         88
        .size:           4
        .value_kind:     by_value
      - .offset:         92
        .size:           1
        .value_kind:     by_value
    .group_segment_fixed_size: 0
    .kernarg_segment_align: 8
    .kernarg_segment_size: 96
    .language:       OpenCL C
    .language_version:
      - 2
      - 0
    .max_flat_workgroup_size: 128
    .name:           _ZN9rocsparseL18bsrxmvn_4x4_kernelILj128ELj16EfiiDF16_DF16_fEEvT3_20rocsparse_direction_NS_24const_host_device_scalarIT1_EES1_PKS1_PKT2_SA_S7_PKT4_PKT5_S5_PT6_21rocsparse_index_base_b
    .private_segment_fixed_size: 0
    .sgpr_count:     20
    .sgpr_spill_count: 0
    .symbol:         _ZN9rocsparseL18bsrxmvn_4x4_kernelILj128ELj16EfiiDF16_DF16_fEEvT3_20rocsparse_direction_NS_24const_host_device_scalarIT1_EES1_PKS1_PKT2_SA_S7_PKT4_PKT5_S5_PT6_21rocsparse_index_base_b.kd
    .uniform_work_group_size: 1
    .uses_dynamic_stack: false
    .vgpr_count:     56
    .vgpr_spill_count: 0
    .wavefront_size: 32
    .workgroup_processor_mode: 1
  - .args:
      - .offset:         0
        .size:           4
        .value_kind:     by_value
      - .offset:         4
        .size:           4
        .value_kind:     by_value
      - .offset:         8
        .size:           8
        .value_kind:     by_value
      - .offset:         16
        .size:           4
        .value_kind:     by_value
      - .actual_access:  read_only
        .address_space:  global
        .offset:         24
        .size:           8
        .value_kind:     global_buffer
      - .actual_access:  read_only
        .address_space:  global
        .offset:         32
        .size:           8
        .value_kind:     global_buffer
      - .actual_access:  read_only
        .address_space:  global
        .offset:         40
        .size:           8
        .value_kind:     global_buffer
      - .actual_access:  read_only
        .address_space:  global
        .offset:         48
        .size:           8
        .value_kind:     global_buffer
      - .actual_access:  read_only
        .address_space:  global
        .offset:         56
        .size:           8
        .value_kind:     global_buffer
      - .actual_access:  read_only
        .address_space:  global
        .offset:         64
        .size:           8
        .value_kind:     global_buffer
      - .offset:         72
        .size:           8
        .value_kind:     by_value
      - .address_space:  global
        .offset:         80
        .size:           8
        .value_kind:     global_buffer
      - .offset:         88
        .size:           4
        .value_kind:     by_value
      - .offset:         92
        .size:           1
        .value_kind:     by_value
    .group_segment_fixed_size: 0
    .kernarg_segment_align: 8
    .kernarg_segment_size: 96
    .language:       OpenCL C
    .language_version:
      - 2
      - 0
    .max_flat_workgroup_size: 128
    .name:           _ZN9rocsparseL18bsrxmvn_4x4_kernelILj128ELj32EfiiDF16_DF16_fEEvT3_20rocsparse_direction_NS_24const_host_device_scalarIT1_EES1_PKS1_PKT2_SA_S7_PKT4_PKT5_S5_PT6_21rocsparse_index_base_b
    .private_segment_fixed_size: 0
    .sgpr_count:     20
    .sgpr_spill_count: 0
    .symbol:         _ZN9rocsparseL18bsrxmvn_4x4_kernelILj128ELj32EfiiDF16_DF16_fEEvT3_20rocsparse_direction_NS_24const_host_device_scalarIT1_EES1_PKS1_PKT2_SA_S7_PKT4_PKT5_S5_PT6_21rocsparse_index_base_b.kd
    .uniform_work_group_size: 1
    .uses_dynamic_stack: false
    .vgpr_count:     56
    .vgpr_spill_count: 0
    .wavefront_size: 32
    .workgroup_processor_mode: 1
  - .args:
      - .offset:         0
        .size:           4
        .value_kind:     by_value
      - .offset:         4
        .size:           4
        .value_kind:     by_value
      - .offset:         8
        .size:           8
        .value_kind:     by_value
      - .offset:         16
        .size:           4
        .value_kind:     by_value
      - .actual_access:  read_only
        .address_space:  global
        .offset:         24
        .size:           8
        .value_kind:     global_buffer
      - .actual_access:  read_only
        .address_space:  global
        .offset:         32
        .size:           8
        .value_kind:     global_buffer
      - .actual_access:  read_only
        .address_space:  global
        .offset:         40
        .size:           8
        .value_kind:     global_buffer
      - .actual_access:  read_only
        .address_space:  global
        .offset:         48
        .size:           8
        .value_kind:     global_buffer
      - .actual_access:  read_only
        .address_space:  global
        .offset:         56
        .size:           8
        .value_kind:     global_buffer
      - .actual_access:  read_only
        .address_space:  global
        .offset:         64
        .size:           8
        .value_kind:     global_buffer
      - .offset:         72
        .size:           8
        .value_kind:     by_value
      - .address_space:  global
        .offset:         80
        .size:           8
        .value_kind:     global_buffer
      - .offset:         88
        .size:           4
        .value_kind:     by_value
      - .offset:         92
        .size:           1
        .value_kind:     by_value
    .group_segment_fixed_size: 0
    .kernarg_segment_align: 8
    .kernarg_segment_size: 96
    .language:       OpenCL C
    .language_version:
      - 2
      - 0
    .max_flat_workgroup_size: 128
    .name:           _ZN9rocsparseL18bsrxmvn_4x4_kernelILj128ELj64EfiiDF16_DF16_fEEvT3_20rocsparse_direction_NS_24const_host_device_scalarIT1_EES1_PKS1_PKT2_SA_S7_PKT4_PKT5_S5_PT6_21rocsparse_index_base_b
    .private_segment_fixed_size: 0
    .sgpr_count:     20
    .sgpr_spill_count: 0
    .symbol:         _ZN9rocsparseL18bsrxmvn_4x4_kernelILj128ELj64EfiiDF16_DF16_fEEvT3_20rocsparse_direction_NS_24const_host_device_scalarIT1_EES1_PKS1_PKT2_SA_S7_PKT4_PKT5_S5_PT6_21rocsparse_index_base_b.kd
    .uniform_work_group_size: 1
    .uses_dynamic_stack: false
    .vgpr_count:     56
    .vgpr_spill_count: 0
    .wavefront_size: 32
    .workgroup_processor_mode: 1
  - .args:
      - .offset:         0
        .size:           4
        .value_kind:     by_value
      - .offset:         4
        .size:           4
        .value_kind:     by_value
      - .offset:         8
        .size:           8
        .value_kind:     by_value
      - .offset:         16
        .size:           4
        .value_kind:     by_value
      - .actual_access:  read_only
        .address_space:  global
        .offset:         24
        .size:           8
        .value_kind:     global_buffer
      - .actual_access:  read_only
        .address_space:  global
        .offset:         32
        .size:           8
        .value_kind:     global_buffer
      - .actual_access:  read_only
        .address_space:  global
        .offset:         40
        .size:           8
        .value_kind:     global_buffer
      - .actual_access:  read_only
        .address_space:  global
        .offset:         48
        .size:           8
        .value_kind:     global_buffer
      - .actual_access:  read_only
        .address_space:  global
        .offset:         56
        .size:           8
        .value_kind:     global_buffer
      - .actual_access:  read_only
        .address_space:  global
        .offset:         64
        .size:           8
        .value_kind:     global_buffer
      - .offset:         72
        .size:           8
        .value_kind:     by_value
      - .address_space:  global
        .offset:         80
        .size:           8
        .value_kind:     global_buffer
      - .offset:         88
        .size:           4
        .value_kind:     by_value
      - .offset:         92
        .size:           1
        .value_kind:     by_value
    .group_segment_fixed_size: 0
    .kernarg_segment_align: 8
    .kernarg_segment_size: 96
    .language:       OpenCL C
    .language_version:
      - 2
      - 0
    .max_flat_workgroup_size: 128
    .name:           _ZN9rocsparseL18bsrxmvn_4x4_kernelILj128ELj4EfliDF16_DF16_fEEvT3_20rocsparse_direction_NS_24const_host_device_scalarIT1_EES1_PKS1_PKT2_SA_S7_PKT4_PKT5_S5_PT6_21rocsparse_index_base_b
    .private_segment_fixed_size: 0
    .sgpr_count:     20
    .sgpr_spill_count: 0
    .symbol:         _ZN9rocsparseL18bsrxmvn_4x4_kernelILj128ELj4EfliDF16_DF16_fEEvT3_20rocsparse_direction_NS_24const_host_device_scalarIT1_EES1_PKS1_PKT2_SA_S7_PKT4_PKT5_S5_PT6_21rocsparse_index_base_b.kd
    .uniform_work_group_size: 1
    .uses_dynamic_stack: false
    .vgpr_count:     61
    .vgpr_spill_count: 0
    .wavefront_size: 32
    .workgroup_processor_mode: 1
  - .args:
      - .offset:         0
        .size:           4
        .value_kind:     by_value
      - .offset:         4
        .size:           4
        .value_kind:     by_value
      - .offset:         8
        .size:           8
        .value_kind:     by_value
      - .offset:         16
        .size:           4
        .value_kind:     by_value
      - .actual_access:  read_only
        .address_space:  global
        .offset:         24
        .size:           8
        .value_kind:     global_buffer
      - .actual_access:  read_only
        .address_space:  global
        .offset:         32
        .size:           8
        .value_kind:     global_buffer
      - .actual_access:  read_only
        .address_space:  global
        .offset:         40
        .size:           8
        .value_kind:     global_buffer
      - .actual_access:  read_only
        .address_space:  global
        .offset:         48
        .size:           8
        .value_kind:     global_buffer
      - .actual_access:  read_only
        .address_space:  global
        .offset:         56
        .size:           8
        .value_kind:     global_buffer
      - .actual_access:  read_only
        .address_space:  global
        .offset:         64
        .size:           8
        .value_kind:     global_buffer
      - .offset:         72
        .size:           8
        .value_kind:     by_value
      - .address_space:  global
        .offset:         80
        .size:           8
        .value_kind:     global_buffer
      - .offset:         88
        .size:           4
        .value_kind:     by_value
      - .offset:         92
        .size:           1
        .value_kind:     by_value
    .group_segment_fixed_size: 0
    .kernarg_segment_align: 8
    .kernarg_segment_size: 96
    .language:       OpenCL C
    .language_version:
      - 2
      - 0
    .max_flat_workgroup_size: 128
    .name:           _ZN9rocsparseL18bsrxmvn_4x4_kernelILj128ELj8EfliDF16_DF16_fEEvT3_20rocsparse_direction_NS_24const_host_device_scalarIT1_EES1_PKS1_PKT2_SA_S7_PKT4_PKT5_S5_PT6_21rocsparse_index_base_b
    .private_segment_fixed_size: 0
    .sgpr_count:     20
    .sgpr_spill_count: 0
    .symbol:         _ZN9rocsparseL18bsrxmvn_4x4_kernelILj128ELj8EfliDF16_DF16_fEEvT3_20rocsparse_direction_NS_24const_host_device_scalarIT1_EES1_PKS1_PKT2_SA_S7_PKT4_PKT5_S5_PT6_21rocsparse_index_base_b.kd
    .uniform_work_group_size: 1
    .uses_dynamic_stack: false
    .vgpr_count:     61
    .vgpr_spill_count: 0
    .wavefront_size: 32
    .workgroup_processor_mode: 1
  - .args:
      - .offset:         0
        .size:           4
        .value_kind:     by_value
      - .offset:         4
        .size:           4
        .value_kind:     by_value
      - .offset:         8
        .size:           8
        .value_kind:     by_value
      - .offset:         16
        .size:           4
        .value_kind:     by_value
      - .actual_access:  read_only
        .address_space:  global
        .offset:         24
        .size:           8
        .value_kind:     global_buffer
      - .actual_access:  read_only
        .address_space:  global
        .offset:         32
        .size:           8
        .value_kind:     global_buffer
      - .actual_access:  read_only
        .address_space:  global
        .offset:         40
        .size:           8
        .value_kind:     global_buffer
      - .actual_access:  read_only
        .address_space:  global
        .offset:         48
        .size:           8
        .value_kind:     global_buffer
      - .actual_access:  read_only
        .address_space:  global
        .offset:         56
        .size:           8
        .value_kind:     global_buffer
      - .actual_access:  read_only
        .address_space:  global
        .offset:         64
        .size:           8
        .value_kind:     global_buffer
      - .offset:         72
        .size:           8
        .value_kind:     by_value
      - .address_space:  global
        .offset:         80
        .size:           8
        .value_kind:     global_buffer
      - .offset:         88
        .size:           4
        .value_kind:     by_value
      - .offset:         92
        .size:           1
        .value_kind:     by_value
    .group_segment_fixed_size: 0
    .kernarg_segment_align: 8
    .kernarg_segment_size: 96
    .language:       OpenCL C
    .language_version:
      - 2
      - 0
    .max_flat_workgroup_size: 128
    .name:           _ZN9rocsparseL18bsrxmvn_4x4_kernelILj128ELj16EfliDF16_DF16_fEEvT3_20rocsparse_direction_NS_24const_host_device_scalarIT1_EES1_PKS1_PKT2_SA_S7_PKT4_PKT5_S5_PT6_21rocsparse_index_base_b
    .private_segment_fixed_size: 0
    .sgpr_count:     20
    .sgpr_spill_count: 0
    .symbol:         _ZN9rocsparseL18bsrxmvn_4x4_kernelILj128ELj16EfliDF16_DF16_fEEvT3_20rocsparse_direction_NS_24const_host_device_scalarIT1_EES1_PKS1_PKT2_SA_S7_PKT4_PKT5_S5_PT6_21rocsparse_index_base_b.kd
    .uniform_work_group_size: 1
    .uses_dynamic_stack: false
    .vgpr_count:     61
    .vgpr_spill_count: 0
    .wavefront_size: 32
    .workgroup_processor_mode: 1
  - .args:
      - .offset:         0
        .size:           4
        .value_kind:     by_value
      - .offset:         4
        .size:           4
        .value_kind:     by_value
      - .offset:         8
        .size:           8
        .value_kind:     by_value
      - .offset:         16
        .size:           4
        .value_kind:     by_value
      - .actual_access:  read_only
        .address_space:  global
        .offset:         24
        .size:           8
        .value_kind:     global_buffer
      - .actual_access:  read_only
        .address_space:  global
        .offset:         32
        .size:           8
        .value_kind:     global_buffer
      - .actual_access:  read_only
        .address_space:  global
        .offset:         40
        .size:           8
        .value_kind:     global_buffer
      - .actual_access:  read_only
        .address_space:  global
        .offset:         48
        .size:           8
        .value_kind:     global_buffer
      - .actual_access:  read_only
        .address_space:  global
        .offset:         56
        .size:           8
        .value_kind:     global_buffer
      - .actual_access:  read_only
        .address_space:  global
        .offset:         64
        .size:           8
        .value_kind:     global_buffer
      - .offset:         72
        .size:           8
        .value_kind:     by_value
      - .address_space:  global
        .offset:         80
        .size:           8
        .value_kind:     global_buffer
      - .offset:         88
        .size:           4
        .value_kind:     by_value
      - .offset:         92
        .size:           1
        .value_kind:     by_value
    .group_segment_fixed_size: 0
    .kernarg_segment_align: 8
    .kernarg_segment_size: 96
    .language:       OpenCL C
    .language_version:
      - 2
      - 0
    .max_flat_workgroup_size: 128
    .name:           _ZN9rocsparseL18bsrxmvn_4x4_kernelILj128ELj32EfliDF16_DF16_fEEvT3_20rocsparse_direction_NS_24const_host_device_scalarIT1_EES1_PKS1_PKT2_SA_S7_PKT4_PKT5_S5_PT6_21rocsparse_index_base_b
    .private_segment_fixed_size: 0
    .sgpr_count:     20
    .sgpr_spill_count: 0
    .symbol:         _ZN9rocsparseL18bsrxmvn_4x4_kernelILj128ELj32EfliDF16_DF16_fEEvT3_20rocsparse_direction_NS_24const_host_device_scalarIT1_EES1_PKS1_PKT2_SA_S7_PKT4_PKT5_S5_PT6_21rocsparse_index_base_b.kd
    .uniform_work_group_size: 1
    .uses_dynamic_stack: false
    .vgpr_count:     61
    .vgpr_spill_count: 0
    .wavefront_size: 32
    .workgroup_processor_mode: 1
  - .args:
      - .offset:         0
        .size:           4
        .value_kind:     by_value
      - .offset:         4
        .size:           4
        .value_kind:     by_value
      - .offset:         8
        .size:           8
        .value_kind:     by_value
      - .offset:         16
        .size:           4
        .value_kind:     by_value
      - .actual_access:  read_only
        .address_space:  global
        .offset:         24
        .size:           8
        .value_kind:     global_buffer
      - .actual_access:  read_only
        .address_space:  global
        .offset:         32
        .size:           8
        .value_kind:     global_buffer
      - .actual_access:  read_only
        .address_space:  global
        .offset:         40
        .size:           8
        .value_kind:     global_buffer
      - .actual_access:  read_only
        .address_space:  global
        .offset:         48
        .size:           8
        .value_kind:     global_buffer
      - .actual_access:  read_only
        .address_space:  global
        .offset:         56
        .size:           8
        .value_kind:     global_buffer
      - .actual_access:  read_only
        .address_space:  global
        .offset:         64
        .size:           8
        .value_kind:     global_buffer
      - .offset:         72
        .size:           8
        .value_kind:     by_value
      - .address_space:  global
        .offset:         80
        .size:           8
        .value_kind:     global_buffer
      - .offset:         88
        .size:           4
        .value_kind:     by_value
      - .offset:         92
        .size:           1
        .value_kind:     by_value
    .group_segment_fixed_size: 0
    .kernarg_segment_align: 8
    .kernarg_segment_size: 96
    .language:       OpenCL C
    .language_version:
      - 2
      - 0
    .max_flat_workgroup_size: 128
    .name:           _ZN9rocsparseL18bsrxmvn_4x4_kernelILj128ELj64EfliDF16_DF16_fEEvT3_20rocsparse_direction_NS_24const_host_device_scalarIT1_EES1_PKS1_PKT2_SA_S7_PKT4_PKT5_S5_PT6_21rocsparse_index_base_b
    .private_segment_fixed_size: 0
    .sgpr_count:     20
    .sgpr_spill_count: 0
    .symbol:         _ZN9rocsparseL18bsrxmvn_4x4_kernelILj128ELj64EfliDF16_DF16_fEEvT3_20rocsparse_direction_NS_24const_host_device_scalarIT1_EES1_PKS1_PKT2_SA_S7_PKT4_PKT5_S5_PT6_21rocsparse_index_base_b.kd
    .uniform_work_group_size: 1
    .uses_dynamic_stack: false
    .vgpr_count:     61
    .vgpr_spill_count: 0
    .wavefront_size: 32
    .workgroup_processor_mode: 1
  - .args:
      - .offset:         0
        .size:           8
        .value_kind:     by_value
      - .offset:         8
        .size:           4
        .value_kind:     by_value
      - .offset:         16
        .size:           8
        .value_kind:     by_value
      - .offset:         24
        .size:           8
        .value_kind:     by_value
      - .actual_access:  read_only
        .address_space:  global
        .offset:         32
        .size:           8
        .value_kind:     global_buffer
      - .actual_access:  read_only
        .address_space:  global
        .offset:         40
        .size:           8
        .value_kind:     global_buffer
      - .actual_access:  read_only
        .address_space:  global
        .offset:         48
        .size:           8
        .value_kind:     global_buffer
      - .actual_access:  read_only
        .address_space:  global
        .offset:         56
        .size:           8
        .value_kind:     global_buffer
      - .actual_access:  read_only
        .address_space:  global
        .offset:         64
        .size:           8
        .value_kind:     global_buffer
      - .actual_access:  read_only
        .address_space:  global
        .offset:         72
        .size:           8
        .value_kind:     global_buffer
      - .offset:         80
        .size:           8
        .value_kind:     by_value
      - .address_space:  global
        .offset:         88
        .size:           8
        .value_kind:     global_buffer
      - .offset:         96
        .size:           4
        .value_kind:     by_value
      - .offset:         100
        .size:           1
        .value_kind:     by_value
    .group_segment_fixed_size: 0
    .kernarg_segment_align: 8
    .kernarg_segment_size: 104
    .language:       OpenCL C
    .language_version:
      - 2
      - 0
    .max_flat_workgroup_size: 128
    .name:           _ZN9rocsparseL18bsrxmvn_4x4_kernelILj128ELj4EfllDF16_DF16_fEEvT3_20rocsparse_direction_NS_24const_host_device_scalarIT1_EES1_PKS1_PKT2_SA_S7_PKT4_PKT5_S5_PT6_21rocsparse_index_base_b
    .private_segment_fixed_size: 0
    .sgpr_count:     20
    .sgpr_spill_count: 0
    .symbol:         _ZN9rocsparseL18bsrxmvn_4x4_kernelILj128ELj4EfllDF16_DF16_fEEvT3_20rocsparse_direction_NS_24const_host_device_scalarIT1_EES1_PKS1_PKT2_SA_S7_PKT4_PKT5_S5_PT6_21rocsparse_index_base_b.kd
    .uniform_work_group_size: 1
    .uses_dynamic_stack: false
    .vgpr_count:     64
    .vgpr_spill_count: 0
    .wavefront_size: 32
    .workgroup_processor_mode: 1
  - .args:
      - .offset:         0
        .size:           8
        .value_kind:     by_value
      - .offset:         8
        .size:           4
        .value_kind:     by_value
      - .offset:         16
        .size:           8
        .value_kind:     by_value
      - .offset:         24
        .size:           8
        .value_kind:     by_value
      - .actual_access:  read_only
        .address_space:  global
        .offset:         32
        .size:           8
        .value_kind:     global_buffer
      - .actual_access:  read_only
        .address_space:  global
        .offset:         40
        .size:           8
        .value_kind:     global_buffer
      - .actual_access:  read_only
        .address_space:  global
        .offset:         48
        .size:           8
        .value_kind:     global_buffer
      - .actual_access:  read_only
        .address_space:  global
        .offset:         56
        .size:           8
        .value_kind:     global_buffer
      - .actual_access:  read_only
        .address_space:  global
        .offset:         64
        .size:           8
        .value_kind:     global_buffer
      - .actual_access:  read_only
        .address_space:  global
        .offset:         72
        .size:           8
        .value_kind:     global_buffer
      - .offset:         80
        .size:           8
        .value_kind:     by_value
      - .address_space:  global
        .offset:         88
        .size:           8
        .value_kind:     global_buffer
      - .offset:         96
        .size:           4
        .value_kind:     by_value
      - .offset:         100
        .size:           1
        .value_kind:     by_value
    .group_segment_fixed_size: 0
    .kernarg_segment_align: 8
    .kernarg_segment_size: 104
    .language:       OpenCL C
    .language_version:
      - 2
      - 0
    .max_flat_workgroup_size: 128
    .name:           _ZN9rocsparseL18bsrxmvn_4x4_kernelILj128ELj8EfllDF16_DF16_fEEvT3_20rocsparse_direction_NS_24const_host_device_scalarIT1_EES1_PKS1_PKT2_SA_S7_PKT4_PKT5_S5_PT6_21rocsparse_index_base_b
    .private_segment_fixed_size: 0
    .sgpr_count:     20
    .sgpr_spill_count: 0
    .symbol:         _ZN9rocsparseL18bsrxmvn_4x4_kernelILj128ELj8EfllDF16_DF16_fEEvT3_20rocsparse_direction_NS_24const_host_device_scalarIT1_EES1_PKS1_PKT2_SA_S7_PKT4_PKT5_S5_PT6_21rocsparse_index_base_b.kd
    .uniform_work_group_size: 1
    .uses_dynamic_stack: false
    .vgpr_count:     64
    .vgpr_spill_count: 0
    .wavefront_size: 32
    .workgroup_processor_mode: 1
  - .args:
      - .offset:         0
        .size:           8
        .value_kind:     by_value
      - .offset:         8
        .size:           4
        .value_kind:     by_value
      - .offset:         16
        .size:           8
        .value_kind:     by_value
      - .offset:         24
        .size:           8
        .value_kind:     by_value
      - .actual_access:  read_only
        .address_space:  global
        .offset:         32
        .size:           8
        .value_kind:     global_buffer
      - .actual_access:  read_only
        .address_space:  global
        .offset:         40
        .size:           8
        .value_kind:     global_buffer
      - .actual_access:  read_only
        .address_space:  global
        .offset:         48
        .size:           8
        .value_kind:     global_buffer
      - .actual_access:  read_only
        .address_space:  global
        .offset:         56
        .size:           8
        .value_kind:     global_buffer
      - .actual_access:  read_only
        .address_space:  global
        .offset:         64
        .size:           8
        .value_kind:     global_buffer
      - .actual_access:  read_only
        .address_space:  global
        .offset:         72
        .size:           8
        .value_kind:     global_buffer
      - .offset:         80
        .size:           8
        .value_kind:     by_value
      - .address_space:  global
        .offset:         88
        .size:           8
        .value_kind:     global_buffer
      - .offset:         96
        .size:           4
        .value_kind:     by_value
      - .offset:         100
        .size:           1
        .value_kind:     by_value
    .group_segment_fixed_size: 0
    .kernarg_segment_align: 8
    .kernarg_segment_size: 104
    .language:       OpenCL C
    .language_version:
      - 2
      - 0
    .max_flat_workgroup_size: 128
    .name:           _ZN9rocsparseL18bsrxmvn_4x4_kernelILj128ELj16EfllDF16_DF16_fEEvT3_20rocsparse_direction_NS_24const_host_device_scalarIT1_EES1_PKS1_PKT2_SA_S7_PKT4_PKT5_S5_PT6_21rocsparse_index_base_b
    .private_segment_fixed_size: 0
    .sgpr_count:     20
    .sgpr_spill_count: 0
    .symbol:         _ZN9rocsparseL18bsrxmvn_4x4_kernelILj128ELj16EfllDF16_DF16_fEEvT3_20rocsparse_direction_NS_24const_host_device_scalarIT1_EES1_PKS1_PKT2_SA_S7_PKT4_PKT5_S5_PT6_21rocsparse_index_base_b.kd
    .uniform_work_group_size: 1
    .uses_dynamic_stack: false
    .vgpr_count:     64
    .vgpr_spill_count: 0
    .wavefront_size: 32
    .workgroup_processor_mode: 1
  - .args:
      - .offset:         0
        .size:           8
        .value_kind:     by_value
      - .offset:         8
        .size:           4
        .value_kind:     by_value
      - .offset:         16
        .size:           8
        .value_kind:     by_value
      - .offset:         24
        .size:           8
        .value_kind:     by_value
      - .actual_access:  read_only
        .address_space:  global
        .offset:         32
        .size:           8
        .value_kind:     global_buffer
      - .actual_access:  read_only
        .address_space:  global
        .offset:         40
        .size:           8
        .value_kind:     global_buffer
      - .actual_access:  read_only
        .address_space:  global
        .offset:         48
        .size:           8
        .value_kind:     global_buffer
      - .actual_access:  read_only
        .address_space:  global
        .offset:         56
        .size:           8
        .value_kind:     global_buffer
      - .actual_access:  read_only
        .address_space:  global
        .offset:         64
        .size:           8
        .value_kind:     global_buffer
      - .actual_access:  read_only
        .address_space:  global
        .offset:         72
        .size:           8
        .value_kind:     global_buffer
      - .offset:         80
        .size:           8
        .value_kind:     by_value
      - .address_space:  global
        .offset:         88
        .size:           8
        .value_kind:     global_buffer
      - .offset:         96
        .size:           4
        .value_kind:     by_value
      - .offset:         100
        .size:           1
        .value_kind:     by_value
    .group_segment_fixed_size: 0
    .kernarg_segment_align: 8
    .kernarg_segment_size: 104
    .language:       OpenCL C
    .language_version:
      - 2
      - 0
    .max_flat_workgroup_size: 128
    .name:           _ZN9rocsparseL18bsrxmvn_4x4_kernelILj128ELj32EfllDF16_DF16_fEEvT3_20rocsparse_direction_NS_24const_host_device_scalarIT1_EES1_PKS1_PKT2_SA_S7_PKT4_PKT5_S5_PT6_21rocsparse_index_base_b
    .private_segment_fixed_size: 0
    .sgpr_count:     20
    .sgpr_spill_count: 0
    .symbol:         _ZN9rocsparseL18bsrxmvn_4x4_kernelILj128ELj32EfllDF16_DF16_fEEvT3_20rocsparse_direction_NS_24const_host_device_scalarIT1_EES1_PKS1_PKT2_SA_S7_PKT4_PKT5_S5_PT6_21rocsparse_index_base_b.kd
    .uniform_work_group_size: 1
    .uses_dynamic_stack: false
    .vgpr_count:     64
    .vgpr_spill_count: 0
    .wavefront_size: 32
    .workgroup_processor_mode: 1
  - .args:
      - .offset:         0
        .size:           8
        .value_kind:     by_value
      - .offset:         8
        .size:           4
        .value_kind:     by_value
      - .offset:         16
        .size:           8
        .value_kind:     by_value
      - .offset:         24
        .size:           8
        .value_kind:     by_value
      - .actual_access:  read_only
        .address_space:  global
        .offset:         32
        .size:           8
        .value_kind:     global_buffer
      - .actual_access:  read_only
        .address_space:  global
        .offset:         40
        .size:           8
        .value_kind:     global_buffer
      - .actual_access:  read_only
        .address_space:  global
        .offset:         48
        .size:           8
        .value_kind:     global_buffer
      - .actual_access:  read_only
        .address_space:  global
        .offset:         56
        .size:           8
        .value_kind:     global_buffer
      - .actual_access:  read_only
        .address_space:  global
        .offset:         64
        .size:           8
        .value_kind:     global_buffer
      - .actual_access:  read_only
        .address_space:  global
        .offset:         72
        .size:           8
        .value_kind:     global_buffer
      - .offset:         80
        .size:           8
        .value_kind:     by_value
      - .address_space:  global
        .offset:         88
        .size:           8
        .value_kind:     global_buffer
      - .offset:         96
        .size:           4
        .value_kind:     by_value
      - .offset:         100
        .size:           1
        .value_kind:     by_value
    .group_segment_fixed_size: 0
    .kernarg_segment_align: 8
    .kernarg_segment_size: 104
    .language:       OpenCL C
    .language_version:
      - 2
      - 0
    .max_flat_workgroup_size: 128
    .name:           _ZN9rocsparseL18bsrxmvn_4x4_kernelILj128ELj64EfllDF16_DF16_fEEvT3_20rocsparse_direction_NS_24const_host_device_scalarIT1_EES1_PKS1_PKT2_SA_S7_PKT4_PKT5_S5_PT6_21rocsparse_index_base_b
    .private_segment_fixed_size: 0
    .sgpr_count:     20
    .sgpr_spill_count: 0
    .symbol:         _ZN9rocsparseL18bsrxmvn_4x4_kernelILj128ELj64EfllDF16_DF16_fEEvT3_20rocsparse_direction_NS_24const_host_device_scalarIT1_EES1_PKS1_PKT2_SA_S7_PKT4_PKT5_S5_PT6_21rocsparse_index_base_b.kd
    .uniform_work_group_size: 1
    .uses_dynamic_stack: false
    .vgpr_count:     64
    .vgpr_spill_count: 0
    .wavefront_size: 32
    .workgroup_processor_mode: 1
  - .args:
      - .offset:         0
        .size:           4
        .value_kind:     by_value
      - .offset:         4
        .size:           4
        .value_kind:     by_value
      - .offset:         8
        .size:           8
        .value_kind:     by_value
      - .offset:         16
        .size:           4
        .value_kind:     by_value
      - .actual_access:  read_only
        .address_space:  global
        .offset:         24
        .size:           8
        .value_kind:     global_buffer
      - .actual_access:  read_only
        .address_space:  global
        .offset:         32
        .size:           8
        .value_kind:     global_buffer
      - .actual_access:  read_only
        .address_space:  global
        .offset:         40
        .size:           8
        .value_kind:     global_buffer
      - .actual_access:  read_only
        .address_space:  global
        .offset:         48
        .size:           8
        .value_kind:     global_buffer
      - .actual_access:  read_only
        .address_space:  global
        .offset:         56
        .size:           8
        .value_kind:     global_buffer
      - .actual_access:  read_only
        .address_space:  global
        .offset:         64
        .size:           8
        .value_kind:     global_buffer
      - .offset:         72
        .size:           8
        .value_kind:     by_value
      - .address_space:  global
        .offset:         80
        .size:           8
        .value_kind:     global_buffer
      - .offset:         88
        .size:           4
        .value_kind:     by_value
      - .offset:         92
        .size:           1
        .value_kind:     by_value
    .group_segment_fixed_size: 0
    .kernarg_segment_align: 8
    .kernarg_segment_size: 96
    .language:       OpenCL C
    .language_version:
      - 2
      - 0
    .max_flat_workgroup_size: 128
    .name:           _ZN9rocsparseL18bsrxmvn_4x4_kernelILj128ELj4Efii18rocsparse_bfloat16S1_fEEvT3_20rocsparse_direction_NS_24const_host_device_scalarIT1_EES2_PKS2_PKT2_SB_S8_PKT4_PKT5_S6_PT6_21rocsparse_index_base_b
    .private_segment_fixed_size: 0
    .sgpr_count:     20
    .sgpr_spill_count: 0
    .symbol:         _ZN9rocsparseL18bsrxmvn_4x4_kernelILj128ELj4Efii18rocsparse_bfloat16S1_fEEvT3_20rocsparse_direction_NS_24const_host_device_scalarIT1_EES2_PKS2_PKT2_SB_S8_PKT4_PKT5_S6_PT6_21rocsparse_index_base_b.kd
    .uniform_work_group_size: 1
    .uses_dynamic_stack: false
    .vgpr_count:     87
    .vgpr_spill_count: 0
    .wavefront_size: 32
    .workgroup_processor_mode: 1
  - .args:
      - .offset:         0
        .size:           4
        .value_kind:     by_value
      - .offset:         4
        .size:           4
        .value_kind:     by_value
      - .offset:         8
        .size:           8
        .value_kind:     by_value
      - .offset:         16
        .size:           4
        .value_kind:     by_value
      - .actual_access:  read_only
        .address_space:  global
        .offset:         24
        .size:           8
        .value_kind:     global_buffer
      - .actual_access:  read_only
        .address_space:  global
        .offset:         32
        .size:           8
        .value_kind:     global_buffer
      - .actual_access:  read_only
        .address_space:  global
        .offset:         40
        .size:           8
        .value_kind:     global_buffer
      - .actual_access:  read_only
        .address_space:  global
        .offset:         48
        .size:           8
        .value_kind:     global_buffer
      - .actual_access:  read_only
        .address_space:  global
        .offset:         56
        .size:           8
        .value_kind:     global_buffer
      - .actual_access:  read_only
        .address_space:  global
        .offset:         64
        .size:           8
        .value_kind:     global_buffer
      - .offset:         72
        .size:           8
        .value_kind:     by_value
      - .address_space:  global
        .offset:         80
        .size:           8
        .value_kind:     global_buffer
      - .offset:         88
        .size:           4
        .value_kind:     by_value
      - .offset:         92
        .size:           1
        .value_kind:     by_value
    .group_segment_fixed_size: 0
    .kernarg_segment_align: 8
    .kernarg_segment_size: 96
    .language:       OpenCL C
    .language_version:
      - 2
      - 0
    .max_flat_workgroup_size: 128
    .name:           _ZN9rocsparseL18bsrxmvn_4x4_kernelILj128ELj8Efii18rocsparse_bfloat16S1_fEEvT3_20rocsparse_direction_NS_24const_host_device_scalarIT1_EES2_PKS2_PKT2_SB_S8_PKT4_PKT5_S6_PT6_21rocsparse_index_base_b
    .private_segment_fixed_size: 0
    .sgpr_count:     20
    .sgpr_spill_count: 0
    .symbol:         _ZN9rocsparseL18bsrxmvn_4x4_kernelILj128ELj8Efii18rocsparse_bfloat16S1_fEEvT3_20rocsparse_direction_NS_24const_host_device_scalarIT1_EES2_PKS2_PKT2_SB_S8_PKT4_PKT5_S6_PT6_21rocsparse_index_base_b.kd
    .uniform_work_group_size: 1
    .uses_dynamic_stack: false
    .vgpr_count:     87
    .vgpr_spill_count: 0
    .wavefront_size: 32
    .workgroup_processor_mode: 1
  - .args:
      - .offset:         0
        .size:           4
        .value_kind:     by_value
      - .offset:         4
        .size:           4
        .value_kind:     by_value
      - .offset:         8
        .size:           8
        .value_kind:     by_value
      - .offset:         16
        .size:           4
        .value_kind:     by_value
      - .actual_access:  read_only
        .address_space:  global
        .offset:         24
        .size:           8
        .value_kind:     global_buffer
      - .actual_access:  read_only
        .address_space:  global
        .offset:         32
        .size:           8
        .value_kind:     global_buffer
      - .actual_access:  read_only
        .address_space:  global
        .offset:         40
        .size:           8
        .value_kind:     global_buffer
      - .actual_access:  read_only
        .address_space:  global
        .offset:         48
        .size:           8
        .value_kind:     global_buffer
      - .actual_access:  read_only
        .address_space:  global
        .offset:         56
        .size:           8
        .value_kind:     global_buffer
      - .actual_access:  read_only
        .address_space:  global
        .offset:         64
        .size:           8
        .value_kind:     global_buffer
      - .offset:         72
        .size:           8
        .value_kind:     by_value
      - .address_space:  global
        .offset:         80
        .size:           8
        .value_kind:     global_buffer
      - .offset:         88
        .size:           4
        .value_kind:     by_value
      - .offset:         92
        .size:           1
        .value_kind:     by_value
    .group_segment_fixed_size: 0
    .kernarg_segment_align: 8
    .kernarg_segment_size: 96
    .language:       OpenCL C
    .language_version:
      - 2
      - 0
    .max_flat_workgroup_size: 128
    .name:           _ZN9rocsparseL18bsrxmvn_4x4_kernelILj128ELj16Efii18rocsparse_bfloat16S1_fEEvT3_20rocsparse_direction_NS_24const_host_device_scalarIT1_EES2_PKS2_PKT2_SB_S8_PKT4_PKT5_S6_PT6_21rocsparse_index_base_b
    .private_segment_fixed_size: 0
    .sgpr_count:     20
    .sgpr_spill_count: 0
    .symbol:         _ZN9rocsparseL18bsrxmvn_4x4_kernelILj128ELj16Efii18rocsparse_bfloat16S1_fEEvT3_20rocsparse_direction_NS_24const_host_device_scalarIT1_EES2_PKS2_PKT2_SB_S8_PKT4_PKT5_S6_PT6_21rocsparse_index_base_b.kd
    .uniform_work_group_size: 1
    .uses_dynamic_stack: false
    .vgpr_count:     87
    .vgpr_spill_count: 0
    .wavefront_size: 32
    .workgroup_processor_mode: 1
  - .args:
      - .offset:         0
        .size:           4
        .value_kind:     by_value
      - .offset:         4
        .size:           4
        .value_kind:     by_value
      - .offset:         8
        .size:           8
        .value_kind:     by_value
      - .offset:         16
        .size:           4
        .value_kind:     by_value
      - .actual_access:  read_only
        .address_space:  global
        .offset:         24
        .size:           8
        .value_kind:     global_buffer
      - .actual_access:  read_only
        .address_space:  global
        .offset:         32
        .size:           8
        .value_kind:     global_buffer
      - .actual_access:  read_only
        .address_space:  global
        .offset:         40
        .size:           8
        .value_kind:     global_buffer
      - .actual_access:  read_only
        .address_space:  global
        .offset:         48
        .size:           8
        .value_kind:     global_buffer
      - .actual_access:  read_only
        .address_space:  global
        .offset:         56
        .size:           8
        .value_kind:     global_buffer
      - .actual_access:  read_only
        .address_space:  global
        .offset:         64
        .size:           8
        .value_kind:     global_buffer
      - .offset:         72
        .size:           8
        .value_kind:     by_value
      - .address_space:  global
        .offset:         80
        .size:           8
        .value_kind:     global_buffer
      - .offset:         88
        .size:           4
        .value_kind:     by_value
      - .offset:         92
        .size:           1
        .value_kind:     by_value
    .group_segment_fixed_size: 0
    .kernarg_segment_align: 8
    .kernarg_segment_size: 96
    .language:       OpenCL C
    .language_version:
      - 2
      - 0
    .max_flat_workgroup_size: 128
    .name:           _ZN9rocsparseL18bsrxmvn_4x4_kernelILj128ELj32Efii18rocsparse_bfloat16S1_fEEvT3_20rocsparse_direction_NS_24const_host_device_scalarIT1_EES2_PKS2_PKT2_SB_S8_PKT4_PKT5_S6_PT6_21rocsparse_index_base_b
    .private_segment_fixed_size: 0
    .sgpr_count:     20
    .sgpr_spill_count: 0
    .symbol:         _ZN9rocsparseL18bsrxmvn_4x4_kernelILj128ELj32Efii18rocsparse_bfloat16S1_fEEvT3_20rocsparse_direction_NS_24const_host_device_scalarIT1_EES2_PKS2_PKT2_SB_S8_PKT4_PKT5_S6_PT6_21rocsparse_index_base_b.kd
    .uniform_work_group_size: 1
    .uses_dynamic_stack: false
    .vgpr_count:     87
    .vgpr_spill_count: 0
    .wavefront_size: 32
    .workgroup_processor_mode: 1
  - .args:
      - .offset:         0
        .size:           4
        .value_kind:     by_value
      - .offset:         4
        .size:           4
        .value_kind:     by_value
      - .offset:         8
        .size:           8
        .value_kind:     by_value
      - .offset:         16
        .size:           4
        .value_kind:     by_value
      - .actual_access:  read_only
        .address_space:  global
        .offset:         24
        .size:           8
        .value_kind:     global_buffer
      - .actual_access:  read_only
        .address_space:  global
        .offset:         32
        .size:           8
        .value_kind:     global_buffer
      - .actual_access:  read_only
        .address_space:  global
        .offset:         40
        .size:           8
        .value_kind:     global_buffer
      - .actual_access:  read_only
        .address_space:  global
        .offset:         48
        .size:           8
        .value_kind:     global_buffer
      - .actual_access:  read_only
        .address_space:  global
        .offset:         56
        .size:           8
        .value_kind:     global_buffer
      - .actual_access:  read_only
        .address_space:  global
        .offset:         64
        .size:           8
        .value_kind:     global_buffer
      - .offset:         72
        .size:           8
        .value_kind:     by_value
      - .address_space:  global
        .offset:         80
        .size:           8
        .value_kind:     global_buffer
      - .offset:         88
        .size:           4
        .value_kind:     by_value
      - .offset:         92
        .size:           1
        .value_kind:     by_value
    .group_segment_fixed_size: 0
    .kernarg_segment_align: 8
    .kernarg_segment_size: 96
    .language:       OpenCL C
    .language_version:
      - 2
      - 0
    .max_flat_workgroup_size: 128
    .name:           _ZN9rocsparseL18bsrxmvn_4x4_kernelILj128ELj64Efii18rocsparse_bfloat16S1_fEEvT3_20rocsparse_direction_NS_24const_host_device_scalarIT1_EES2_PKS2_PKT2_SB_S8_PKT4_PKT5_S6_PT6_21rocsparse_index_base_b
    .private_segment_fixed_size: 0
    .sgpr_count:     20
    .sgpr_spill_count: 0
    .symbol:         _ZN9rocsparseL18bsrxmvn_4x4_kernelILj128ELj64Efii18rocsparse_bfloat16S1_fEEvT3_20rocsparse_direction_NS_24const_host_device_scalarIT1_EES2_PKS2_PKT2_SB_S8_PKT4_PKT5_S6_PT6_21rocsparse_index_base_b.kd
    .uniform_work_group_size: 1
    .uses_dynamic_stack: false
    .vgpr_count:     87
    .vgpr_spill_count: 0
    .wavefront_size: 32
    .workgroup_processor_mode: 1
  - .args:
      - .offset:         0
        .size:           4
        .value_kind:     by_value
      - .offset:         4
        .size:           4
        .value_kind:     by_value
      - .offset:         8
        .size:           8
        .value_kind:     by_value
      - .offset:         16
        .size:           4
        .value_kind:     by_value
      - .actual_access:  read_only
        .address_space:  global
        .offset:         24
        .size:           8
        .value_kind:     global_buffer
      - .actual_access:  read_only
        .address_space:  global
        .offset:         32
        .size:           8
        .value_kind:     global_buffer
      - .actual_access:  read_only
        .address_space:  global
        .offset:         40
        .size:           8
        .value_kind:     global_buffer
      - .actual_access:  read_only
        .address_space:  global
        .offset:         48
        .size:           8
        .value_kind:     global_buffer
      - .actual_access:  read_only
        .address_space:  global
        .offset:         56
        .size:           8
        .value_kind:     global_buffer
      - .actual_access:  read_only
        .address_space:  global
        .offset:         64
        .size:           8
        .value_kind:     global_buffer
      - .offset:         72
        .size:           8
        .value_kind:     by_value
      - .address_space:  global
        .offset:         80
        .size:           8
        .value_kind:     global_buffer
      - .offset:         88
        .size:           4
        .value_kind:     by_value
      - .offset:         92
        .size:           1
        .value_kind:     by_value
    .group_segment_fixed_size: 0
    .kernarg_segment_align: 8
    .kernarg_segment_size: 96
    .language:       OpenCL C
    .language_version:
      - 2
      - 0
    .max_flat_workgroup_size: 128
    .name:           _ZN9rocsparseL18bsrxmvn_4x4_kernelILj128ELj4Efli18rocsparse_bfloat16S1_fEEvT3_20rocsparse_direction_NS_24const_host_device_scalarIT1_EES2_PKS2_PKT2_SB_S8_PKT4_PKT5_S6_PT6_21rocsparse_index_base_b
    .private_segment_fixed_size: 0
    .sgpr_count:     20
    .sgpr_spill_count: 0
    .symbol:         _ZN9rocsparseL18bsrxmvn_4x4_kernelILj128ELj4Efli18rocsparse_bfloat16S1_fEEvT3_20rocsparse_direction_NS_24const_host_device_scalarIT1_EES2_PKS2_PKT2_SB_S8_PKT4_PKT5_S6_PT6_21rocsparse_index_base_b.kd
    .uniform_work_group_size: 1
    .uses_dynamic_stack: false
    .vgpr_count:     93
    .vgpr_spill_count: 0
    .wavefront_size: 32
    .workgroup_processor_mode: 1
  - .args:
      - .offset:         0
        .size:           4
        .value_kind:     by_value
      - .offset:         4
        .size:           4
        .value_kind:     by_value
      - .offset:         8
        .size:           8
        .value_kind:     by_value
      - .offset:         16
        .size:           4
        .value_kind:     by_value
      - .actual_access:  read_only
        .address_space:  global
        .offset:         24
        .size:           8
        .value_kind:     global_buffer
      - .actual_access:  read_only
        .address_space:  global
        .offset:         32
        .size:           8
        .value_kind:     global_buffer
      - .actual_access:  read_only
        .address_space:  global
        .offset:         40
        .size:           8
        .value_kind:     global_buffer
      - .actual_access:  read_only
        .address_space:  global
        .offset:         48
        .size:           8
        .value_kind:     global_buffer
      - .actual_access:  read_only
        .address_space:  global
        .offset:         56
        .size:           8
        .value_kind:     global_buffer
      - .actual_access:  read_only
        .address_space:  global
        .offset:         64
        .size:           8
        .value_kind:     global_buffer
      - .offset:         72
        .size:           8
        .value_kind:     by_value
      - .address_space:  global
        .offset:         80
        .size:           8
        .value_kind:     global_buffer
      - .offset:         88
        .size:           4
        .value_kind:     by_value
      - .offset:         92
        .size:           1
        .value_kind:     by_value
    .group_segment_fixed_size: 0
    .kernarg_segment_align: 8
    .kernarg_segment_size: 96
    .language:       OpenCL C
    .language_version:
      - 2
      - 0
    .max_flat_workgroup_size: 128
    .name:           _ZN9rocsparseL18bsrxmvn_4x4_kernelILj128ELj8Efli18rocsparse_bfloat16S1_fEEvT3_20rocsparse_direction_NS_24const_host_device_scalarIT1_EES2_PKS2_PKT2_SB_S8_PKT4_PKT5_S6_PT6_21rocsparse_index_base_b
    .private_segment_fixed_size: 0
    .sgpr_count:     20
    .sgpr_spill_count: 0
    .symbol:         _ZN9rocsparseL18bsrxmvn_4x4_kernelILj128ELj8Efli18rocsparse_bfloat16S1_fEEvT3_20rocsparse_direction_NS_24const_host_device_scalarIT1_EES2_PKS2_PKT2_SB_S8_PKT4_PKT5_S6_PT6_21rocsparse_index_base_b.kd
    .uniform_work_group_size: 1
    .uses_dynamic_stack: false
    .vgpr_count:     93
    .vgpr_spill_count: 0
    .wavefront_size: 32
    .workgroup_processor_mode: 1
  - .args:
      - .offset:         0
        .size:           4
        .value_kind:     by_value
      - .offset:         4
        .size:           4
        .value_kind:     by_value
      - .offset:         8
        .size:           8
        .value_kind:     by_value
      - .offset:         16
        .size:           4
        .value_kind:     by_value
      - .actual_access:  read_only
        .address_space:  global
        .offset:         24
        .size:           8
        .value_kind:     global_buffer
      - .actual_access:  read_only
        .address_space:  global
        .offset:         32
        .size:           8
        .value_kind:     global_buffer
      - .actual_access:  read_only
        .address_space:  global
        .offset:         40
        .size:           8
        .value_kind:     global_buffer
      - .actual_access:  read_only
        .address_space:  global
        .offset:         48
        .size:           8
        .value_kind:     global_buffer
      - .actual_access:  read_only
        .address_space:  global
        .offset:         56
        .size:           8
        .value_kind:     global_buffer
      - .actual_access:  read_only
        .address_space:  global
        .offset:         64
        .size:           8
        .value_kind:     global_buffer
      - .offset:         72
        .size:           8
        .value_kind:     by_value
      - .address_space:  global
        .offset:         80
        .size:           8
        .value_kind:     global_buffer
      - .offset:         88
        .size:           4
        .value_kind:     by_value
      - .offset:         92
        .size:           1
        .value_kind:     by_value
    .group_segment_fixed_size: 0
    .kernarg_segment_align: 8
    .kernarg_segment_size: 96
    .language:       OpenCL C
    .language_version:
      - 2
      - 0
    .max_flat_workgroup_size: 128
    .name:           _ZN9rocsparseL18bsrxmvn_4x4_kernelILj128ELj16Efli18rocsparse_bfloat16S1_fEEvT3_20rocsparse_direction_NS_24const_host_device_scalarIT1_EES2_PKS2_PKT2_SB_S8_PKT4_PKT5_S6_PT6_21rocsparse_index_base_b
    .private_segment_fixed_size: 0
    .sgpr_count:     20
    .sgpr_spill_count: 0
    .symbol:         _ZN9rocsparseL18bsrxmvn_4x4_kernelILj128ELj16Efli18rocsparse_bfloat16S1_fEEvT3_20rocsparse_direction_NS_24const_host_device_scalarIT1_EES2_PKS2_PKT2_SB_S8_PKT4_PKT5_S6_PT6_21rocsparse_index_base_b.kd
    .uniform_work_group_size: 1
    .uses_dynamic_stack: false
    .vgpr_count:     93
    .vgpr_spill_count: 0
    .wavefront_size: 32
    .workgroup_processor_mode: 1
  - .args:
      - .offset:         0
        .size:           4
        .value_kind:     by_value
      - .offset:         4
        .size:           4
        .value_kind:     by_value
      - .offset:         8
        .size:           8
        .value_kind:     by_value
      - .offset:         16
        .size:           4
        .value_kind:     by_value
      - .actual_access:  read_only
        .address_space:  global
        .offset:         24
        .size:           8
        .value_kind:     global_buffer
      - .actual_access:  read_only
        .address_space:  global
        .offset:         32
        .size:           8
        .value_kind:     global_buffer
      - .actual_access:  read_only
        .address_space:  global
        .offset:         40
        .size:           8
        .value_kind:     global_buffer
      - .actual_access:  read_only
        .address_space:  global
        .offset:         48
        .size:           8
        .value_kind:     global_buffer
      - .actual_access:  read_only
        .address_space:  global
        .offset:         56
        .size:           8
        .value_kind:     global_buffer
      - .actual_access:  read_only
        .address_space:  global
        .offset:         64
        .size:           8
        .value_kind:     global_buffer
      - .offset:         72
        .size:           8
        .value_kind:     by_value
      - .address_space:  global
        .offset:         80
        .size:           8
        .value_kind:     global_buffer
      - .offset:         88
        .size:           4
        .value_kind:     by_value
      - .offset:         92
        .size:           1
        .value_kind:     by_value
    .group_segment_fixed_size: 0
    .kernarg_segment_align: 8
    .kernarg_segment_size: 96
    .language:       OpenCL C
    .language_version:
      - 2
      - 0
    .max_flat_workgroup_size: 128
    .name:           _ZN9rocsparseL18bsrxmvn_4x4_kernelILj128ELj32Efli18rocsparse_bfloat16S1_fEEvT3_20rocsparse_direction_NS_24const_host_device_scalarIT1_EES2_PKS2_PKT2_SB_S8_PKT4_PKT5_S6_PT6_21rocsparse_index_base_b
    .private_segment_fixed_size: 0
    .sgpr_count:     20
    .sgpr_spill_count: 0
    .symbol:         _ZN9rocsparseL18bsrxmvn_4x4_kernelILj128ELj32Efli18rocsparse_bfloat16S1_fEEvT3_20rocsparse_direction_NS_24const_host_device_scalarIT1_EES2_PKS2_PKT2_SB_S8_PKT4_PKT5_S6_PT6_21rocsparse_index_base_b.kd
    .uniform_work_group_size: 1
    .uses_dynamic_stack: false
    .vgpr_count:     93
    .vgpr_spill_count: 0
    .wavefront_size: 32
    .workgroup_processor_mode: 1
  - .args:
      - .offset:         0
        .size:           4
        .value_kind:     by_value
      - .offset:         4
        .size:           4
        .value_kind:     by_value
      - .offset:         8
        .size:           8
        .value_kind:     by_value
      - .offset:         16
        .size:           4
        .value_kind:     by_value
      - .actual_access:  read_only
        .address_space:  global
        .offset:         24
        .size:           8
        .value_kind:     global_buffer
      - .actual_access:  read_only
        .address_space:  global
        .offset:         32
        .size:           8
        .value_kind:     global_buffer
      - .actual_access:  read_only
        .address_space:  global
        .offset:         40
        .size:           8
        .value_kind:     global_buffer
      - .actual_access:  read_only
        .address_space:  global
        .offset:         48
        .size:           8
        .value_kind:     global_buffer
      - .actual_access:  read_only
        .address_space:  global
        .offset:         56
        .size:           8
        .value_kind:     global_buffer
      - .actual_access:  read_only
        .address_space:  global
        .offset:         64
        .size:           8
        .value_kind:     global_buffer
      - .offset:         72
        .size:           8
        .value_kind:     by_value
      - .address_space:  global
        .offset:         80
        .size:           8
        .value_kind:     global_buffer
      - .offset:         88
        .size:           4
        .value_kind:     by_value
      - .offset:         92
        .size:           1
        .value_kind:     by_value
    .group_segment_fixed_size: 0
    .kernarg_segment_align: 8
    .kernarg_segment_size: 96
    .language:       OpenCL C
    .language_version:
      - 2
      - 0
    .max_flat_workgroup_size: 128
    .name:           _ZN9rocsparseL18bsrxmvn_4x4_kernelILj128ELj64Efli18rocsparse_bfloat16S1_fEEvT3_20rocsparse_direction_NS_24const_host_device_scalarIT1_EES2_PKS2_PKT2_SB_S8_PKT4_PKT5_S6_PT6_21rocsparse_index_base_b
    .private_segment_fixed_size: 0
    .sgpr_count:     20
    .sgpr_spill_count: 0
    .symbol:         _ZN9rocsparseL18bsrxmvn_4x4_kernelILj128ELj64Efli18rocsparse_bfloat16S1_fEEvT3_20rocsparse_direction_NS_24const_host_device_scalarIT1_EES2_PKS2_PKT2_SB_S8_PKT4_PKT5_S6_PT6_21rocsparse_index_base_b.kd
    .uniform_work_group_size: 1
    .uses_dynamic_stack: false
    .vgpr_count:     93
    .vgpr_spill_count: 0
    .wavefront_size: 32
    .workgroup_processor_mode: 1
  - .args:
      - .offset:         0
        .size:           8
        .value_kind:     by_value
      - .offset:         8
        .size:           4
        .value_kind:     by_value
      - .offset:         16
        .size:           8
        .value_kind:     by_value
      - .offset:         24
        .size:           8
        .value_kind:     by_value
      - .actual_access:  read_only
        .address_space:  global
        .offset:         32
        .size:           8
        .value_kind:     global_buffer
      - .actual_access:  read_only
        .address_space:  global
        .offset:         40
        .size:           8
        .value_kind:     global_buffer
      - .actual_access:  read_only
        .address_space:  global
        .offset:         48
        .size:           8
        .value_kind:     global_buffer
      - .actual_access:  read_only
        .address_space:  global
        .offset:         56
        .size:           8
        .value_kind:     global_buffer
      - .actual_access:  read_only
        .address_space:  global
        .offset:         64
        .size:           8
        .value_kind:     global_buffer
      - .actual_access:  read_only
        .address_space:  global
        .offset:         72
        .size:           8
        .value_kind:     global_buffer
      - .offset:         80
        .size:           8
        .value_kind:     by_value
      - .address_space:  global
        .offset:         88
        .size:           8
        .value_kind:     global_buffer
      - .offset:         96
        .size:           4
        .value_kind:     by_value
      - .offset:         100
        .size:           1
        .value_kind:     by_value
    .group_segment_fixed_size: 0
    .kernarg_segment_align: 8
    .kernarg_segment_size: 104
    .language:       OpenCL C
    .language_version:
      - 2
      - 0
    .max_flat_workgroup_size: 128
    .name:           _ZN9rocsparseL18bsrxmvn_4x4_kernelILj128ELj4Efll18rocsparse_bfloat16S1_fEEvT3_20rocsparse_direction_NS_24const_host_device_scalarIT1_EES2_PKS2_PKT2_SB_S8_PKT4_PKT5_S6_PT6_21rocsparse_index_base_b
    .private_segment_fixed_size: 0
    .sgpr_count:     20
    .sgpr_spill_count: 0
    .symbol:         _ZN9rocsparseL18bsrxmvn_4x4_kernelILj128ELj4Efll18rocsparse_bfloat16S1_fEEvT3_20rocsparse_direction_NS_24const_host_device_scalarIT1_EES2_PKS2_PKT2_SB_S8_PKT4_PKT5_S6_PT6_21rocsparse_index_base_b.kd
    .uniform_work_group_size: 1
    .uses_dynamic_stack: false
    .vgpr_count:     96
    .vgpr_spill_count: 0
    .wavefront_size: 32
    .workgroup_processor_mode: 1
  - .args:
      - .offset:         0
        .size:           8
        .value_kind:     by_value
      - .offset:         8
        .size:           4
        .value_kind:     by_value
      - .offset:         16
        .size:           8
        .value_kind:     by_value
      - .offset:         24
        .size:           8
        .value_kind:     by_value
      - .actual_access:  read_only
        .address_space:  global
        .offset:         32
        .size:           8
        .value_kind:     global_buffer
      - .actual_access:  read_only
        .address_space:  global
        .offset:         40
        .size:           8
        .value_kind:     global_buffer
      - .actual_access:  read_only
        .address_space:  global
        .offset:         48
        .size:           8
        .value_kind:     global_buffer
      - .actual_access:  read_only
        .address_space:  global
        .offset:         56
        .size:           8
        .value_kind:     global_buffer
      - .actual_access:  read_only
        .address_space:  global
        .offset:         64
        .size:           8
        .value_kind:     global_buffer
      - .actual_access:  read_only
        .address_space:  global
        .offset:         72
        .size:           8
        .value_kind:     global_buffer
      - .offset:         80
        .size:           8
        .value_kind:     by_value
      - .address_space:  global
        .offset:         88
        .size:           8
        .value_kind:     global_buffer
      - .offset:         96
        .size:           4
        .value_kind:     by_value
      - .offset:         100
        .size:           1
        .value_kind:     by_value
    .group_segment_fixed_size: 0
    .kernarg_segment_align: 8
    .kernarg_segment_size: 104
    .language:       OpenCL C
    .language_version:
      - 2
      - 0
    .max_flat_workgroup_size: 128
    .name:           _ZN9rocsparseL18bsrxmvn_4x4_kernelILj128ELj8Efll18rocsparse_bfloat16S1_fEEvT3_20rocsparse_direction_NS_24const_host_device_scalarIT1_EES2_PKS2_PKT2_SB_S8_PKT4_PKT5_S6_PT6_21rocsparse_index_base_b
    .private_segment_fixed_size: 0
    .sgpr_count:     20
    .sgpr_spill_count: 0
    .symbol:         _ZN9rocsparseL18bsrxmvn_4x4_kernelILj128ELj8Efll18rocsparse_bfloat16S1_fEEvT3_20rocsparse_direction_NS_24const_host_device_scalarIT1_EES2_PKS2_PKT2_SB_S8_PKT4_PKT5_S6_PT6_21rocsparse_index_base_b.kd
    .uniform_work_group_size: 1
    .uses_dynamic_stack: false
    .vgpr_count:     96
    .vgpr_spill_count: 0
    .wavefront_size: 32
    .workgroup_processor_mode: 1
  - .args:
      - .offset:         0
        .size:           8
        .value_kind:     by_value
      - .offset:         8
        .size:           4
        .value_kind:     by_value
      - .offset:         16
        .size:           8
        .value_kind:     by_value
      - .offset:         24
        .size:           8
        .value_kind:     by_value
      - .actual_access:  read_only
        .address_space:  global
        .offset:         32
        .size:           8
        .value_kind:     global_buffer
      - .actual_access:  read_only
        .address_space:  global
        .offset:         40
        .size:           8
        .value_kind:     global_buffer
      - .actual_access:  read_only
        .address_space:  global
        .offset:         48
        .size:           8
        .value_kind:     global_buffer
      - .actual_access:  read_only
        .address_space:  global
        .offset:         56
        .size:           8
        .value_kind:     global_buffer
      - .actual_access:  read_only
        .address_space:  global
        .offset:         64
        .size:           8
        .value_kind:     global_buffer
      - .actual_access:  read_only
        .address_space:  global
        .offset:         72
        .size:           8
        .value_kind:     global_buffer
      - .offset:         80
        .size:           8
        .value_kind:     by_value
      - .address_space:  global
        .offset:         88
        .size:           8
        .value_kind:     global_buffer
      - .offset:         96
        .size:           4
        .value_kind:     by_value
      - .offset:         100
        .size:           1
        .value_kind:     by_value
    .group_segment_fixed_size: 0
    .kernarg_segment_align: 8
    .kernarg_segment_size: 104
    .language:       OpenCL C
    .language_version:
      - 2
      - 0
    .max_flat_workgroup_size: 128
    .name:           _ZN9rocsparseL18bsrxmvn_4x4_kernelILj128ELj16Efll18rocsparse_bfloat16S1_fEEvT3_20rocsparse_direction_NS_24const_host_device_scalarIT1_EES2_PKS2_PKT2_SB_S8_PKT4_PKT5_S6_PT6_21rocsparse_index_base_b
    .private_segment_fixed_size: 0
    .sgpr_count:     20
    .sgpr_spill_count: 0
    .symbol:         _ZN9rocsparseL18bsrxmvn_4x4_kernelILj128ELj16Efll18rocsparse_bfloat16S1_fEEvT3_20rocsparse_direction_NS_24const_host_device_scalarIT1_EES2_PKS2_PKT2_SB_S8_PKT4_PKT5_S6_PT6_21rocsparse_index_base_b.kd
    .uniform_work_group_size: 1
    .uses_dynamic_stack: false
    .vgpr_count:     96
    .vgpr_spill_count: 0
    .wavefront_size: 32
    .workgroup_processor_mode: 1
  - .args:
      - .offset:         0
        .size:           8
        .value_kind:     by_value
      - .offset:         8
        .size:           4
        .value_kind:     by_value
      - .offset:         16
        .size:           8
        .value_kind:     by_value
      - .offset:         24
        .size:           8
        .value_kind:     by_value
      - .actual_access:  read_only
        .address_space:  global
        .offset:         32
        .size:           8
        .value_kind:     global_buffer
      - .actual_access:  read_only
        .address_space:  global
        .offset:         40
        .size:           8
        .value_kind:     global_buffer
      - .actual_access:  read_only
        .address_space:  global
        .offset:         48
        .size:           8
        .value_kind:     global_buffer
      - .actual_access:  read_only
        .address_space:  global
        .offset:         56
        .size:           8
        .value_kind:     global_buffer
      - .actual_access:  read_only
        .address_space:  global
        .offset:         64
        .size:           8
        .value_kind:     global_buffer
      - .actual_access:  read_only
        .address_space:  global
        .offset:         72
        .size:           8
        .value_kind:     global_buffer
      - .offset:         80
        .size:           8
        .value_kind:     by_value
      - .address_space:  global
        .offset:         88
        .size:           8
        .value_kind:     global_buffer
      - .offset:         96
        .size:           4
        .value_kind:     by_value
      - .offset:         100
        .size:           1
        .value_kind:     by_value
    .group_segment_fixed_size: 0
    .kernarg_segment_align: 8
    .kernarg_segment_size: 104
    .language:       OpenCL C
    .language_version:
      - 2
      - 0
    .max_flat_workgroup_size: 128
    .name:           _ZN9rocsparseL18bsrxmvn_4x4_kernelILj128ELj32Efll18rocsparse_bfloat16S1_fEEvT3_20rocsparse_direction_NS_24const_host_device_scalarIT1_EES2_PKS2_PKT2_SB_S8_PKT4_PKT5_S6_PT6_21rocsparse_index_base_b
    .private_segment_fixed_size: 0
    .sgpr_count:     20
    .sgpr_spill_count: 0
    .symbol:         _ZN9rocsparseL18bsrxmvn_4x4_kernelILj128ELj32Efll18rocsparse_bfloat16S1_fEEvT3_20rocsparse_direction_NS_24const_host_device_scalarIT1_EES2_PKS2_PKT2_SB_S8_PKT4_PKT5_S6_PT6_21rocsparse_index_base_b.kd
    .uniform_work_group_size: 1
    .uses_dynamic_stack: false
    .vgpr_count:     96
    .vgpr_spill_count: 0
    .wavefront_size: 32
    .workgroup_processor_mode: 1
  - .args:
      - .offset:         0
        .size:           8
        .value_kind:     by_value
      - .offset:         8
        .size:           4
        .value_kind:     by_value
      - .offset:         16
        .size:           8
        .value_kind:     by_value
      - .offset:         24
        .size:           8
        .value_kind:     by_value
      - .actual_access:  read_only
        .address_space:  global
        .offset:         32
        .size:           8
        .value_kind:     global_buffer
      - .actual_access:  read_only
        .address_space:  global
        .offset:         40
        .size:           8
        .value_kind:     global_buffer
      - .actual_access:  read_only
        .address_space:  global
        .offset:         48
        .size:           8
        .value_kind:     global_buffer
      - .actual_access:  read_only
        .address_space:  global
        .offset:         56
        .size:           8
        .value_kind:     global_buffer
      - .actual_access:  read_only
        .address_space:  global
        .offset:         64
        .size:           8
        .value_kind:     global_buffer
      - .actual_access:  read_only
        .address_space:  global
        .offset:         72
        .size:           8
        .value_kind:     global_buffer
      - .offset:         80
        .size:           8
        .value_kind:     by_value
      - .address_space:  global
        .offset:         88
        .size:           8
        .value_kind:     global_buffer
      - .offset:         96
        .size:           4
        .value_kind:     by_value
      - .offset:         100
        .size:           1
        .value_kind:     by_value
    .group_segment_fixed_size: 0
    .kernarg_segment_align: 8
    .kernarg_segment_size: 104
    .language:       OpenCL C
    .language_version:
      - 2
      - 0
    .max_flat_workgroup_size: 128
    .name:           _ZN9rocsparseL18bsrxmvn_4x4_kernelILj128ELj64Efll18rocsparse_bfloat16S1_fEEvT3_20rocsparse_direction_NS_24const_host_device_scalarIT1_EES2_PKS2_PKT2_SB_S8_PKT4_PKT5_S6_PT6_21rocsparse_index_base_b
    .private_segment_fixed_size: 0
    .sgpr_count:     20
    .sgpr_spill_count: 0
    .symbol:         _ZN9rocsparseL18bsrxmvn_4x4_kernelILj128ELj64Efll18rocsparse_bfloat16S1_fEEvT3_20rocsparse_direction_NS_24const_host_device_scalarIT1_EES2_PKS2_PKT2_SB_S8_PKT4_PKT5_S6_PT6_21rocsparse_index_base_b.kd
    .uniform_work_group_size: 1
    .uses_dynamic_stack: false
    .vgpr_count:     96
    .vgpr_spill_count: 0
    .wavefront_size: 32
    .workgroup_processor_mode: 1
  - .args:
      - .offset:         0
        .size:           4
        .value_kind:     by_value
      - .offset:         4
        .size:           4
        .value_kind:     by_value
      - .offset:         8
        .size:           8
        .value_kind:     by_value
      - .offset:         16
        .size:           4
        .value_kind:     by_value
      - .actual_access:  read_only
        .address_space:  global
        .offset:         24
        .size:           8
        .value_kind:     global_buffer
      - .actual_access:  read_only
        .address_space:  global
        .offset:         32
        .size:           8
        .value_kind:     global_buffer
      - .actual_access:  read_only
        .address_space:  global
        .offset:         40
        .size:           8
        .value_kind:     global_buffer
      - .actual_access:  read_only
        .address_space:  global
        .offset:         48
        .size:           8
        .value_kind:     global_buffer
      - .actual_access:  read_only
        .address_space:  global
        .offset:         56
        .size:           8
        .value_kind:     global_buffer
      - .actual_access:  read_only
        .address_space:  global
        .offset:         64
        .size:           8
        .value_kind:     global_buffer
      - .offset:         72
        .size:           8
        .value_kind:     by_value
      - .address_space:  global
        .offset:         80
        .size:           8
        .value_kind:     global_buffer
      - .offset:         88
        .size:           4
        .value_kind:     by_value
      - .offset:         92
        .size:           1
        .value_kind:     by_value
    .group_segment_fixed_size: 0
    .kernarg_segment_align: 8
    .kernarg_segment_size: 96
    .language:       OpenCL C
    .language_version:
      - 2
      - 0
    .max_flat_workgroup_size: 128
    .name:           _ZN9rocsparseL18bsrxmvn_4x4_kernelILj128ELj4E21rocsparse_complex_numIfEiifS2_S2_EEvT3_20rocsparse_direction_NS_24const_host_device_scalarIT1_EES3_PKS3_PKT2_SC_S9_PKT4_PKT5_S7_PT6_21rocsparse_index_base_b
    .private_segment_fixed_size: 0
    .sgpr_count:     16
    .sgpr_spill_count: 0
    .symbol:         _ZN9rocsparseL18bsrxmvn_4x4_kernelILj128ELj4E21rocsparse_complex_numIfEiifS2_S2_EEvT3_20rocsparse_direction_NS_24const_host_device_scalarIT1_EES3_PKS3_PKT2_SC_S9_PKT4_PKT5_S7_PT6_21rocsparse_index_base_b.kd
    .uniform_work_group_size: 1
    .uses_dynamic_stack: false
    .vgpr_count:     105
    .vgpr_spill_count: 0
    .wavefront_size: 32
    .workgroup_processor_mode: 1
  - .args:
      - .offset:         0
        .size:           4
        .value_kind:     by_value
      - .offset:         4
        .size:           4
        .value_kind:     by_value
      - .offset:         8
        .size:           8
        .value_kind:     by_value
      - .offset:         16
        .size:           4
        .value_kind:     by_value
      - .actual_access:  read_only
        .address_space:  global
        .offset:         24
        .size:           8
        .value_kind:     global_buffer
      - .actual_access:  read_only
        .address_space:  global
        .offset:         32
        .size:           8
        .value_kind:     global_buffer
      - .actual_access:  read_only
        .address_space:  global
        .offset:         40
        .size:           8
        .value_kind:     global_buffer
      - .actual_access:  read_only
        .address_space:  global
        .offset:         48
        .size:           8
        .value_kind:     global_buffer
      - .actual_access:  read_only
        .address_space:  global
        .offset:         56
        .size:           8
        .value_kind:     global_buffer
      - .actual_access:  read_only
        .address_space:  global
        .offset:         64
        .size:           8
        .value_kind:     global_buffer
      - .offset:         72
        .size:           8
        .value_kind:     by_value
      - .address_space:  global
        .offset:         80
        .size:           8
        .value_kind:     global_buffer
      - .offset:         88
        .size:           4
        .value_kind:     by_value
      - .offset:         92
        .size:           1
        .value_kind:     by_value
    .group_segment_fixed_size: 0
    .kernarg_segment_align: 8
    .kernarg_segment_size: 96
    .language:       OpenCL C
    .language_version:
      - 2
      - 0
    .max_flat_workgroup_size: 128
    .name:           _ZN9rocsparseL18bsrxmvn_4x4_kernelILj128ELj8E21rocsparse_complex_numIfEiifS2_S2_EEvT3_20rocsparse_direction_NS_24const_host_device_scalarIT1_EES3_PKS3_PKT2_SC_S9_PKT4_PKT5_S7_PT6_21rocsparse_index_base_b
    .private_segment_fixed_size: 0
    .sgpr_count:     16
    .sgpr_spill_count: 0
    .symbol:         _ZN9rocsparseL18bsrxmvn_4x4_kernelILj128ELj8E21rocsparse_complex_numIfEiifS2_S2_EEvT3_20rocsparse_direction_NS_24const_host_device_scalarIT1_EES3_PKS3_PKT2_SC_S9_PKT4_PKT5_S7_PT6_21rocsparse_index_base_b.kd
    .uniform_work_group_size: 1
    .uses_dynamic_stack: false
    .vgpr_count:     105
    .vgpr_spill_count: 0
    .wavefront_size: 32
    .workgroup_processor_mode: 1
  - .args:
      - .offset:         0
        .size:           4
        .value_kind:     by_value
      - .offset:         4
        .size:           4
        .value_kind:     by_value
      - .offset:         8
        .size:           8
        .value_kind:     by_value
      - .offset:         16
        .size:           4
        .value_kind:     by_value
      - .actual_access:  read_only
        .address_space:  global
        .offset:         24
        .size:           8
        .value_kind:     global_buffer
      - .actual_access:  read_only
        .address_space:  global
        .offset:         32
        .size:           8
        .value_kind:     global_buffer
      - .actual_access:  read_only
        .address_space:  global
        .offset:         40
        .size:           8
        .value_kind:     global_buffer
      - .actual_access:  read_only
        .address_space:  global
        .offset:         48
        .size:           8
        .value_kind:     global_buffer
      - .actual_access:  read_only
        .address_space:  global
        .offset:         56
        .size:           8
        .value_kind:     global_buffer
      - .actual_access:  read_only
        .address_space:  global
        .offset:         64
        .size:           8
        .value_kind:     global_buffer
      - .offset:         72
        .size:           8
        .value_kind:     by_value
      - .address_space:  global
        .offset:         80
        .size:           8
        .value_kind:     global_buffer
      - .offset:         88
        .size:           4
        .value_kind:     by_value
      - .offset:         92
        .size:           1
        .value_kind:     by_value
    .group_segment_fixed_size: 0
    .kernarg_segment_align: 8
    .kernarg_segment_size: 96
    .language:       OpenCL C
    .language_version:
      - 2
      - 0
    .max_flat_workgroup_size: 128
    .name:           _ZN9rocsparseL18bsrxmvn_4x4_kernelILj128ELj16E21rocsparse_complex_numIfEiifS2_S2_EEvT3_20rocsparse_direction_NS_24const_host_device_scalarIT1_EES3_PKS3_PKT2_SC_S9_PKT4_PKT5_S7_PT6_21rocsparse_index_base_b
    .private_segment_fixed_size: 0
    .sgpr_count:     16
    .sgpr_spill_count: 0
    .symbol:         _ZN9rocsparseL18bsrxmvn_4x4_kernelILj128ELj16E21rocsparse_complex_numIfEiifS2_S2_EEvT3_20rocsparse_direction_NS_24const_host_device_scalarIT1_EES3_PKS3_PKT2_SC_S9_PKT4_PKT5_S7_PT6_21rocsparse_index_base_b.kd
    .uniform_work_group_size: 1
    .uses_dynamic_stack: false
    .vgpr_count:     105
    .vgpr_spill_count: 0
    .wavefront_size: 32
    .workgroup_processor_mode: 1
  - .args:
      - .offset:         0
        .size:           4
        .value_kind:     by_value
      - .offset:         4
        .size:           4
        .value_kind:     by_value
      - .offset:         8
        .size:           8
        .value_kind:     by_value
      - .offset:         16
        .size:           4
        .value_kind:     by_value
      - .actual_access:  read_only
        .address_space:  global
        .offset:         24
        .size:           8
        .value_kind:     global_buffer
      - .actual_access:  read_only
        .address_space:  global
        .offset:         32
        .size:           8
        .value_kind:     global_buffer
      - .actual_access:  read_only
        .address_space:  global
        .offset:         40
        .size:           8
        .value_kind:     global_buffer
      - .actual_access:  read_only
        .address_space:  global
        .offset:         48
        .size:           8
        .value_kind:     global_buffer
      - .actual_access:  read_only
        .address_space:  global
        .offset:         56
        .size:           8
        .value_kind:     global_buffer
      - .actual_access:  read_only
        .address_space:  global
        .offset:         64
        .size:           8
        .value_kind:     global_buffer
      - .offset:         72
        .size:           8
        .value_kind:     by_value
      - .address_space:  global
        .offset:         80
        .size:           8
        .value_kind:     global_buffer
      - .offset:         88
        .size:           4
        .value_kind:     by_value
      - .offset:         92
        .size:           1
        .value_kind:     by_value
    .group_segment_fixed_size: 0
    .kernarg_segment_align: 8
    .kernarg_segment_size: 96
    .language:       OpenCL C
    .language_version:
      - 2
      - 0
    .max_flat_workgroup_size: 128
    .name:           _ZN9rocsparseL18bsrxmvn_4x4_kernelILj128ELj32E21rocsparse_complex_numIfEiifS2_S2_EEvT3_20rocsparse_direction_NS_24const_host_device_scalarIT1_EES3_PKS3_PKT2_SC_S9_PKT4_PKT5_S7_PT6_21rocsparse_index_base_b
    .private_segment_fixed_size: 0
    .sgpr_count:     16
    .sgpr_spill_count: 0
    .symbol:         _ZN9rocsparseL18bsrxmvn_4x4_kernelILj128ELj32E21rocsparse_complex_numIfEiifS2_S2_EEvT3_20rocsparse_direction_NS_24const_host_device_scalarIT1_EES3_PKS3_PKT2_SC_S9_PKT4_PKT5_S7_PT6_21rocsparse_index_base_b.kd
    .uniform_work_group_size: 1
    .uses_dynamic_stack: false
    .vgpr_count:     105
    .vgpr_spill_count: 0
    .wavefront_size: 32
    .workgroup_processor_mode: 1
  - .args:
      - .offset:         0
        .size:           4
        .value_kind:     by_value
      - .offset:         4
        .size:           4
        .value_kind:     by_value
      - .offset:         8
        .size:           8
        .value_kind:     by_value
      - .offset:         16
        .size:           4
        .value_kind:     by_value
      - .actual_access:  read_only
        .address_space:  global
        .offset:         24
        .size:           8
        .value_kind:     global_buffer
      - .actual_access:  read_only
        .address_space:  global
        .offset:         32
        .size:           8
        .value_kind:     global_buffer
      - .actual_access:  read_only
        .address_space:  global
        .offset:         40
        .size:           8
        .value_kind:     global_buffer
      - .actual_access:  read_only
        .address_space:  global
        .offset:         48
        .size:           8
        .value_kind:     global_buffer
      - .actual_access:  read_only
        .address_space:  global
        .offset:         56
        .size:           8
        .value_kind:     global_buffer
      - .actual_access:  read_only
        .address_space:  global
        .offset:         64
        .size:           8
        .value_kind:     global_buffer
      - .offset:         72
        .size:           8
        .value_kind:     by_value
      - .address_space:  global
        .offset:         80
        .size:           8
        .value_kind:     global_buffer
      - .offset:         88
        .size:           4
        .value_kind:     by_value
      - .offset:         92
        .size:           1
        .value_kind:     by_value
    .group_segment_fixed_size: 0
    .kernarg_segment_align: 8
    .kernarg_segment_size: 96
    .language:       OpenCL C
    .language_version:
      - 2
      - 0
    .max_flat_workgroup_size: 128
    .name:           _ZN9rocsparseL18bsrxmvn_4x4_kernelILj128ELj64E21rocsparse_complex_numIfEiifS2_S2_EEvT3_20rocsparse_direction_NS_24const_host_device_scalarIT1_EES3_PKS3_PKT2_SC_S9_PKT4_PKT5_S7_PT6_21rocsparse_index_base_b
    .private_segment_fixed_size: 0
    .sgpr_count:     16
    .sgpr_spill_count: 0
    .symbol:         _ZN9rocsparseL18bsrxmvn_4x4_kernelILj128ELj64E21rocsparse_complex_numIfEiifS2_S2_EEvT3_20rocsparse_direction_NS_24const_host_device_scalarIT1_EES3_PKS3_PKT2_SC_S9_PKT4_PKT5_S7_PT6_21rocsparse_index_base_b.kd
    .uniform_work_group_size: 1
    .uses_dynamic_stack: false
    .vgpr_count:     105
    .vgpr_spill_count: 0
    .wavefront_size: 32
    .workgroup_processor_mode: 1
  - .args:
      - .offset:         0
        .size:           4
        .value_kind:     by_value
      - .offset:         4
        .size:           4
        .value_kind:     by_value
      - .offset:         8
        .size:           8
        .value_kind:     by_value
      - .offset:         16
        .size:           4
        .value_kind:     by_value
      - .actual_access:  read_only
        .address_space:  global
        .offset:         24
        .size:           8
        .value_kind:     global_buffer
      - .actual_access:  read_only
        .address_space:  global
        .offset:         32
        .size:           8
        .value_kind:     global_buffer
      - .actual_access:  read_only
        .address_space:  global
        .offset:         40
        .size:           8
        .value_kind:     global_buffer
      - .actual_access:  read_only
        .address_space:  global
        .offset:         48
        .size:           8
        .value_kind:     global_buffer
      - .actual_access:  read_only
        .address_space:  global
        .offset:         56
        .size:           8
        .value_kind:     global_buffer
      - .actual_access:  read_only
        .address_space:  global
        .offset:         64
        .size:           8
        .value_kind:     global_buffer
      - .offset:         72
        .size:           8
        .value_kind:     by_value
      - .address_space:  global
        .offset:         80
        .size:           8
        .value_kind:     global_buffer
      - .offset:         88
        .size:           4
        .value_kind:     by_value
      - .offset:         92
        .size:           1
        .value_kind:     by_value
    .group_segment_fixed_size: 0
    .kernarg_segment_align: 8
    .kernarg_segment_size: 96
    .language:       OpenCL C
    .language_version:
      - 2
      - 0
    .max_flat_workgroup_size: 128
    .name:           _ZN9rocsparseL18bsrxmvn_4x4_kernelILj128ELj4E21rocsparse_complex_numIfElifS2_S2_EEvT3_20rocsparse_direction_NS_24const_host_device_scalarIT1_EES3_PKS3_PKT2_SC_S9_PKT4_PKT5_S7_PT6_21rocsparse_index_base_b
    .private_segment_fixed_size: 0
    .sgpr_count:     16
    .sgpr_spill_count: 0
    .symbol:         _ZN9rocsparseL18bsrxmvn_4x4_kernelILj128ELj4E21rocsparse_complex_numIfElifS2_S2_EEvT3_20rocsparse_direction_NS_24const_host_device_scalarIT1_EES3_PKS3_PKT2_SC_S9_PKT4_PKT5_S7_PT6_21rocsparse_index_base_b.kd
    .uniform_work_group_size: 1
    .uses_dynamic_stack: false
    .vgpr_count:     125
    .vgpr_spill_count: 0
    .wavefront_size: 32
    .workgroup_processor_mode: 1
  - .args:
      - .offset:         0
        .size:           4
        .value_kind:     by_value
      - .offset:         4
        .size:           4
        .value_kind:     by_value
      - .offset:         8
        .size:           8
        .value_kind:     by_value
      - .offset:         16
        .size:           4
        .value_kind:     by_value
      - .actual_access:  read_only
        .address_space:  global
        .offset:         24
        .size:           8
        .value_kind:     global_buffer
      - .actual_access:  read_only
        .address_space:  global
        .offset:         32
        .size:           8
        .value_kind:     global_buffer
      - .actual_access:  read_only
        .address_space:  global
        .offset:         40
        .size:           8
        .value_kind:     global_buffer
      - .actual_access:  read_only
        .address_space:  global
        .offset:         48
        .size:           8
        .value_kind:     global_buffer
      - .actual_access:  read_only
        .address_space:  global
        .offset:         56
        .size:           8
        .value_kind:     global_buffer
      - .actual_access:  read_only
        .address_space:  global
        .offset:         64
        .size:           8
        .value_kind:     global_buffer
      - .offset:         72
        .size:           8
        .value_kind:     by_value
      - .address_space:  global
        .offset:         80
        .size:           8
        .value_kind:     global_buffer
      - .offset:         88
        .size:           4
        .value_kind:     by_value
      - .offset:         92
        .size:           1
        .value_kind:     by_value
    .group_segment_fixed_size: 0
    .kernarg_segment_align: 8
    .kernarg_segment_size: 96
    .language:       OpenCL C
    .language_version:
      - 2
      - 0
    .max_flat_workgroup_size: 128
    .name:           _ZN9rocsparseL18bsrxmvn_4x4_kernelILj128ELj8E21rocsparse_complex_numIfElifS2_S2_EEvT3_20rocsparse_direction_NS_24const_host_device_scalarIT1_EES3_PKS3_PKT2_SC_S9_PKT4_PKT5_S7_PT6_21rocsparse_index_base_b
    .private_segment_fixed_size: 0
    .sgpr_count:     16
    .sgpr_spill_count: 0
    .symbol:         _ZN9rocsparseL18bsrxmvn_4x4_kernelILj128ELj8E21rocsparse_complex_numIfElifS2_S2_EEvT3_20rocsparse_direction_NS_24const_host_device_scalarIT1_EES3_PKS3_PKT2_SC_S9_PKT4_PKT5_S7_PT6_21rocsparse_index_base_b.kd
    .uniform_work_group_size: 1
    .uses_dynamic_stack: false
    .vgpr_count:     125
    .vgpr_spill_count: 0
    .wavefront_size: 32
    .workgroup_processor_mode: 1
  - .args:
      - .offset:         0
        .size:           4
        .value_kind:     by_value
      - .offset:         4
        .size:           4
        .value_kind:     by_value
      - .offset:         8
        .size:           8
        .value_kind:     by_value
      - .offset:         16
        .size:           4
        .value_kind:     by_value
      - .actual_access:  read_only
        .address_space:  global
        .offset:         24
        .size:           8
        .value_kind:     global_buffer
      - .actual_access:  read_only
        .address_space:  global
        .offset:         32
        .size:           8
        .value_kind:     global_buffer
      - .actual_access:  read_only
        .address_space:  global
        .offset:         40
        .size:           8
        .value_kind:     global_buffer
      - .actual_access:  read_only
        .address_space:  global
        .offset:         48
        .size:           8
        .value_kind:     global_buffer
      - .actual_access:  read_only
        .address_space:  global
        .offset:         56
        .size:           8
        .value_kind:     global_buffer
      - .actual_access:  read_only
        .address_space:  global
        .offset:         64
        .size:           8
        .value_kind:     global_buffer
      - .offset:         72
        .size:           8
        .value_kind:     by_value
      - .address_space:  global
        .offset:         80
        .size:           8
        .value_kind:     global_buffer
      - .offset:         88
        .size:           4
        .value_kind:     by_value
      - .offset:         92
        .size:           1
        .value_kind:     by_value
    .group_segment_fixed_size: 0
    .kernarg_segment_align: 8
    .kernarg_segment_size: 96
    .language:       OpenCL C
    .language_version:
      - 2
      - 0
    .max_flat_workgroup_size: 128
    .name:           _ZN9rocsparseL18bsrxmvn_4x4_kernelILj128ELj16E21rocsparse_complex_numIfElifS2_S2_EEvT3_20rocsparse_direction_NS_24const_host_device_scalarIT1_EES3_PKS3_PKT2_SC_S9_PKT4_PKT5_S7_PT6_21rocsparse_index_base_b
    .private_segment_fixed_size: 0
    .sgpr_count:     16
    .sgpr_spill_count: 0
    .symbol:         _ZN9rocsparseL18bsrxmvn_4x4_kernelILj128ELj16E21rocsparse_complex_numIfElifS2_S2_EEvT3_20rocsparse_direction_NS_24const_host_device_scalarIT1_EES3_PKS3_PKT2_SC_S9_PKT4_PKT5_S7_PT6_21rocsparse_index_base_b.kd
    .uniform_work_group_size: 1
    .uses_dynamic_stack: false
    .vgpr_count:     125
    .vgpr_spill_count: 0
    .wavefront_size: 32
    .workgroup_processor_mode: 1
  - .args:
      - .offset:         0
        .size:           4
        .value_kind:     by_value
      - .offset:         4
        .size:           4
        .value_kind:     by_value
      - .offset:         8
        .size:           8
        .value_kind:     by_value
      - .offset:         16
        .size:           4
        .value_kind:     by_value
      - .actual_access:  read_only
        .address_space:  global
        .offset:         24
        .size:           8
        .value_kind:     global_buffer
      - .actual_access:  read_only
        .address_space:  global
        .offset:         32
        .size:           8
        .value_kind:     global_buffer
      - .actual_access:  read_only
        .address_space:  global
        .offset:         40
        .size:           8
        .value_kind:     global_buffer
      - .actual_access:  read_only
        .address_space:  global
        .offset:         48
        .size:           8
        .value_kind:     global_buffer
      - .actual_access:  read_only
        .address_space:  global
        .offset:         56
        .size:           8
        .value_kind:     global_buffer
      - .actual_access:  read_only
        .address_space:  global
        .offset:         64
        .size:           8
        .value_kind:     global_buffer
      - .offset:         72
        .size:           8
        .value_kind:     by_value
      - .address_space:  global
        .offset:         80
        .size:           8
        .value_kind:     global_buffer
      - .offset:         88
        .size:           4
        .value_kind:     by_value
      - .offset:         92
        .size:           1
        .value_kind:     by_value
    .group_segment_fixed_size: 0
    .kernarg_segment_align: 8
    .kernarg_segment_size: 96
    .language:       OpenCL C
    .language_version:
      - 2
      - 0
    .max_flat_workgroup_size: 128
    .name:           _ZN9rocsparseL18bsrxmvn_4x4_kernelILj128ELj32E21rocsparse_complex_numIfElifS2_S2_EEvT3_20rocsparse_direction_NS_24const_host_device_scalarIT1_EES3_PKS3_PKT2_SC_S9_PKT4_PKT5_S7_PT6_21rocsparse_index_base_b
    .private_segment_fixed_size: 0
    .sgpr_count:     16
    .sgpr_spill_count: 0
    .symbol:         _ZN9rocsparseL18bsrxmvn_4x4_kernelILj128ELj32E21rocsparse_complex_numIfElifS2_S2_EEvT3_20rocsparse_direction_NS_24const_host_device_scalarIT1_EES3_PKS3_PKT2_SC_S9_PKT4_PKT5_S7_PT6_21rocsparse_index_base_b.kd
    .uniform_work_group_size: 1
    .uses_dynamic_stack: false
    .vgpr_count:     125
    .vgpr_spill_count: 0
    .wavefront_size: 32
    .workgroup_processor_mode: 1
  - .args:
      - .offset:         0
        .size:           4
        .value_kind:     by_value
      - .offset:         4
        .size:           4
        .value_kind:     by_value
      - .offset:         8
        .size:           8
        .value_kind:     by_value
      - .offset:         16
        .size:           4
        .value_kind:     by_value
      - .actual_access:  read_only
        .address_space:  global
        .offset:         24
        .size:           8
        .value_kind:     global_buffer
      - .actual_access:  read_only
        .address_space:  global
        .offset:         32
        .size:           8
        .value_kind:     global_buffer
      - .actual_access:  read_only
        .address_space:  global
        .offset:         40
        .size:           8
        .value_kind:     global_buffer
      - .actual_access:  read_only
        .address_space:  global
        .offset:         48
        .size:           8
        .value_kind:     global_buffer
      - .actual_access:  read_only
        .address_space:  global
        .offset:         56
        .size:           8
        .value_kind:     global_buffer
      - .actual_access:  read_only
        .address_space:  global
        .offset:         64
        .size:           8
        .value_kind:     global_buffer
      - .offset:         72
        .size:           8
        .value_kind:     by_value
      - .address_space:  global
        .offset:         80
        .size:           8
        .value_kind:     global_buffer
      - .offset:         88
        .size:           4
        .value_kind:     by_value
      - .offset:         92
        .size:           1
        .value_kind:     by_value
    .group_segment_fixed_size: 0
    .kernarg_segment_align: 8
    .kernarg_segment_size: 96
    .language:       OpenCL C
    .language_version:
      - 2
      - 0
    .max_flat_workgroup_size: 128
    .name:           _ZN9rocsparseL18bsrxmvn_4x4_kernelILj128ELj64E21rocsparse_complex_numIfElifS2_S2_EEvT3_20rocsparse_direction_NS_24const_host_device_scalarIT1_EES3_PKS3_PKT2_SC_S9_PKT4_PKT5_S7_PT6_21rocsparse_index_base_b
    .private_segment_fixed_size: 0
    .sgpr_count:     16
    .sgpr_spill_count: 0
    .symbol:         _ZN9rocsparseL18bsrxmvn_4x4_kernelILj128ELj64E21rocsparse_complex_numIfElifS2_S2_EEvT3_20rocsparse_direction_NS_24const_host_device_scalarIT1_EES3_PKS3_PKT2_SC_S9_PKT4_PKT5_S7_PT6_21rocsparse_index_base_b.kd
    .uniform_work_group_size: 1
    .uses_dynamic_stack: false
    .vgpr_count:     125
    .vgpr_spill_count: 0
    .wavefront_size: 32
    .workgroup_processor_mode: 1
  - .args:
      - .offset:         0
        .size:           8
        .value_kind:     by_value
      - .offset:         8
        .size:           4
        .value_kind:     by_value
      - .offset:         16
        .size:           8
        .value_kind:     by_value
      - .offset:         24
        .size:           8
        .value_kind:     by_value
      - .actual_access:  read_only
        .address_space:  global
        .offset:         32
        .size:           8
        .value_kind:     global_buffer
      - .actual_access:  read_only
        .address_space:  global
        .offset:         40
        .size:           8
        .value_kind:     global_buffer
      - .actual_access:  read_only
        .address_space:  global
        .offset:         48
        .size:           8
        .value_kind:     global_buffer
      - .actual_access:  read_only
        .address_space:  global
        .offset:         56
        .size:           8
        .value_kind:     global_buffer
      - .actual_access:  read_only
        .address_space:  global
        .offset:         64
        .size:           8
        .value_kind:     global_buffer
      - .actual_access:  read_only
        .address_space:  global
        .offset:         72
        .size:           8
        .value_kind:     global_buffer
      - .offset:         80
        .size:           8
        .value_kind:     by_value
      - .address_space:  global
        .offset:         88
        .size:           8
        .value_kind:     global_buffer
      - .offset:         96
        .size:           4
        .value_kind:     by_value
      - .offset:         100
        .size:           1
        .value_kind:     by_value
    .group_segment_fixed_size: 0
    .kernarg_segment_align: 8
    .kernarg_segment_size: 104
    .language:       OpenCL C
    .language_version:
      - 2
      - 0
    .max_flat_workgroup_size: 128
    .name:           _ZN9rocsparseL18bsrxmvn_4x4_kernelILj128ELj4E21rocsparse_complex_numIfEllfS2_S2_EEvT3_20rocsparse_direction_NS_24const_host_device_scalarIT1_EES3_PKS3_PKT2_SC_S9_PKT4_PKT5_S7_PT6_21rocsparse_index_base_b
    .private_segment_fixed_size: 0
    .sgpr_count:     14
    .sgpr_spill_count: 0
    .symbol:         _ZN9rocsparseL18bsrxmvn_4x4_kernelILj128ELj4E21rocsparse_complex_numIfEllfS2_S2_EEvT3_20rocsparse_direction_NS_24const_host_device_scalarIT1_EES3_PKS3_PKT2_SC_S9_PKT4_PKT5_S7_PT6_21rocsparse_index_base_b.kd
    .uniform_work_group_size: 1
    .uses_dynamic_stack: false
    .vgpr_count:     128
    .vgpr_spill_count: 0
    .wavefront_size: 32
    .workgroup_processor_mode: 1
  - .args:
      - .offset:         0
        .size:           8
        .value_kind:     by_value
      - .offset:         8
        .size:           4
        .value_kind:     by_value
      - .offset:         16
        .size:           8
        .value_kind:     by_value
      - .offset:         24
        .size:           8
        .value_kind:     by_value
      - .actual_access:  read_only
        .address_space:  global
        .offset:         32
        .size:           8
        .value_kind:     global_buffer
      - .actual_access:  read_only
        .address_space:  global
        .offset:         40
        .size:           8
        .value_kind:     global_buffer
      - .actual_access:  read_only
        .address_space:  global
        .offset:         48
        .size:           8
        .value_kind:     global_buffer
      - .actual_access:  read_only
        .address_space:  global
        .offset:         56
        .size:           8
        .value_kind:     global_buffer
      - .actual_access:  read_only
        .address_space:  global
        .offset:         64
        .size:           8
        .value_kind:     global_buffer
      - .actual_access:  read_only
        .address_space:  global
        .offset:         72
        .size:           8
        .value_kind:     global_buffer
      - .offset:         80
        .size:           8
        .value_kind:     by_value
      - .address_space:  global
        .offset:         88
        .size:           8
        .value_kind:     global_buffer
      - .offset:         96
        .size:           4
        .value_kind:     by_value
      - .offset:         100
        .size:           1
        .value_kind:     by_value
    .group_segment_fixed_size: 0
    .kernarg_segment_align: 8
    .kernarg_segment_size: 104
    .language:       OpenCL C
    .language_version:
      - 2
      - 0
    .max_flat_workgroup_size: 128
    .name:           _ZN9rocsparseL18bsrxmvn_4x4_kernelILj128ELj8E21rocsparse_complex_numIfEllfS2_S2_EEvT3_20rocsparse_direction_NS_24const_host_device_scalarIT1_EES3_PKS3_PKT2_SC_S9_PKT4_PKT5_S7_PT6_21rocsparse_index_base_b
    .private_segment_fixed_size: 0
    .sgpr_count:     14
    .sgpr_spill_count: 0
    .symbol:         _ZN9rocsparseL18bsrxmvn_4x4_kernelILj128ELj8E21rocsparse_complex_numIfEllfS2_S2_EEvT3_20rocsparse_direction_NS_24const_host_device_scalarIT1_EES3_PKS3_PKT2_SC_S9_PKT4_PKT5_S7_PT6_21rocsparse_index_base_b.kd
    .uniform_work_group_size: 1
    .uses_dynamic_stack: false
    .vgpr_count:     128
    .vgpr_spill_count: 0
    .wavefront_size: 32
    .workgroup_processor_mode: 1
  - .args:
      - .offset:         0
        .size:           8
        .value_kind:     by_value
      - .offset:         8
        .size:           4
        .value_kind:     by_value
      - .offset:         16
        .size:           8
        .value_kind:     by_value
      - .offset:         24
        .size:           8
        .value_kind:     by_value
      - .actual_access:  read_only
        .address_space:  global
        .offset:         32
        .size:           8
        .value_kind:     global_buffer
      - .actual_access:  read_only
        .address_space:  global
        .offset:         40
        .size:           8
        .value_kind:     global_buffer
      - .actual_access:  read_only
        .address_space:  global
        .offset:         48
        .size:           8
        .value_kind:     global_buffer
      - .actual_access:  read_only
        .address_space:  global
        .offset:         56
        .size:           8
        .value_kind:     global_buffer
      - .actual_access:  read_only
        .address_space:  global
        .offset:         64
        .size:           8
        .value_kind:     global_buffer
      - .actual_access:  read_only
        .address_space:  global
        .offset:         72
        .size:           8
        .value_kind:     global_buffer
      - .offset:         80
        .size:           8
        .value_kind:     by_value
      - .address_space:  global
        .offset:         88
        .size:           8
        .value_kind:     global_buffer
      - .offset:         96
        .size:           4
        .value_kind:     by_value
      - .offset:         100
        .size:           1
        .value_kind:     by_value
    .group_segment_fixed_size: 0
    .kernarg_segment_align: 8
    .kernarg_segment_size: 104
    .language:       OpenCL C
    .language_version:
      - 2
      - 0
    .max_flat_workgroup_size: 128
    .name:           _ZN9rocsparseL18bsrxmvn_4x4_kernelILj128ELj16E21rocsparse_complex_numIfEllfS2_S2_EEvT3_20rocsparse_direction_NS_24const_host_device_scalarIT1_EES3_PKS3_PKT2_SC_S9_PKT4_PKT5_S7_PT6_21rocsparse_index_base_b
    .private_segment_fixed_size: 0
    .sgpr_count:     14
    .sgpr_spill_count: 0
    .symbol:         _ZN9rocsparseL18bsrxmvn_4x4_kernelILj128ELj16E21rocsparse_complex_numIfEllfS2_S2_EEvT3_20rocsparse_direction_NS_24const_host_device_scalarIT1_EES3_PKS3_PKT2_SC_S9_PKT4_PKT5_S7_PT6_21rocsparse_index_base_b.kd
    .uniform_work_group_size: 1
    .uses_dynamic_stack: false
    .vgpr_count:     128
    .vgpr_spill_count: 0
    .wavefront_size: 32
    .workgroup_processor_mode: 1
  - .args:
      - .offset:         0
        .size:           8
        .value_kind:     by_value
      - .offset:         8
        .size:           4
        .value_kind:     by_value
      - .offset:         16
        .size:           8
        .value_kind:     by_value
      - .offset:         24
        .size:           8
        .value_kind:     by_value
      - .actual_access:  read_only
        .address_space:  global
        .offset:         32
        .size:           8
        .value_kind:     global_buffer
      - .actual_access:  read_only
        .address_space:  global
        .offset:         40
        .size:           8
        .value_kind:     global_buffer
      - .actual_access:  read_only
        .address_space:  global
        .offset:         48
        .size:           8
        .value_kind:     global_buffer
      - .actual_access:  read_only
        .address_space:  global
        .offset:         56
        .size:           8
        .value_kind:     global_buffer
      - .actual_access:  read_only
        .address_space:  global
        .offset:         64
        .size:           8
        .value_kind:     global_buffer
      - .actual_access:  read_only
        .address_space:  global
        .offset:         72
        .size:           8
        .value_kind:     global_buffer
      - .offset:         80
        .size:           8
        .value_kind:     by_value
      - .address_space:  global
        .offset:         88
        .size:           8
        .value_kind:     global_buffer
      - .offset:         96
        .size:           4
        .value_kind:     by_value
      - .offset:         100
        .size:           1
        .value_kind:     by_value
    .group_segment_fixed_size: 0
    .kernarg_segment_align: 8
    .kernarg_segment_size: 104
    .language:       OpenCL C
    .language_version:
      - 2
      - 0
    .max_flat_workgroup_size: 128
    .name:           _ZN9rocsparseL18bsrxmvn_4x4_kernelILj128ELj32E21rocsparse_complex_numIfEllfS2_S2_EEvT3_20rocsparse_direction_NS_24const_host_device_scalarIT1_EES3_PKS3_PKT2_SC_S9_PKT4_PKT5_S7_PT6_21rocsparse_index_base_b
    .private_segment_fixed_size: 0
    .sgpr_count:     14
    .sgpr_spill_count: 0
    .symbol:         _ZN9rocsparseL18bsrxmvn_4x4_kernelILj128ELj32E21rocsparse_complex_numIfEllfS2_S2_EEvT3_20rocsparse_direction_NS_24const_host_device_scalarIT1_EES3_PKS3_PKT2_SC_S9_PKT4_PKT5_S7_PT6_21rocsparse_index_base_b.kd
    .uniform_work_group_size: 1
    .uses_dynamic_stack: false
    .vgpr_count:     128
    .vgpr_spill_count: 0
    .wavefront_size: 32
    .workgroup_processor_mode: 1
  - .args:
      - .offset:         0
        .size:           8
        .value_kind:     by_value
      - .offset:         8
        .size:           4
        .value_kind:     by_value
      - .offset:         16
        .size:           8
        .value_kind:     by_value
      - .offset:         24
        .size:           8
        .value_kind:     by_value
      - .actual_access:  read_only
        .address_space:  global
        .offset:         32
        .size:           8
        .value_kind:     global_buffer
      - .actual_access:  read_only
        .address_space:  global
        .offset:         40
        .size:           8
        .value_kind:     global_buffer
      - .actual_access:  read_only
        .address_space:  global
        .offset:         48
        .size:           8
        .value_kind:     global_buffer
      - .actual_access:  read_only
        .address_space:  global
        .offset:         56
        .size:           8
        .value_kind:     global_buffer
      - .actual_access:  read_only
        .address_space:  global
        .offset:         64
        .size:           8
        .value_kind:     global_buffer
      - .actual_access:  read_only
        .address_space:  global
        .offset:         72
        .size:           8
        .value_kind:     global_buffer
      - .offset:         80
        .size:           8
        .value_kind:     by_value
      - .address_space:  global
        .offset:         88
        .size:           8
        .value_kind:     global_buffer
      - .offset:         96
        .size:           4
        .value_kind:     by_value
      - .offset:         100
        .size:           1
        .value_kind:     by_value
    .group_segment_fixed_size: 0
    .kernarg_segment_align: 8
    .kernarg_segment_size: 104
    .language:       OpenCL C
    .language_version:
      - 2
      - 0
    .max_flat_workgroup_size: 128
    .name:           _ZN9rocsparseL18bsrxmvn_4x4_kernelILj128ELj64E21rocsparse_complex_numIfEllfS2_S2_EEvT3_20rocsparse_direction_NS_24const_host_device_scalarIT1_EES3_PKS3_PKT2_SC_S9_PKT4_PKT5_S7_PT6_21rocsparse_index_base_b
    .private_segment_fixed_size: 0
    .sgpr_count:     14
    .sgpr_spill_count: 0
    .symbol:         _ZN9rocsparseL18bsrxmvn_4x4_kernelILj128ELj64E21rocsparse_complex_numIfEllfS2_S2_EEvT3_20rocsparse_direction_NS_24const_host_device_scalarIT1_EES3_PKS3_PKT2_SC_S9_PKT4_PKT5_S7_PT6_21rocsparse_index_base_b.kd
    .uniform_work_group_size: 1
    .uses_dynamic_stack: false
    .vgpr_count:     128
    .vgpr_spill_count: 0
    .wavefront_size: 32
    .workgroup_processor_mode: 1
  - .args:
      - .offset:         0
        .size:           4
        .value_kind:     by_value
      - .offset:         4
        .size:           4
        .value_kind:     by_value
      - .offset:         8
        .size:           16
        .value_kind:     by_value
      - .offset:         24
        .size:           4
        .value_kind:     by_value
      - .actual_access:  read_only
        .address_space:  global
        .offset:         32
        .size:           8
        .value_kind:     global_buffer
      - .actual_access:  read_only
        .address_space:  global
        .offset:         40
        .size:           8
        .value_kind:     global_buffer
      - .actual_access:  read_only
        .address_space:  global
        .offset:         48
        .size:           8
        .value_kind:     global_buffer
      - .actual_access:  read_only
        .address_space:  global
        .offset:         56
        .size:           8
        .value_kind:     global_buffer
      - .actual_access:  read_only
        .address_space:  global
        .offset:         64
        .size:           8
        .value_kind:     global_buffer
      - .actual_access:  read_only
        .address_space:  global
        .offset:         72
        .size:           8
        .value_kind:     global_buffer
      - .offset:         80
        .size:           16
        .value_kind:     by_value
      - .address_space:  global
        .offset:         96
        .size:           8
        .value_kind:     global_buffer
      - .offset:         104
        .size:           4
        .value_kind:     by_value
      - .offset:         108
        .size:           1
        .value_kind:     by_value
    .group_segment_fixed_size: 0
    .kernarg_segment_align: 8
    .kernarg_segment_size: 112
    .language:       OpenCL C
    .language_version:
      - 2
      - 0
    .max_flat_workgroup_size: 128
    .name:           _ZN9rocsparseL18bsrxmvn_4x4_kernelILj128ELj4E21rocsparse_complex_numIdEiidS2_S2_EEvT3_20rocsparse_direction_NS_24const_host_device_scalarIT1_EES3_PKS3_PKT2_SC_S9_PKT4_PKT5_S7_PT6_21rocsparse_index_base_b
    .private_segment_fixed_size: 0
    .sgpr_count:     16
    .sgpr_spill_count: 0
    .symbol:         _ZN9rocsparseL18bsrxmvn_4x4_kernelILj128ELj4E21rocsparse_complex_numIdEiidS2_S2_EEvT3_20rocsparse_direction_NS_24const_host_device_scalarIT1_EES3_PKS3_PKT2_SC_S9_PKT4_PKT5_S7_PT6_21rocsparse_index_base_b.kd
    .uniform_work_group_size: 1
    .uses_dynamic_stack: false
    .vgpr_count:     114
    .vgpr_spill_count: 0
    .wavefront_size: 32
    .workgroup_processor_mode: 1
  - .args:
      - .offset:         0
        .size:           4
        .value_kind:     by_value
      - .offset:         4
        .size:           4
        .value_kind:     by_value
      - .offset:         8
        .size:           16
        .value_kind:     by_value
      - .offset:         24
        .size:           4
        .value_kind:     by_value
      - .actual_access:  read_only
        .address_space:  global
        .offset:         32
        .size:           8
        .value_kind:     global_buffer
      - .actual_access:  read_only
        .address_space:  global
        .offset:         40
        .size:           8
        .value_kind:     global_buffer
      - .actual_access:  read_only
        .address_space:  global
        .offset:         48
        .size:           8
        .value_kind:     global_buffer
      - .actual_access:  read_only
        .address_space:  global
        .offset:         56
        .size:           8
        .value_kind:     global_buffer
      - .actual_access:  read_only
        .address_space:  global
        .offset:         64
        .size:           8
        .value_kind:     global_buffer
      - .actual_access:  read_only
        .address_space:  global
        .offset:         72
        .size:           8
        .value_kind:     global_buffer
      - .offset:         80
        .size:           16
        .value_kind:     by_value
      - .address_space:  global
        .offset:         96
        .size:           8
        .value_kind:     global_buffer
      - .offset:         104
        .size:           4
        .value_kind:     by_value
      - .offset:         108
        .size:           1
        .value_kind:     by_value
    .group_segment_fixed_size: 0
    .kernarg_segment_align: 8
    .kernarg_segment_size: 112
    .language:       OpenCL C
    .language_version:
      - 2
      - 0
    .max_flat_workgroup_size: 128
    .name:           _ZN9rocsparseL18bsrxmvn_4x4_kernelILj128ELj8E21rocsparse_complex_numIdEiidS2_S2_EEvT3_20rocsparse_direction_NS_24const_host_device_scalarIT1_EES3_PKS3_PKT2_SC_S9_PKT4_PKT5_S7_PT6_21rocsparse_index_base_b
    .private_segment_fixed_size: 0
    .sgpr_count:     16
    .sgpr_spill_count: 0
    .symbol:         _ZN9rocsparseL18bsrxmvn_4x4_kernelILj128ELj8E21rocsparse_complex_numIdEiidS2_S2_EEvT3_20rocsparse_direction_NS_24const_host_device_scalarIT1_EES3_PKS3_PKT2_SC_S9_PKT4_PKT5_S7_PT6_21rocsparse_index_base_b.kd
    .uniform_work_group_size: 1
    .uses_dynamic_stack: false
    .vgpr_count:     114
    .vgpr_spill_count: 0
    .wavefront_size: 32
    .workgroup_processor_mode: 1
  - .args:
      - .offset:         0
        .size:           4
        .value_kind:     by_value
      - .offset:         4
        .size:           4
        .value_kind:     by_value
      - .offset:         8
        .size:           16
        .value_kind:     by_value
      - .offset:         24
        .size:           4
        .value_kind:     by_value
      - .actual_access:  read_only
        .address_space:  global
        .offset:         32
        .size:           8
        .value_kind:     global_buffer
      - .actual_access:  read_only
        .address_space:  global
        .offset:         40
        .size:           8
        .value_kind:     global_buffer
      - .actual_access:  read_only
        .address_space:  global
        .offset:         48
        .size:           8
        .value_kind:     global_buffer
      - .actual_access:  read_only
        .address_space:  global
        .offset:         56
        .size:           8
        .value_kind:     global_buffer
      - .actual_access:  read_only
        .address_space:  global
        .offset:         64
        .size:           8
        .value_kind:     global_buffer
      - .actual_access:  read_only
        .address_space:  global
        .offset:         72
        .size:           8
        .value_kind:     global_buffer
      - .offset:         80
        .size:           16
        .value_kind:     by_value
      - .address_space:  global
        .offset:         96
        .size:           8
        .value_kind:     global_buffer
      - .offset:         104
        .size:           4
        .value_kind:     by_value
      - .offset:         108
        .size:           1
        .value_kind:     by_value
    .group_segment_fixed_size: 0
    .kernarg_segment_align: 8
    .kernarg_segment_size: 112
    .language:       OpenCL C
    .language_version:
      - 2
      - 0
    .max_flat_workgroup_size: 128
    .name:           _ZN9rocsparseL18bsrxmvn_4x4_kernelILj128ELj16E21rocsparse_complex_numIdEiidS2_S2_EEvT3_20rocsparse_direction_NS_24const_host_device_scalarIT1_EES3_PKS3_PKT2_SC_S9_PKT4_PKT5_S7_PT6_21rocsparse_index_base_b
    .private_segment_fixed_size: 0
    .sgpr_count:     16
    .sgpr_spill_count: 0
    .symbol:         _ZN9rocsparseL18bsrxmvn_4x4_kernelILj128ELj16E21rocsparse_complex_numIdEiidS2_S2_EEvT3_20rocsparse_direction_NS_24const_host_device_scalarIT1_EES3_PKS3_PKT2_SC_S9_PKT4_PKT5_S7_PT6_21rocsparse_index_base_b.kd
    .uniform_work_group_size: 1
    .uses_dynamic_stack: false
    .vgpr_count:     114
    .vgpr_spill_count: 0
    .wavefront_size: 32
    .workgroup_processor_mode: 1
  - .args:
      - .offset:         0
        .size:           4
        .value_kind:     by_value
      - .offset:         4
        .size:           4
        .value_kind:     by_value
      - .offset:         8
        .size:           16
        .value_kind:     by_value
      - .offset:         24
        .size:           4
        .value_kind:     by_value
      - .actual_access:  read_only
        .address_space:  global
        .offset:         32
        .size:           8
        .value_kind:     global_buffer
      - .actual_access:  read_only
        .address_space:  global
        .offset:         40
        .size:           8
        .value_kind:     global_buffer
      - .actual_access:  read_only
        .address_space:  global
        .offset:         48
        .size:           8
        .value_kind:     global_buffer
      - .actual_access:  read_only
        .address_space:  global
        .offset:         56
        .size:           8
        .value_kind:     global_buffer
      - .actual_access:  read_only
        .address_space:  global
        .offset:         64
        .size:           8
        .value_kind:     global_buffer
      - .actual_access:  read_only
        .address_space:  global
        .offset:         72
        .size:           8
        .value_kind:     global_buffer
      - .offset:         80
        .size:           16
        .value_kind:     by_value
      - .address_space:  global
        .offset:         96
        .size:           8
        .value_kind:     global_buffer
      - .offset:         104
        .size:           4
        .value_kind:     by_value
      - .offset:         108
        .size:           1
        .value_kind:     by_value
    .group_segment_fixed_size: 0
    .kernarg_segment_align: 8
    .kernarg_segment_size: 112
    .language:       OpenCL C
    .language_version:
      - 2
      - 0
    .max_flat_workgroup_size: 128
    .name:           _ZN9rocsparseL18bsrxmvn_4x4_kernelILj128ELj32E21rocsparse_complex_numIdEiidS2_S2_EEvT3_20rocsparse_direction_NS_24const_host_device_scalarIT1_EES3_PKS3_PKT2_SC_S9_PKT4_PKT5_S7_PT6_21rocsparse_index_base_b
    .private_segment_fixed_size: 0
    .sgpr_count:     16
    .sgpr_spill_count: 0
    .symbol:         _ZN9rocsparseL18bsrxmvn_4x4_kernelILj128ELj32E21rocsparse_complex_numIdEiidS2_S2_EEvT3_20rocsparse_direction_NS_24const_host_device_scalarIT1_EES3_PKS3_PKT2_SC_S9_PKT4_PKT5_S7_PT6_21rocsparse_index_base_b.kd
    .uniform_work_group_size: 1
    .uses_dynamic_stack: false
    .vgpr_count:     114
    .vgpr_spill_count: 0
    .wavefront_size: 32
    .workgroup_processor_mode: 1
  - .args:
      - .offset:         0
        .size:           4
        .value_kind:     by_value
      - .offset:         4
        .size:           4
        .value_kind:     by_value
      - .offset:         8
        .size:           16
        .value_kind:     by_value
      - .offset:         24
        .size:           4
        .value_kind:     by_value
      - .actual_access:  read_only
        .address_space:  global
        .offset:         32
        .size:           8
        .value_kind:     global_buffer
      - .actual_access:  read_only
        .address_space:  global
        .offset:         40
        .size:           8
        .value_kind:     global_buffer
      - .actual_access:  read_only
        .address_space:  global
        .offset:         48
        .size:           8
        .value_kind:     global_buffer
      - .actual_access:  read_only
        .address_space:  global
        .offset:         56
        .size:           8
        .value_kind:     global_buffer
      - .actual_access:  read_only
        .address_space:  global
        .offset:         64
        .size:           8
        .value_kind:     global_buffer
      - .actual_access:  read_only
        .address_space:  global
        .offset:         72
        .size:           8
        .value_kind:     global_buffer
      - .offset:         80
        .size:           16
        .value_kind:     by_value
      - .address_space:  global
        .offset:         96
        .size:           8
        .value_kind:     global_buffer
      - .offset:         104
        .size:           4
        .value_kind:     by_value
      - .offset:         108
        .size:           1
        .value_kind:     by_value
    .group_segment_fixed_size: 0
    .kernarg_segment_align: 8
    .kernarg_segment_size: 112
    .language:       OpenCL C
    .language_version:
      - 2
      - 0
    .max_flat_workgroup_size: 128
    .name:           _ZN9rocsparseL18bsrxmvn_4x4_kernelILj128ELj64E21rocsparse_complex_numIdEiidS2_S2_EEvT3_20rocsparse_direction_NS_24const_host_device_scalarIT1_EES3_PKS3_PKT2_SC_S9_PKT4_PKT5_S7_PT6_21rocsparse_index_base_b
    .private_segment_fixed_size: 0
    .sgpr_count:     16
    .sgpr_spill_count: 0
    .symbol:         _ZN9rocsparseL18bsrxmvn_4x4_kernelILj128ELj64E21rocsparse_complex_numIdEiidS2_S2_EEvT3_20rocsparse_direction_NS_24const_host_device_scalarIT1_EES3_PKS3_PKT2_SC_S9_PKT4_PKT5_S7_PT6_21rocsparse_index_base_b.kd
    .uniform_work_group_size: 1
    .uses_dynamic_stack: false
    .vgpr_count:     114
    .vgpr_spill_count: 0
    .wavefront_size: 32
    .workgroup_processor_mode: 1
  - .args:
      - .offset:         0
        .size:           4
        .value_kind:     by_value
      - .offset:         4
        .size:           4
        .value_kind:     by_value
      - .offset:         8
        .size:           16
        .value_kind:     by_value
      - .offset:         24
        .size:           4
        .value_kind:     by_value
      - .actual_access:  read_only
        .address_space:  global
        .offset:         32
        .size:           8
        .value_kind:     global_buffer
      - .actual_access:  read_only
        .address_space:  global
        .offset:         40
        .size:           8
        .value_kind:     global_buffer
      - .actual_access:  read_only
        .address_space:  global
        .offset:         48
        .size:           8
        .value_kind:     global_buffer
      - .actual_access:  read_only
        .address_space:  global
        .offset:         56
        .size:           8
        .value_kind:     global_buffer
      - .actual_access:  read_only
        .address_space:  global
        .offset:         64
        .size:           8
        .value_kind:     global_buffer
      - .actual_access:  read_only
        .address_space:  global
        .offset:         72
        .size:           8
        .value_kind:     global_buffer
      - .offset:         80
        .size:           16
        .value_kind:     by_value
      - .address_space:  global
        .offset:         96
        .size:           8
        .value_kind:     global_buffer
      - .offset:         104
        .size:           4
        .value_kind:     by_value
      - .offset:         108
        .size:           1
        .value_kind:     by_value
    .group_segment_fixed_size: 0
    .kernarg_segment_align: 8
    .kernarg_segment_size: 112
    .language:       OpenCL C
    .language_version:
      - 2
      - 0
    .max_flat_workgroup_size: 128
    .name:           _ZN9rocsparseL18bsrxmvn_4x4_kernelILj128ELj4E21rocsparse_complex_numIdElidS2_S2_EEvT3_20rocsparse_direction_NS_24const_host_device_scalarIT1_EES3_PKS3_PKT2_SC_S9_PKT4_PKT5_S7_PT6_21rocsparse_index_base_b
    .private_segment_fixed_size: 0
    .sgpr_count:     16
    .sgpr_spill_count: 0
    .symbol:         _ZN9rocsparseL18bsrxmvn_4x4_kernelILj128ELj4E21rocsparse_complex_numIdElidS2_S2_EEvT3_20rocsparse_direction_NS_24const_host_device_scalarIT1_EES3_PKS3_PKT2_SC_S9_PKT4_PKT5_S7_PT6_21rocsparse_index_base_b.kd
    .uniform_work_group_size: 1
    .uses_dynamic_stack: false
    .vgpr_count:     117
    .vgpr_spill_count: 0
    .wavefront_size: 32
    .workgroup_processor_mode: 1
  - .args:
      - .offset:         0
        .size:           4
        .value_kind:     by_value
      - .offset:         4
        .size:           4
        .value_kind:     by_value
      - .offset:         8
        .size:           16
        .value_kind:     by_value
      - .offset:         24
        .size:           4
        .value_kind:     by_value
      - .actual_access:  read_only
        .address_space:  global
        .offset:         32
        .size:           8
        .value_kind:     global_buffer
      - .actual_access:  read_only
        .address_space:  global
        .offset:         40
        .size:           8
        .value_kind:     global_buffer
      - .actual_access:  read_only
        .address_space:  global
        .offset:         48
        .size:           8
        .value_kind:     global_buffer
      - .actual_access:  read_only
        .address_space:  global
        .offset:         56
        .size:           8
        .value_kind:     global_buffer
      - .actual_access:  read_only
        .address_space:  global
        .offset:         64
        .size:           8
        .value_kind:     global_buffer
      - .actual_access:  read_only
        .address_space:  global
        .offset:         72
        .size:           8
        .value_kind:     global_buffer
      - .offset:         80
        .size:           16
        .value_kind:     by_value
      - .address_space:  global
        .offset:         96
        .size:           8
        .value_kind:     global_buffer
      - .offset:         104
        .size:           4
        .value_kind:     by_value
      - .offset:         108
        .size:           1
        .value_kind:     by_value
    .group_segment_fixed_size: 0
    .kernarg_segment_align: 8
    .kernarg_segment_size: 112
    .language:       OpenCL C
    .language_version:
      - 2
      - 0
    .max_flat_workgroup_size: 128
    .name:           _ZN9rocsparseL18bsrxmvn_4x4_kernelILj128ELj8E21rocsparse_complex_numIdElidS2_S2_EEvT3_20rocsparse_direction_NS_24const_host_device_scalarIT1_EES3_PKS3_PKT2_SC_S9_PKT4_PKT5_S7_PT6_21rocsparse_index_base_b
    .private_segment_fixed_size: 0
    .sgpr_count:     16
    .sgpr_spill_count: 0
    .symbol:         _ZN9rocsparseL18bsrxmvn_4x4_kernelILj128ELj8E21rocsparse_complex_numIdElidS2_S2_EEvT3_20rocsparse_direction_NS_24const_host_device_scalarIT1_EES3_PKS3_PKT2_SC_S9_PKT4_PKT5_S7_PT6_21rocsparse_index_base_b.kd
    .uniform_work_group_size: 1
    .uses_dynamic_stack: false
    .vgpr_count:     117
    .vgpr_spill_count: 0
    .wavefront_size: 32
    .workgroup_processor_mode: 1
  - .args:
      - .offset:         0
        .size:           4
        .value_kind:     by_value
      - .offset:         4
        .size:           4
        .value_kind:     by_value
      - .offset:         8
        .size:           16
        .value_kind:     by_value
      - .offset:         24
        .size:           4
        .value_kind:     by_value
      - .actual_access:  read_only
        .address_space:  global
        .offset:         32
        .size:           8
        .value_kind:     global_buffer
      - .actual_access:  read_only
        .address_space:  global
        .offset:         40
        .size:           8
        .value_kind:     global_buffer
      - .actual_access:  read_only
        .address_space:  global
        .offset:         48
        .size:           8
        .value_kind:     global_buffer
      - .actual_access:  read_only
        .address_space:  global
        .offset:         56
        .size:           8
        .value_kind:     global_buffer
      - .actual_access:  read_only
        .address_space:  global
        .offset:         64
        .size:           8
        .value_kind:     global_buffer
      - .actual_access:  read_only
        .address_space:  global
        .offset:         72
        .size:           8
        .value_kind:     global_buffer
      - .offset:         80
        .size:           16
        .value_kind:     by_value
      - .address_space:  global
        .offset:         96
        .size:           8
        .value_kind:     global_buffer
      - .offset:         104
        .size:           4
        .value_kind:     by_value
      - .offset:         108
        .size:           1
        .value_kind:     by_value
    .group_segment_fixed_size: 0
    .kernarg_segment_align: 8
    .kernarg_segment_size: 112
    .language:       OpenCL C
    .language_version:
      - 2
      - 0
    .max_flat_workgroup_size: 128
    .name:           _ZN9rocsparseL18bsrxmvn_4x4_kernelILj128ELj16E21rocsparse_complex_numIdElidS2_S2_EEvT3_20rocsparse_direction_NS_24const_host_device_scalarIT1_EES3_PKS3_PKT2_SC_S9_PKT4_PKT5_S7_PT6_21rocsparse_index_base_b
    .private_segment_fixed_size: 0
    .sgpr_count:     16
    .sgpr_spill_count: 0
    .symbol:         _ZN9rocsparseL18bsrxmvn_4x4_kernelILj128ELj16E21rocsparse_complex_numIdElidS2_S2_EEvT3_20rocsparse_direction_NS_24const_host_device_scalarIT1_EES3_PKS3_PKT2_SC_S9_PKT4_PKT5_S7_PT6_21rocsparse_index_base_b.kd
    .uniform_work_group_size: 1
    .uses_dynamic_stack: false
    .vgpr_count:     117
    .vgpr_spill_count: 0
    .wavefront_size: 32
    .workgroup_processor_mode: 1
  - .args:
      - .offset:         0
        .size:           4
        .value_kind:     by_value
      - .offset:         4
        .size:           4
        .value_kind:     by_value
      - .offset:         8
        .size:           16
        .value_kind:     by_value
      - .offset:         24
        .size:           4
        .value_kind:     by_value
      - .actual_access:  read_only
        .address_space:  global
        .offset:         32
        .size:           8
        .value_kind:     global_buffer
      - .actual_access:  read_only
        .address_space:  global
        .offset:         40
        .size:           8
        .value_kind:     global_buffer
      - .actual_access:  read_only
        .address_space:  global
        .offset:         48
        .size:           8
        .value_kind:     global_buffer
      - .actual_access:  read_only
        .address_space:  global
        .offset:         56
        .size:           8
        .value_kind:     global_buffer
      - .actual_access:  read_only
        .address_space:  global
        .offset:         64
        .size:           8
        .value_kind:     global_buffer
      - .actual_access:  read_only
        .address_space:  global
        .offset:         72
        .size:           8
        .value_kind:     global_buffer
      - .offset:         80
        .size:           16
        .value_kind:     by_value
      - .address_space:  global
        .offset:         96
        .size:           8
        .value_kind:     global_buffer
      - .offset:         104
        .size:           4
        .value_kind:     by_value
      - .offset:         108
        .size:           1
        .value_kind:     by_value
    .group_segment_fixed_size: 0
    .kernarg_segment_align: 8
    .kernarg_segment_size: 112
    .language:       OpenCL C
    .language_version:
      - 2
      - 0
    .max_flat_workgroup_size: 128
    .name:           _ZN9rocsparseL18bsrxmvn_4x4_kernelILj128ELj32E21rocsparse_complex_numIdElidS2_S2_EEvT3_20rocsparse_direction_NS_24const_host_device_scalarIT1_EES3_PKS3_PKT2_SC_S9_PKT4_PKT5_S7_PT6_21rocsparse_index_base_b
    .private_segment_fixed_size: 0
    .sgpr_count:     16
    .sgpr_spill_count: 0
    .symbol:         _ZN9rocsparseL18bsrxmvn_4x4_kernelILj128ELj32E21rocsparse_complex_numIdElidS2_S2_EEvT3_20rocsparse_direction_NS_24const_host_device_scalarIT1_EES3_PKS3_PKT2_SC_S9_PKT4_PKT5_S7_PT6_21rocsparse_index_base_b.kd
    .uniform_work_group_size: 1
    .uses_dynamic_stack: false
    .vgpr_count:     117
    .vgpr_spill_count: 0
    .wavefront_size: 32
    .workgroup_processor_mode: 1
  - .args:
      - .offset:         0
        .size:           4
        .value_kind:     by_value
      - .offset:         4
        .size:           4
        .value_kind:     by_value
      - .offset:         8
        .size:           16
        .value_kind:     by_value
      - .offset:         24
        .size:           4
        .value_kind:     by_value
      - .actual_access:  read_only
        .address_space:  global
        .offset:         32
        .size:           8
        .value_kind:     global_buffer
      - .actual_access:  read_only
        .address_space:  global
        .offset:         40
        .size:           8
        .value_kind:     global_buffer
      - .actual_access:  read_only
        .address_space:  global
        .offset:         48
        .size:           8
        .value_kind:     global_buffer
      - .actual_access:  read_only
        .address_space:  global
        .offset:         56
        .size:           8
        .value_kind:     global_buffer
      - .actual_access:  read_only
        .address_space:  global
        .offset:         64
        .size:           8
        .value_kind:     global_buffer
      - .actual_access:  read_only
        .address_space:  global
        .offset:         72
        .size:           8
        .value_kind:     global_buffer
      - .offset:         80
        .size:           16
        .value_kind:     by_value
      - .address_space:  global
        .offset:         96
        .size:           8
        .value_kind:     global_buffer
      - .offset:         104
        .size:           4
        .value_kind:     by_value
      - .offset:         108
        .size:           1
        .value_kind:     by_value
    .group_segment_fixed_size: 0
    .kernarg_segment_align: 8
    .kernarg_segment_size: 112
    .language:       OpenCL C
    .language_version:
      - 2
      - 0
    .max_flat_workgroup_size: 128
    .name:           _ZN9rocsparseL18bsrxmvn_4x4_kernelILj128ELj64E21rocsparse_complex_numIdElidS2_S2_EEvT3_20rocsparse_direction_NS_24const_host_device_scalarIT1_EES3_PKS3_PKT2_SC_S9_PKT4_PKT5_S7_PT6_21rocsparse_index_base_b
    .private_segment_fixed_size: 0
    .sgpr_count:     16
    .sgpr_spill_count: 0
    .symbol:         _ZN9rocsparseL18bsrxmvn_4x4_kernelILj128ELj64E21rocsparse_complex_numIdElidS2_S2_EEvT3_20rocsparse_direction_NS_24const_host_device_scalarIT1_EES3_PKS3_PKT2_SC_S9_PKT4_PKT5_S7_PT6_21rocsparse_index_base_b.kd
    .uniform_work_group_size: 1
    .uses_dynamic_stack: false
    .vgpr_count:     117
    .vgpr_spill_count: 0
    .wavefront_size: 32
    .workgroup_processor_mode: 1
  - .args:
      - .offset:         0
        .size:           8
        .value_kind:     by_value
      - .offset:         8
        .size:           4
        .value_kind:     by_value
      - .offset:         16
        .size:           16
        .value_kind:     by_value
      - .offset:         32
        .size:           8
        .value_kind:     by_value
      - .actual_access:  read_only
        .address_space:  global
        .offset:         40
        .size:           8
        .value_kind:     global_buffer
      - .actual_access:  read_only
        .address_space:  global
        .offset:         48
        .size:           8
        .value_kind:     global_buffer
      - .actual_access:  read_only
        .address_space:  global
        .offset:         56
        .size:           8
        .value_kind:     global_buffer
      - .actual_access:  read_only
        .address_space:  global
        .offset:         64
        .size:           8
        .value_kind:     global_buffer
      - .actual_access:  read_only
        .address_space:  global
        .offset:         72
        .size:           8
        .value_kind:     global_buffer
      - .actual_access:  read_only
        .address_space:  global
        .offset:         80
        .size:           8
        .value_kind:     global_buffer
      - .offset:         88
        .size:           16
        .value_kind:     by_value
      - .address_space:  global
        .offset:         104
        .size:           8
        .value_kind:     global_buffer
      - .offset:         112
        .size:           4
        .value_kind:     by_value
      - .offset:         116
        .size:           1
        .value_kind:     by_value
    .group_segment_fixed_size: 0
    .kernarg_segment_align: 8
    .kernarg_segment_size: 120
    .language:       OpenCL C
    .language_version:
      - 2
      - 0
    .max_flat_workgroup_size: 128
    .name:           _ZN9rocsparseL18bsrxmvn_4x4_kernelILj128ELj4E21rocsparse_complex_numIdElldS2_S2_EEvT3_20rocsparse_direction_NS_24const_host_device_scalarIT1_EES3_PKS3_PKT2_SC_S9_PKT4_PKT5_S7_PT6_21rocsparse_index_base_b
    .private_segment_fixed_size: 0
    .sgpr_count:     14
    .sgpr_spill_count: 0
    .symbol:         _ZN9rocsparseL18bsrxmvn_4x4_kernelILj128ELj4E21rocsparse_complex_numIdElldS2_S2_EEvT3_20rocsparse_direction_NS_24const_host_device_scalarIT1_EES3_PKS3_PKT2_SC_S9_PKT4_PKT5_S7_PT6_21rocsparse_index_base_b.kd
    .uniform_work_group_size: 1
    .uses_dynamic_stack: false
    .vgpr_count:     121
    .vgpr_spill_count: 0
    .wavefront_size: 32
    .workgroup_processor_mode: 1
  - .args:
      - .offset:         0
        .size:           8
        .value_kind:     by_value
      - .offset:         8
        .size:           4
        .value_kind:     by_value
      - .offset:         16
        .size:           16
        .value_kind:     by_value
      - .offset:         32
        .size:           8
        .value_kind:     by_value
      - .actual_access:  read_only
        .address_space:  global
        .offset:         40
        .size:           8
        .value_kind:     global_buffer
      - .actual_access:  read_only
        .address_space:  global
        .offset:         48
        .size:           8
        .value_kind:     global_buffer
      - .actual_access:  read_only
        .address_space:  global
        .offset:         56
        .size:           8
        .value_kind:     global_buffer
      - .actual_access:  read_only
        .address_space:  global
        .offset:         64
        .size:           8
        .value_kind:     global_buffer
      - .actual_access:  read_only
        .address_space:  global
        .offset:         72
        .size:           8
        .value_kind:     global_buffer
      - .actual_access:  read_only
        .address_space:  global
        .offset:         80
        .size:           8
        .value_kind:     global_buffer
      - .offset:         88
        .size:           16
        .value_kind:     by_value
      - .address_space:  global
        .offset:         104
        .size:           8
        .value_kind:     global_buffer
      - .offset:         112
        .size:           4
        .value_kind:     by_value
      - .offset:         116
        .size:           1
        .value_kind:     by_value
    .group_segment_fixed_size: 0
    .kernarg_segment_align: 8
    .kernarg_segment_size: 120
    .language:       OpenCL C
    .language_version:
      - 2
      - 0
    .max_flat_workgroup_size: 128
    .name:           _ZN9rocsparseL18bsrxmvn_4x4_kernelILj128ELj8E21rocsparse_complex_numIdElldS2_S2_EEvT3_20rocsparse_direction_NS_24const_host_device_scalarIT1_EES3_PKS3_PKT2_SC_S9_PKT4_PKT5_S7_PT6_21rocsparse_index_base_b
    .private_segment_fixed_size: 0
    .sgpr_count:     14
    .sgpr_spill_count: 0
    .symbol:         _ZN9rocsparseL18bsrxmvn_4x4_kernelILj128ELj8E21rocsparse_complex_numIdElldS2_S2_EEvT3_20rocsparse_direction_NS_24const_host_device_scalarIT1_EES3_PKS3_PKT2_SC_S9_PKT4_PKT5_S7_PT6_21rocsparse_index_base_b.kd
    .uniform_work_group_size: 1
    .uses_dynamic_stack: false
    .vgpr_count:     121
    .vgpr_spill_count: 0
    .wavefront_size: 32
    .workgroup_processor_mode: 1
  - .args:
      - .offset:         0
        .size:           8
        .value_kind:     by_value
      - .offset:         8
        .size:           4
        .value_kind:     by_value
      - .offset:         16
        .size:           16
        .value_kind:     by_value
      - .offset:         32
        .size:           8
        .value_kind:     by_value
      - .actual_access:  read_only
        .address_space:  global
        .offset:         40
        .size:           8
        .value_kind:     global_buffer
      - .actual_access:  read_only
        .address_space:  global
        .offset:         48
        .size:           8
        .value_kind:     global_buffer
      - .actual_access:  read_only
        .address_space:  global
        .offset:         56
        .size:           8
        .value_kind:     global_buffer
      - .actual_access:  read_only
        .address_space:  global
        .offset:         64
        .size:           8
        .value_kind:     global_buffer
      - .actual_access:  read_only
        .address_space:  global
        .offset:         72
        .size:           8
        .value_kind:     global_buffer
      - .actual_access:  read_only
        .address_space:  global
        .offset:         80
        .size:           8
        .value_kind:     global_buffer
      - .offset:         88
        .size:           16
        .value_kind:     by_value
      - .address_space:  global
        .offset:         104
        .size:           8
        .value_kind:     global_buffer
      - .offset:         112
        .size:           4
        .value_kind:     by_value
      - .offset:         116
        .size:           1
        .value_kind:     by_value
    .group_segment_fixed_size: 0
    .kernarg_segment_align: 8
    .kernarg_segment_size: 120
    .language:       OpenCL C
    .language_version:
      - 2
      - 0
    .max_flat_workgroup_size: 128
    .name:           _ZN9rocsparseL18bsrxmvn_4x4_kernelILj128ELj16E21rocsparse_complex_numIdElldS2_S2_EEvT3_20rocsparse_direction_NS_24const_host_device_scalarIT1_EES3_PKS3_PKT2_SC_S9_PKT4_PKT5_S7_PT6_21rocsparse_index_base_b
    .private_segment_fixed_size: 0
    .sgpr_count:     14
    .sgpr_spill_count: 0
    .symbol:         _ZN9rocsparseL18bsrxmvn_4x4_kernelILj128ELj16E21rocsparse_complex_numIdElldS2_S2_EEvT3_20rocsparse_direction_NS_24const_host_device_scalarIT1_EES3_PKS3_PKT2_SC_S9_PKT4_PKT5_S7_PT6_21rocsparse_index_base_b.kd
    .uniform_work_group_size: 1
    .uses_dynamic_stack: false
    .vgpr_count:     121
    .vgpr_spill_count: 0
    .wavefront_size: 32
    .workgroup_processor_mode: 1
  - .args:
      - .offset:         0
        .size:           8
        .value_kind:     by_value
      - .offset:         8
        .size:           4
        .value_kind:     by_value
      - .offset:         16
        .size:           16
        .value_kind:     by_value
      - .offset:         32
        .size:           8
        .value_kind:     by_value
      - .actual_access:  read_only
        .address_space:  global
        .offset:         40
        .size:           8
        .value_kind:     global_buffer
      - .actual_access:  read_only
        .address_space:  global
        .offset:         48
        .size:           8
        .value_kind:     global_buffer
      - .actual_access:  read_only
        .address_space:  global
        .offset:         56
        .size:           8
        .value_kind:     global_buffer
      - .actual_access:  read_only
        .address_space:  global
        .offset:         64
        .size:           8
        .value_kind:     global_buffer
      - .actual_access:  read_only
        .address_space:  global
        .offset:         72
        .size:           8
        .value_kind:     global_buffer
      - .actual_access:  read_only
        .address_space:  global
        .offset:         80
        .size:           8
        .value_kind:     global_buffer
      - .offset:         88
        .size:           16
        .value_kind:     by_value
      - .address_space:  global
        .offset:         104
        .size:           8
        .value_kind:     global_buffer
      - .offset:         112
        .size:           4
        .value_kind:     by_value
      - .offset:         116
        .size:           1
        .value_kind:     by_value
    .group_segment_fixed_size: 0
    .kernarg_segment_align: 8
    .kernarg_segment_size: 120
    .language:       OpenCL C
    .language_version:
      - 2
      - 0
    .max_flat_workgroup_size: 128
    .name:           _ZN9rocsparseL18bsrxmvn_4x4_kernelILj128ELj32E21rocsparse_complex_numIdElldS2_S2_EEvT3_20rocsparse_direction_NS_24const_host_device_scalarIT1_EES3_PKS3_PKT2_SC_S9_PKT4_PKT5_S7_PT6_21rocsparse_index_base_b
    .private_segment_fixed_size: 0
    .sgpr_count:     14
    .sgpr_spill_count: 0
    .symbol:         _ZN9rocsparseL18bsrxmvn_4x4_kernelILj128ELj32E21rocsparse_complex_numIdElldS2_S2_EEvT3_20rocsparse_direction_NS_24const_host_device_scalarIT1_EES3_PKS3_PKT2_SC_S9_PKT4_PKT5_S7_PT6_21rocsparse_index_base_b.kd
    .uniform_work_group_size: 1
    .uses_dynamic_stack: false
    .vgpr_count:     121
    .vgpr_spill_count: 0
    .wavefront_size: 32
    .workgroup_processor_mode: 1
  - .args:
      - .offset:         0
        .size:           8
        .value_kind:     by_value
      - .offset:         8
        .size:           4
        .value_kind:     by_value
      - .offset:         16
        .size:           16
        .value_kind:     by_value
      - .offset:         32
        .size:           8
        .value_kind:     by_value
      - .actual_access:  read_only
        .address_space:  global
        .offset:         40
        .size:           8
        .value_kind:     global_buffer
      - .actual_access:  read_only
        .address_space:  global
        .offset:         48
        .size:           8
        .value_kind:     global_buffer
      - .actual_access:  read_only
        .address_space:  global
        .offset:         56
        .size:           8
        .value_kind:     global_buffer
      - .actual_access:  read_only
        .address_space:  global
        .offset:         64
        .size:           8
        .value_kind:     global_buffer
      - .actual_access:  read_only
        .address_space:  global
        .offset:         72
        .size:           8
        .value_kind:     global_buffer
      - .actual_access:  read_only
        .address_space:  global
        .offset:         80
        .size:           8
        .value_kind:     global_buffer
      - .offset:         88
        .size:           16
        .value_kind:     by_value
      - .address_space:  global
        .offset:         104
        .size:           8
        .value_kind:     global_buffer
      - .offset:         112
        .size:           4
        .value_kind:     by_value
      - .offset:         116
        .size:           1
        .value_kind:     by_value
    .group_segment_fixed_size: 0
    .kernarg_segment_align: 8
    .kernarg_segment_size: 120
    .language:       OpenCL C
    .language_version:
      - 2
      - 0
    .max_flat_workgroup_size: 128
    .name:           _ZN9rocsparseL18bsrxmvn_4x4_kernelILj128ELj64E21rocsparse_complex_numIdElldS2_S2_EEvT3_20rocsparse_direction_NS_24const_host_device_scalarIT1_EES3_PKS3_PKT2_SC_S9_PKT4_PKT5_S7_PT6_21rocsparse_index_base_b
    .private_segment_fixed_size: 0
    .sgpr_count:     14
    .sgpr_spill_count: 0
    .symbol:         _ZN9rocsparseL18bsrxmvn_4x4_kernelILj128ELj64E21rocsparse_complex_numIdElldS2_S2_EEvT3_20rocsparse_direction_NS_24const_host_device_scalarIT1_EES3_PKS3_PKT2_SC_S9_PKT4_PKT5_S7_PT6_21rocsparse_index_base_b.kd
    .uniform_work_group_size: 1
    .uses_dynamic_stack: false
    .vgpr_count:     121
    .vgpr_spill_count: 0
    .wavefront_size: 32
    .workgroup_processor_mode: 1
  - .args:
      - .offset:         0
        .size:           4
        .value_kind:     by_value
      - .offset:         4
        .size:           4
        .value_kind:     by_value
      - .offset:         8
        .size:           8
        .value_kind:     by_value
      - .offset:         16
        .size:           4
        .value_kind:     by_value
      - .actual_access:  read_only
        .address_space:  global
        .offset:         24
        .size:           8
        .value_kind:     global_buffer
      - .actual_access:  read_only
        .address_space:  global
        .offset:         32
        .size:           8
        .value_kind:     global_buffer
      - .actual_access:  read_only
        .address_space:  global
        .offset:         40
        .size:           8
        .value_kind:     global_buffer
      - .actual_access:  read_only
        .address_space:  global
        .offset:         48
        .size:           8
        .value_kind:     global_buffer
      - .actual_access:  read_only
        .address_space:  global
        .offset:         56
        .size:           8
        .value_kind:     global_buffer
      - .actual_access:  read_only
        .address_space:  global
        .offset:         64
        .size:           8
        .value_kind:     global_buffer
      - .offset:         72
        .size:           8
        .value_kind:     by_value
      - .address_space:  global
        .offset:         80
        .size:           8
        .value_kind:     global_buffer
      - .offset:         88
        .size:           4
        .value_kind:     by_value
      - .offset:         92
        .size:           1
        .value_kind:     by_value
    .group_segment_fixed_size: 0
    .kernarg_segment_align: 8
    .kernarg_segment_size: 96
    .language:       OpenCL C
    .language_version:
      - 2
      - 0
    .max_flat_workgroup_size: 128
    .name:           _ZN9rocsparseL18bsrxmvn_4x4_kernelILj128ELj4EdiifddEEvT3_20rocsparse_direction_NS_24const_host_device_scalarIT1_EES1_PKS1_PKT2_SA_S7_PKT4_PKT5_S5_PT6_21rocsparse_index_base_b
    .private_segment_fixed_size: 0
    .sgpr_count:     16
    .sgpr_spill_count: 0
    .symbol:         _ZN9rocsparseL18bsrxmvn_4x4_kernelILj128ELj4EdiifddEEvT3_20rocsparse_direction_NS_24const_host_device_scalarIT1_EES1_PKS1_PKT2_SA_S7_PKT4_PKT5_S5_PT6_21rocsparse_index_base_b.kd
    .uniform_work_group_size: 1
    .uses_dynamic_stack: false
    .vgpr_count:     105
    .vgpr_spill_count: 0
    .wavefront_size: 32
    .workgroup_processor_mode: 1
  - .args:
      - .offset:         0
        .size:           4
        .value_kind:     by_value
      - .offset:         4
        .size:           4
        .value_kind:     by_value
      - .offset:         8
        .size:           8
        .value_kind:     by_value
      - .offset:         16
        .size:           4
        .value_kind:     by_value
      - .actual_access:  read_only
        .address_space:  global
        .offset:         24
        .size:           8
        .value_kind:     global_buffer
      - .actual_access:  read_only
        .address_space:  global
        .offset:         32
        .size:           8
        .value_kind:     global_buffer
      - .actual_access:  read_only
        .address_space:  global
        .offset:         40
        .size:           8
        .value_kind:     global_buffer
      - .actual_access:  read_only
        .address_space:  global
        .offset:         48
        .size:           8
        .value_kind:     global_buffer
      - .actual_access:  read_only
        .address_space:  global
        .offset:         56
        .size:           8
        .value_kind:     global_buffer
      - .actual_access:  read_only
        .address_space:  global
        .offset:         64
        .size:           8
        .value_kind:     global_buffer
      - .offset:         72
        .size:           8
        .value_kind:     by_value
      - .address_space:  global
        .offset:         80
        .size:           8
        .value_kind:     global_buffer
      - .offset:         88
        .size:           4
        .value_kind:     by_value
      - .offset:         92
        .size:           1
        .value_kind:     by_value
    .group_segment_fixed_size: 0
    .kernarg_segment_align: 8
    .kernarg_segment_size: 96
    .language:       OpenCL C
    .language_version:
      - 2
      - 0
    .max_flat_workgroup_size: 128
    .name:           _ZN9rocsparseL18bsrxmvn_4x4_kernelILj128ELj8EdiifddEEvT3_20rocsparse_direction_NS_24const_host_device_scalarIT1_EES1_PKS1_PKT2_SA_S7_PKT4_PKT5_S5_PT6_21rocsparse_index_base_b
    .private_segment_fixed_size: 0
    .sgpr_count:     16
    .sgpr_spill_count: 0
    .symbol:         _ZN9rocsparseL18bsrxmvn_4x4_kernelILj128ELj8EdiifddEEvT3_20rocsparse_direction_NS_24const_host_device_scalarIT1_EES1_PKS1_PKT2_SA_S7_PKT4_PKT5_S5_PT6_21rocsparse_index_base_b.kd
    .uniform_work_group_size: 1
    .uses_dynamic_stack: false
    .vgpr_count:     105
    .vgpr_spill_count: 0
    .wavefront_size: 32
    .workgroup_processor_mode: 1
  - .args:
      - .offset:         0
        .size:           4
        .value_kind:     by_value
      - .offset:         4
        .size:           4
        .value_kind:     by_value
      - .offset:         8
        .size:           8
        .value_kind:     by_value
      - .offset:         16
        .size:           4
        .value_kind:     by_value
      - .actual_access:  read_only
        .address_space:  global
        .offset:         24
        .size:           8
        .value_kind:     global_buffer
      - .actual_access:  read_only
        .address_space:  global
        .offset:         32
        .size:           8
        .value_kind:     global_buffer
      - .actual_access:  read_only
        .address_space:  global
        .offset:         40
        .size:           8
        .value_kind:     global_buffer
      - .actual_access:  read_only
        .address_space:  global
        .offset:         48
        .size:           8
        .value_kind:     global_buffer
      - .actual_access:  read_only
        .address_space:  global
        .offset:         56
        .size:           8
        .value_kind:     global_buffer
      - .actual_access:  read_only
        .address_space:  global
        .offset:         64
        .size:           8
        .value_kind:     global_buffer
      - .offset:         72
        .size:           8
        .value_kind:     by_value
      - .address_space:  global
        .offset:         80
        .size:           8
        .value_kind:     global_buffer
      - .offset:         88
        .size:           4
        .value_kind:     by_value
      - .offset:         92
        .size:           1
        .value_kind:     by_value
    .group_segment_fixed_size: 0
    .kernarg_segment_align: 8
    .kernarg_segment_size: 96
    .language:       OpenCL C
    .language_version:
      - 2
      - 0
    .max_flat_workgroup_size: 128
    .name:           _ZN9rocsparseL18bsrxmvn_4x4_kernelILj128ELj16EdiifddEEvT3_20rocsparse_direction_NS_24const_host_device_scalarIT1_EES1_PKS1_PKT2_SA_S7_PKT4_PKT5_S5_PT6_21rocsparse_index_base_b
    .private_segment_fixed_size: 0
    .sgpr_count:     16
    .sgpr_spill_count: 0
    .symbol:         _ZN9rocsparseL18bsrxmvn_4x4_kernelILj128ELj16EdiifddEEvT3_20rocsparse_direction_NS_24const_host_device_scalarIT1_EES1_PKS1_PKT2_SA_S7_PKT4_PKT5_S5_PT6_21rocsparse_index_base_b.kd
    .uniform_work_group_size: 1
    .uses_dynamic_stack: false
    .vgpr_count:     105
    .vgpr_spill_count: 0
    .wavefront_size: 32
    .workgroup_processor_mode: 1
  - .args:
      - .offset:         0
        .size:           4
        .value_kind:     by_value
      - .offset:         4
        .size:           4
        .value_kind:     by_value
      - .offset:         8
        .size:           8
        .value_kind:     by_value
      - .offset:         16
        .size:           4
        .value_kind:     by_value
      - .actual_access:  read_only
        .address_space:  global
        .offset:         24
        .size:           8
        .value_kind:     global_buffer
      - .actual_access:  read_only
        .address_space:  global
        .offset:         32
        .size:           8
        .value_kind:     global_buffer
      - .actual_access:  read_only
        .address_space:  global
        .offset:         40
        .size:           8
        .value_kind:     global_buffer
      - .actual_access:  read_only
        .address_space:  global
        .offset:         48
        .size:           8
        .value_kind:     global_buffer
      - .actual_access:  read_only
        .address_space:  global
        .offset:         56
        .size:           8
        .value_kind:     global_buffer
      - .actual_access:  read_only
        .address_space:  global
        .offset:         64
        .size:           8
        .value_kind:     global_buffer
      - .offset:         72
        .size:           8
        .value_kind:     by_value
      - .address_space:  global
        .offset:         80
        .size:           8
        .value_kind:     global_buffer
      - .offset:         88
        .size:           4
        .value_kind:     by_value
      - .offset:         92
        .size:           1
        .value_kind:     by_value
    .group_segment_fixed_size: 0
    .kernarg_segment_align: 8
    .kernarg_segment_size: 96
    .language:       OpenCL C
    .language_version:
      - 2
      - 0
    .max_flat_workgroup_size: 128
    .name:           _ZN9rocsparseL18bsrxmvn_4x4_kernelILj128ELj32EdiifddEEvT3_20rocsparse_direction_NS_24const_host_device_scalarIT1_EES1_PKS1_PKT2_SA_S7_PKT4_PKT5_S5_PT6_21rocsparse_index_base_b
    .private_segment_fixed_size: 0
    .sgpr_count:     16
    .sgpr_spill_count: 0
    .symbol:         _ZN9rocsparseL18bsrxmvn_4x4_kernelILj128ELj32EdiifddEEvT3_20rocsparse_direction_NS_24const_host_device_scalarIT1_EES1_PKS1_PKT2_SA_S7_PKT4_PKT5_S5_PT6_21rocsparse_index_base_b.kd
    .uniform_work_group_size: 1
    .uses_dynamic_stack: false
    .vgpr_count:     105
    .vgpr_spill_count: 0
    .wavefront_size: 32
    .workgroup_processor_mode: 1
  - .args:
      - .offset:         0
        .size:           4
        .value_kind:     by_value
      - .offset:         4
        .size:           4
        .value_kind:     by_value
      - .offset:         8
        .size:           8
        .value_kind:     by_value
      - .offset:         16
        .size:           4
        .value_kind:     by_value
      - .actual_access:  read_only
        .address_space:  global
        .offset:         24
        .size:           8
        .value_kind:     global_buffer
      - .actual_access:  read_only
        .address_space:  global
        .offset:         32
        .size:           8
        .value_kind:     global_buffer
      - .actual_access:  read_only
        .address_space:  global
        .offset:         40
        .size:           8
        .value_kind:     global_buffer
      - .actual_access:  read_only
        .address_space:  global
        .offset:         48
        .size:           8
        .value_kind:     global_buffer
      - .actual_access:  read_only
        .address_space:  global
        .offset:         56
        .size:           8
        .value_kind:     global_buffer
      - .actual_access:  read_only
        .address_space:  global
        .offset:         64
        .size:           8
        .value_kind:     global_buffer
      - .offset:         72
        .size:           8
        .value_kind:     by_value
      - .address_space:  global
        .offset:         80
        .size:           8
        .value_kind:     global_buffer
      - .offset:         88
        .size:           4
        .value_kind:     by_value
      - .offset:         92
        .size:           1
        .value_kind:     by_value
    .group_segment_fixed_size: 0
    .kernarg_segment_align: 8
    .kernarg_segment_size: 96
    .language:       OpenCL C
    .language_version:
      - 2
      - 0
    .max_flat_workgroup_size: 128
    .name:           _ZN9rocsparseL18bsrxmvn_4x4_kernelILj128ELj64EdiifddEEvT3_20rocsparse_direction_NS_24const_host_device_scalarIT1_EES1_PKS1_PKT2_SA_S7_PKT4_PKT5_S5_PT6_21rocsparse_index_base_b
    .private_segment_fixed_size: 0
    .sgpr_count:     16
    .sgpr_spill_count: 0
    .symbol:         _ZN9rocsparseL18bsrxmvn_4x4_kernelILj128ELj64EdiifddEEvT3_20rocsparse_direction_NS_24const_host_device_scalarIT1_EES1_PKS1_PKT2_SA_S7_PKT4_PKT5_S5_PT6_21rocsparse_index_base_b.kd
    .uniform_work_group_size: 1
    .uses_dynamic_stack: false
    .vgpr_count:     105
    .vgpr_spill_count: 0
    .wavefront_size: 32
    .workgroup_processor_mode: 1
  - .args:
      - .offset:         0
        .size:           4
        .value_kind:     by_value
      - .offset:         4
        .size:           4
        .value_kind:     by_value
      - .offset:         8
        .size:           8
        .value_kind:     by_value
      - .offset:         16
        .size:           4
        .value_kind:     by_value
      - .actual_access:  read_only
        .address_space:  global
        .offset:         24
        .size:           8
        .value_kind:     global_buffer
      - .actual_access:  read_only
        .address_space:  global
        .offset:         32
        .size:           8
        .value_kind:     global_buffer
      - .actual_access:  read_only
        .address_space:  global
        .offset:         40
        .size:           8
        .value_kind:     global_buffer
      - .actual_access:  read_only
        .address_space:  global
        .offset:         48
        .size:           8
        .value_kind:     global_buffer
      - .actual_access:  read_only
        .address_space:  global
        .offset:         56
        .size:           8
        .value_kind:     global_buffer
      - .actual_access:  read_only
        .address_space:  global
        .offset:         64
        .size:           8
        .value_kind:     global_buffer
      - .offset:         72
        .size:           8
        .value_kind:     by_value
      - .address_space:  global
        .offset:         80
        .size:           8
        .value_kind:     global_buffer
      - .offset:         88
        .size:           4
        .value_kind:     by_value
      - .offset:         92
        .size:           1
        .value_kind:     by_value
    .group_segment_fixed_size: 0
    .kernarg_segment_align: 8
    .kernarg_segment_size: 96
    .language:       OpenCL C
    .language_version:
      - 2
      - 0
    .max_flat_workgroup_size: 128
    .name:           _ZN9rocsparseL18bsrxmvn_4x4_kernelILj128ELj4EdlifddEEvT3_20rocsparse_direction_NS_24const_host_device_scalarIT1_EES1_PKS1_PKT2_SA_S7_PKT4_PKT5_S5_PT6_21rocsparse_index_base_b
    .private_segment_fixed_size: 0
    .sgpr_count:     16
    .sgpr_spill_count: 0
    .symbol:         _ZN9rocsparseL18bsrxmvn_4x4_kernelILj128ELj4EdlifddEEvT3_20rocsparse_direction_NS_24const_host_device_scalarIT1_EES1_PKS1_PKT2_SA_S7_PKT4_PKT5_S5_PT6_21rocsparse_index_base_b.kd
    .uniform_work_group_size: 1
    .uses_dynamic_stack: false
    .vgpr_count:     112
    .vgpr_spill_count: 0
    .wavefront_size: 32
    .workgroup_processor_mode: 1
  - .args:
      - .offset:         0
        .size:           4
        .value_kind:     by_value
      - .offset:         4
        .size:           4
        .value_kind:     by_value
      - .offset:         8
        .size:           8
        .value_kind:     by_value
      - .offset:         16
        .size:           4
        .value_kind:     by_value
      - .actual_access:  read_only
        .address_space:  global
        .offset:         24
        .size:           8
        .value_kind:     global_buffer
      - .actual_access:  read_only
        .address_space:  global
        .offset:         32
        .size:           8
        .value_kind:     global_buffer
      - .actual_access:  read_only
        .address_space:  global
        .offset:         40
        .size:           8
        .value_kind:     global_buffer
      - .actual_access:  read_only
        .address_space:  global
        .offset:         48
        .size:           8
        .value_kind:     global_buffer
      - .actual_access:  read_only
        .address_space:  global
        .offset:         56
        .size:           8
        .value_kind:     global_buffer
      - .actual_access:  read_only
        .address_space:  global
        .offset:         64
        .size:           8
        .value_kind:     global_buffer
      - .offset:         72
        .size:           8
        .value_kind:     by_value
      - .address_space:  global
        .offset:         80
        .size:           8
        .value_kind:     global_buffer
      - .offset:         88
        .size:           4
        .value_kind:     by_value
      - .offset:         92
        .size:           1
        .value_kind:     by_value
    .group_segment_fixed_size: 0
    .kernarg_segment_align: 8
    .kernarg_segment_size: 96
    .language:       OpenCL C
    .language_version:
      - 2
      - 0
    .max_flat_workgroup_size: 128
    .name:           _ZN9rocsparseL18bsrxmvn_4x4_kernelILj128ELj8EdlifddEEvT3_20rocsparse_direction_NS_24const_host_device_scalarIT1_EES1_PKS1_PKT2_SA_S7_PKT4_PKT5_S5_PT6_21rocsparse_index_base_b
    .private_segment_fixed_size: 0
    .sgpr_count:     16
    .sgpr_spill_count: 0
    .symbol:         _ZN9rocsparseL18bsrxmvn_4x4_kernelILj128ELj8EdlifddEEvT3_20rocsparse_direction_NS_24const_host_device_scalarIT1_EES1_PKS1_PKT2_SA_S7_PKT4_PKT5_S5_PT6_21rocsparse_index_base_b.kd
    .uniform_work_group_size: 1
    .uses_dynamic_stack: false
    .vgpr_count:     112
    .vgpr_spill_count: 0
    .wavefront_size: 32
    .workgroup_processor_mode: 1
  - .args:
      - .offset:         0
        .size:           4
        .value_kind:     by_value
      - .offset:         4
        .size:           4
        .value_kind:     by_value
      - .offset:         8
        .size:           8
        .value_kind:     by_value
      - .offset:         16
        .size:           4
        .value_kind:     by_value
      - .actual_access:  read_only
        .address_space:  global
        .offset:         24
        .size:           8
        .value_kind:     global_buffer
      - .actual_access:  read_only
        .address_space:  global
        .offset:         32
        .size:           8
        .value_kind:     global_buffer
      - .actual_access:  read_only
        .address_space:  global
        .offset:         40
        .size:           8
        .value_kind:     global_buffer
      - .actual_access:  read_only
        .address_space:  global
        .offset:         48
        .size:           8
        .value_kind:     global_buffer
      - .actual_access:  read_only
        .address_space:  global
        .offset:         56
        .size:           8
        .value_kind:     global_buffer
      - .actual_access:  read_only
        .address_space:  global
        .offset:         64
        .size:           8
        .value_kind:     global_buffer
      - .offset:         72
        .size:           8
        .value_kind:     by_value
      - .address_space:  global
        .offset:         80
        .size:           8
        .value_kind:     global_buffer
      - .offset:         88
        .size:           4
        .value_kind:     by_value
      - .offset:         92
        .size:           1
        .value_kind:     by_value
    .group_segment_fixed_size: 0
    .kernarg_segment_align: 8
    .kernarg_segment_size: 96
    .language:       OpenCL C
    .language_version:
      - 2
      - 0
    .max_flat_workgroup_size: 128
    .name:           _ZN9rocsparseL18bsrxmvn_4x4_kernelILj128ELj16EdlifddEEvT3_20rocsparse_direction_NS_24const_host_device_scalarIT1_EES1_PKS1_PKT2_SA_S7_PKT4_PKT5_S5_PT6_21rocsparse_index_base_b
    .private_segment_fixed_size: 0
    .sgpr_count:     16
    .sgpr_spill_count: 0
    .symbol:         _ZN9rocsparseL18bsrxmvn_4x4_kernelILj128ELj16EdlifddEEvT3_20rocsparse_direction_NS_24const_host_device_scalarIT1_EES1_PKS1_PKT2_SA_S7_PKT4_PKT5_S5_PT6_21rocsparse_index_base_b.kd
    .uniform_work_group_size: 1
    .uses_dynamic_stack: false
    .vgpr_count:     112
    .vgpr_spill_count: 0
    .wavefront_size: 32
    .workgroup_processor_mode: 1
  - .args:
      - .offset:         0
        .size:           4
        .value_kind:     by_value
      - .offset:         4
        .size:           4
        .value_kind:     by_value
      - .offset:         8
        .size:           8
        .value_kind:     by_value
      - .offset:         16
        .size:           4
        .value_kind:     by_value
      - .actual_access:  read_only
        .address_space:  global
        .offset:         24
        .size:           8
        .value_kind:     global_buffer
      - .actual_access:  read_only
        .address_space:  global
        .offset:         32
        .size:           8
        .value_kind:     global_buffer
      - .actual_access:  read_only
        .address_space:  global
        .offset:         40
        .size:           8
        .value_kind:     global_buffer
      - .actual_access:  read_only
        .address_space:  global
        .offset:         48
        .size:           8
        .value_kind:     global_buffer
      - .actual_access:  read_only
        .address_space:  global
        .offset:         56
        .size:           8
        .value_kind:     global_buffer
      - .actual_access:  read_only
        .address_space:  global
        .offset:         64
        .size:           8
        .value_kind:     global_buffer
      - .offset:         72
        .size:           8
        .value_kind:     by_value
      - .address_space:  global
        .offset:         80
        .size:           8
        .value_kind:     global_buffer
      - .offset:         88
        .size:           4
        .value_kind:     by_value
      - .offset:         92
        .size:           1
        .value_kind:     by_value
    .group_segment_fixed_size: 0
    .kernarg_segment_align: 8
    .kernarg_segment_size: 96
    .language:       OpenCL C
    .language_version:
      - 2
      - 0
    .max_flat_workgroup_size: 128
    .name:           _ZN9rocsparseL18bsrxmvn_4x4_kernelILj128ELj32EdlifddEEvT3_20rocsparse_direction_NS_24const_host_device_scalarIT1_EES1_PKS1_PKT2_SA_S7_PKT4_PKT5_S5_PT6_21rocsparse_index_base_b
    .private_segment_fixed_size: 0
    .sgpr_count:     16
    .sgpr_spill_count: 0
    .symbol:         _ZN9rocsparseL18bsrxmvn_4x4_kernelILj128ELj32EdlifddEEvT3_20rocsparse_direction_NS_24const_host_device_scalarIT1_EES1_PKS1_PKT2_SA_S7_PKT4_PKT5_S5_PT6_21rocsparse_index_base_b.kd
    .uniform_work_group_size: 1
    .uses_dynamic_stack: false
    .vgpr_count:     112
    .vgpr_spill_count: 0
    .wavefront_size: 32
    .workgroup_processor_mode: 1
  - .args:
      - .offset:         0
        .size:           4
        .value_kind:     by_value
      - .offset:         4
        .size:           4
        .value_kind:     by_value
      - .offset:         8
        .size:           8
        .value_kind:     by_value
      - .offset:         16
        .size:           4
        .value_kind:     by_value
      - .actual_access:  read_only
        .address_space:  global
        .offset:         24
        .size:           8
        .value_kind:     global_buffer
      - .actual_access:  read_only
        .address_space:  global
        .offset:         32
        .size:           8
        .value_kind:     global_buffer
      - .actual_access:  read_only
        .address_space:  global
        .offset:         40
        .size:           8
        .value_kind:     global_buffer
      - .actual_access:  read_only
        .address_space:  global
        .offset:         48
        .size:           8
        .value_kind:     global_buffer
      - .actual_access:  read_only
        .address_space:  global
        .offset:         56
        .size:           8
        .value_kind:     global_buffer
      - .actual_access:  read_only
        .address_space:  global
        .offset:         64
        .size:           8
        .value_kind:     global_buffer
      - .offset:         72
        .size:           8
        .value_kind:     by_value
      - .address_space:  global
        .offset:         80
        .size:           8
        .value_kind:     global_buffer
      - .offset:         88
        .size:           4
        .value_kind:     by_value
      - .offset:         92
        .size:           1
        .value_kind:     by_value
    .group_segment_fixed_size: 0
    .kernarg_segment_align: 8
    .kernarg_segment_size: 96
    .language:       OpenCL C
    .language_version:
      - 2
      - 0
    .max_flat_workgroup_size: 128
    .name:           _ZN9rocsparseL18bsrxmvn_4x4_kernelILj128ELj64EdlifddEEvT3_20rocsparse_direction_NS_24const_host_device_scalarIT1_EES1_PKS1_PKT2_SA_S7_PKT4_PKT5_S5_PT6_21rocsparse_index_base_b
    .private_segment_fixed_size: 0
    .sgpr_count:     16
    .sgpr_spill_count: 0
    .symbol:         _ZN9rocsparseL18bsrxmvn_4x4_kernelILj128ELj64EdlifddEEvT3_20rocsparse_direction_NS_24const_host_device_scalarIT1_EES1_PKS1_PKT2_SA_S7_PKT4_PKT5_S5_PT6_21rocsparse_index_base_b.kd
    .uniform_work_group_size: 1
    .uses_dynamic_stack: false
    .vgpr_count:     112
    .vgpr_spill_count: 0
    .wavefront_size: 32
    .workgroup_processor_mode: 1
  - .args:
      - .offset:         0
        .size:           8
        .value_kind:     by_value
      - .offset:         8
        .size:           4
        .value_kind:     by_value
      - .offset:         16
        .size:           8
        .value_kind:     by_value
      - .offset:         24
        .size:           8
        .value_kind:     by_value
      - .actual_access:  read_only
        .address_space:  global
        .offset:         32
        .size:           8
        .value_kind:     global_buffer
      - .actual_access:  read_only
        .address_space:  global
        .offset:         40
        .size:           8
        .value_kind:     global_buffer
      - .actual_access:  read_only
        .address_space:  global
        .offset:         48
        .size:           8
        .value_kind:     global_buffer
      - .actual_access:  read_only
        .address_space:  global
        .offset:         56
        .size:           8
        .value_kind:     global_buffer
      - .actual_access:  read_only
        .address_space:  global
        .offset:         64
        .size:           8
        .value_kind:     global_buffer
      - .actual_access:  read_only
        .address_space:  global
        .offset:         72
        .size:           8
        .value_kind:     global_buffer
      - .offset:         80
        .size:           8
        .value_kind:     by_value
      - .address_space:  global
        .offset:         88
        .size:           8
        .value_kind:     global_buffer
      - .offset:         96
        .size:           4
        .value_kind:     by_value
      - .offset:         100
        .size:           1
        .value_kind:     by_value
    .group_segment_fixed_size: 0
    .kernarg_segment_align: 8
    .kernarg_segment_size: 104
    .language:       OpenCL C
    .language_version:
      - 2
      - 0
    .max_flat_workgroup_size: 128
    .name:           _ZN9rocsparseL18bsrxmvn_4x4_kernelILj128ELj4EdllfddEEvT3_20rocsparse_direction_NS_24const_host_device_scalarIT1_EES1_PKS1_PKT2_SA_S7_PKT4_PKT5_S5_PT6_21rocsparse_index_base_b
    .private_segment_fixed_size: 0
    .sgpr_count:     14
    .sgpr_spill_count: 0
    .symbol:         _ZN9rocsparseL18bsrxmvn_4x4_kernelILj128ELj4EdllfddEEvT3_20rocsparse_direction_NS_24const_host_device_scalarIT1_EES1_PKS1_PKT2_SA_S7_PKT4_PKT5_S5_PT6_21rocsparse_index_base_b.kd
    .uniform_work_group_size: 1
    .uses_dynamic_stack: false
    .vgpr_count:     115
    .vgpr_spill_count: 0
    .wavefront_size: 32
    .workgroup_processor_mode: 1
  - .args:
      - .offset:         0
        .size:           8
        .value_kind:     by_value
      - .offset:         8
        .size:           4
        .value_kind:     by_value
      - .offset:         16
        .size:           8
        .value_kind:     by_value
      - .offset:         24
        .size:           8
        .value_kind:     by_value
      - .actual_access:  read_only
        .address_space:  global
        .offset:         32
        .size:           8
        .value_kind:     global_buffer
      - .actual_access:  read_only
        .address_space:  global
        .offset:         40
        .size:           8
        .value_kind:     global_buffer
      - .actual_access:  read_only
        .address_space:  global
        .offset:         48
        .size:           8
        .value_kind:     global_buffer
      - .actual_access:  read_only
        .address_space:  global
        .offset:         56
        .size:           8
        .value_kind:     global_buffer
      - .actual_access:  read_only
        .address_space:  global
        .offset:         64
        .size:           8
        .value_kind:     global_buffer
      - .actual_access:  read_only
        .address_space:  global
        .offset:         72
        .size:           8
        .value_kind:     global_buffer
      - .offset:         80
        .size:           8
        .value_kind:     by_value
      - .address_space:  global
        .offset:         88
        .size:           8
        .value_kind:     global_buffer
      - .offset:         96
        .size:           4
        .value_kind:     by_value
      - .offset:         100
        .size:           1
        .value_kind:     by_value
    .group_segment_fixed_size: 0
    .kernarg_segment_align: 8
    .kernarg_segment_size: 104
    .language:       OpenCL C
    .language_version:
      - 2
      - 0
    .max_flat_workgroup_size: 128
    .name:           _ZN9rocsparseL18bsrxmvn_4x4_kernelILj128ELj8EdllfddEEvT3_20rocsparse_direction_NS_24const_host_device_scalarIT1_EES1_PKS1_PKT2_SA_S7_PKT4_PKT5_S5_PT6_21rocsparse_index_base_b
    .private_segment_fixed_size: 0
    .sgpr_count:     14
    .sgpr_spill_count: 0
    .symbol:         _ZN9rocsparseL18bsrxmvn_4x4_kernelILj128ELj8EdllfddEEvT3_20rocsparse_direction_NS_24const_host_device_scalarIT1_EES1_PKS1_PKT2_SA_S7_PKT4_PKT5_S5_PT6_21rocsparse_index_base_b.kd
    .uniform_work_group_size: 1
    .uses_dynamic_stack: false
    .vgpr_count:     115
    .vgpr_spill_count: 0
    .wavefront_size: 32
    .workgroup_processor_mode: 1
  - .args:
      - .offset:         0
        .size:           8
        .value_kind:     by_value
      - .offset:         8
        .size:           4
        .value_kind:     by_value
      - .offset:         16
        .size:           8
        .value_kind:     by_value
      - .offset:         24
        .size:           8
        .value_kind:     by_value
      - .actual_access:  read_only
        .address_space:  global
        .offset:         32
        .size:           8
        .value_kind:     global_buffer
      - .actual_access:  read_only
        .address_space:  global
        .offset:         40
        .size:           8
        .value_kind:     global_buffer
      - .actual_access:  read_only
        .address_space:  global
        .offset:         48
        .size:           8
        .value_kind:     global_buffer
      - .actual_access:  read_only
        .address_space:  global
        .offset:         56
        .size:           8
        .value_kind:     global_buffer
      - .actual_access:  read_only
        .address_space:  global
        .offset:         64
        .size:           8
        .value_kind:     global_buffer
      - .actual_access:  read_only
        .address_space:  global
        .offset:         72
        .size:           8
        .value_kind:     global_buffer
      - .offset:         80
        .size:           8
        .value_kind:     by_value
      - .address_space:  global
        .offset:         88
        .size:           8
        .value_kind:     global_buffer
      - .offset:         96
        .size:           4
        .value_kind:     by_value
      - .offset:         100
        .size:           1
        .value_kind:     by_value
    .group_segment_fixed_size: 0
    .kernarg_segment_align: 8
    .kernarg_segment_size: 104
    .language:       OpenCL C
    .language_version:
      - 2
      - 0
    .max_flat_workgroup_size: 128
    .name:           _ZN9rocsparseL18bsrxmvn_4x4_kernelILj128ELj16EdllfddEEvT3_20rocsparse_direction_NS_24const_host_device_scalarIT1_EES1_PKS1_PKT2_SA_S7_PKT4_PKT5_S5_PT6_21rocsparse_index_base_b
    .private_segment_fixed_size: 0
    .sgpr_count:     14
    .sgpr_spill_count: 0
    .symbol:         _ZN9rocsparseL18bsrxmvn_4x4_kernelILj128ELj16EdllfddEEvT3_20rocsparse_direction_NS_24const_host_device_scalarIT1_EES1_PKS1_PKT2_SA_S7_PKT4_PKT5_S5_PT6_21rocsparse_index_base_b.kd
    .uniform_work_group_size: 1
    .uses_dynamic_stack: false
    .vgpr_count:     115
    .vgpr_spill_count: 0
    .wavefront_size: 32
    .workgroup_processor_mode: 1
  - .args:
      - .offset:         0
        .size:           8
        .value_kind:     by_value
      - .offset:         8
        .size:           4
        .value_kind:     by_value
      - .offset:         16
        .size:           8
        .value_kind:     by_value
      - .offset:         24
        .size:           8
        .value_kind:     by_value
      - .actual_access:  read_only
        .address_space:  global
        .offset:         32
        .size:           8
        .value_kind:     global_buffer
      - .actual_access:  read_only
        .address_space:  global
        .offset:         40
        .size:           8
        .value_kind:     global_buffer
      - .actual_access:  read_only
        .address_space:  global
        .offset:         48
        .size:           8
        .value_kind:     global_buffer
      - .actual_access:  read_only
        .address_space:  global
        .offset:         56
        .size:           8
        .value_kind:     global_buffer
      - .actual_access:  read_only
        .address_space:  global
        .offset:         64
        .size:           8
        .value_kind:     global_buffer
      - .actual_access:  read_only
        .address_space:  global
        .offset:         72
        .size:           8
        .value_kind:     global_buffer
      - .offset:         80
        .size:           8
        .value_kind:     by_value
      - .address_space:  global
        .offset:         88
        .size:           8
        .value_kind:     global_buffer
      - .offset:         96
        .size:           4
        .value_kind:     by_value
      - .offset:         100
        .size:           1
        .value_kind:     by_value
    .group_segment_fixed_size: 0
    .kernarg_segment_align: 8
    .kernarg_segment_size: 104
    .language:       OpenCL C
    .language_version:
      - 2
      - 0
    .max_flat_workgroup_size: 128
    .name:           _ZN9rocsparseL18bsrxmvn_4x4_kernelILj128ELj32EdllfddEEvT3_20rocsparse_direction_NS_24const_host_device_scalarIT1_EES1_PKS1_PKT2_SA_S7_PKT4_PKT5_S5_PT6_21rocsparse_index_base_b
    .private_segment_fixed_size: 0
    .sgpr_count:     14
    .sgpr_spill_count: 0
    .symbol:         _ZN9rocsparseL18bsrxmvn_4x4_kernelILj128ELj32EdllfddEEvT3_20rocsparse_direction_NS_24const_host_device_scalarIT1_EES1_PKS1_PKT2_SA_S7_PKT4_PKT5_S5_PT6_21rocsparse_index_base_b.kd
    .uniform_work_group_size: 1
    .uses_dynamic_stack: false
    .vgpr_count:     115
    .vgpr_spill_count: 0
    .wavefront_size: 32
    .workgroup_processor_mode: 1
  - .args:
      - .offset:         0
        .size:           8
        .value_kind:     by_value
      - .offset:         8
        .size:           4
        .value_kind:     by_value
      - .offset:         16
        .size:           8
        .value_kind:     by_value
      - .offset:         24
        .size:           8
        .value_kind:     by_value
      - .actual_access:  read_only
        .address_space:  global
        .offset:         32
        .size:           8
        .value_kind:     global_buffer
      - .actual_access:  read_only
        .address_space:  global
        .offset:         40
        .size:           8
        .value_kind:     global_buffer
      - .actual_access:  read_only
        .address_space:  global
        .offset:         48
        .size:           8
        .value_kind:     global_buffer
      - .actual_access:  read_only
        .address_space:  global
        .offset:         56
        .size:           8
        .value_kind:     global_buffer
      - .actual_access:  read_only
        .address_space:  global
        .offset:         64
        .size:           8
        .value_kind:     global_buffer
      - .actual_access:  read_only
        .address_space:  global
        .offset:         72
        .size:           8
        .value_kind:     global_buffer
      - .offset:         80
        .size:           8
        .value_kind:     by_value
      - .address_space:  global
        .offset:         88
        .size:           8
        .value_kind:     global_buffer
      - .offset:         96
        .size:           4
        .value_kind:     by_value
      - .offset:         100
        .size:           1
        .value_kind:     by_value
    .group_segment_fixed_size: 0
    .kernarg_segment_align: 8
    .kernarg_segment_size: 104
    .language:       OpenCL C
    .language_version:
      - 2
      - 0
    .max_flat_workgroup_size: 128
    .name:           _ZN9rocsparseL18bsrxmvn_4x4_kernelILj128ELj64EdllfddEEvT3_20rocsparse_direction_NS_24const_host_device_scalarIT1_EES1_PKS1_PKT2_SA_S7_PKT4_PKT5_S5_PT6_21rocsparse_index_base_b
    .private_segment_fixed_size: 0
    .sgpr_count:     14
    .sgpr_spill_count: 0
    .symbol:         _ZN9rocsparseL18bsrxmvn_4x4_kernelILj128ELj64EdllfddEEvT3_20rocsparse_direction_NS_24const_host_device_scalarIT1_EES1_PKS1_PKT2_SA_S7_PKT4_PKT5_S5_PT6_21rocsparse_index_base_b.kd
    .uniform_work_group_size: 1
    .uses_dynamic_stack: false
    .vgpr_count:     115
    .vgpr_spill_count: 0
    .wavefront_size: 32
    .workgroup_processor_mode: 1
  - .args:
      - .offset:         0
        .size:           4
        .value_kind:     by_value
      - .offset:         4
        .size:           4
        .value_kind:     by_value
      - .offset:         8
        .size:           16
        .value_kind:     by_value
      - .offset:         24
        .size:           4
        .value_kind:     by_value
      - .actual_access:  read_only
        .address_space:  global
        .offset:         32
        .size:           8
        .value_kind:     global_buffer
      - .actual_access:  read_only
        .address_space:  global
        .offset:         40
        .size:           8
        .value_kind:     global_buffer
      - .actual_access:  read_only
        .address_space:  global
        .offset:         48
        .size:           8
        .value_kind:     global_buffer
      - .actual_access:  read_only
        .address_space:  global
        .offset:         56
        .size:           8
        .value_kind:     global_buffer
      - .actual_access:  read_only
        .address_space:  global
        .offset:         64
        .size:           8
        .value_kind:     global_buffer
      - .actual_access:  read_only
        .address_space:  global
        .offset:         72
        .size:           8
        .value_kind:     global_buffer
      - .offset:         80
        .size:           16
        .value_kind:     by_value
      - .address_space:  global
        .offset:         96
        .size:           8
        .value_kind:     global_buffer
      - .offset:         104
        .size:           4
        .value_kind:     by_value
      - .offset:         108
        .size:           1
        .value_kind:     by_value
    .group_segment_fixed_size: 0
    .kernarg_segment_align: 8
    .kernarg_segment_size: 112
    .language:       OpenCL C
    .language_version:
      - 2
      - 0
    .max_flat_workgroup_size: 128
    .name:           _ZN9rocsparseL18bsrxmvn_4x4_kernelILj128ELj4E21rocsparse_complex_numIdEiiS1_IfES2_S2_EEvT3_20rocsparse_direction_NS_24const_host_device_scalarIT1_EES4_PKS4_PKT2_SD_SA_PKT4_PKT5_S8_PT6_21rocsparse_index_base_b
    .private_segment_fixed_size: 0
    .sgpr_count:     16
    .sgpr_spill_count: 0
    .symbol:         _ZN9rocsparseL18bsrxmvn_4x4_kernelILj128ELj4E21rocsparse_complex_numIdEiiS1_IfES2_S2_EEvT3_20rocsparse_direction_NS_24const_host_device_scalarIT1_EES4_PKS4_PKT2_SD_SA_PKT4_PKT5_S8_PT6_21rocsparse_index_base_b.kd
    .uniform_work_group_size: 1
    .uses_dynamic_stack: false
    .vgpr_count:     129
    .vgpr_spill_count: 0
    .wavefront_size: 32
    .workgroup_processor_mode: 1
  - .args:
      - .offset:         0
        .size:           4
        .value_kind:     by_value
      - .offset:         4
        .size:           4
        .value_kind:     by_value
      - .offset:         8
        .size:           16
        .value_kind:     by_value
      - .offset:         24
        .size:           4
        .value_kind:     by_value
      - .actual_access:  read_only
        .address_space:  global
        .offset:         32
        .size:           8
        .value_kind:     global_buffer
      - .actual_access:  read_only
        .address_space:  global
        .offset:         40
        .size:           8
        .value_kind:     global_buffer
      - .actual_access:  read_only
        .address_space:  global
        .offset:         48
        .size:           8
        .value_kind:     global_buffer
      - .actual_access:  read_only
        .address_space:  global
        .offset:         56
        .size:           8
        .value_kind:     global_buffer
      - .actual_access:  read_only
        .address_space:  global
        .offset:         64
        .size:           8
        .value_kind:     global_buffer
      - .actual_access:  read_only
        .address_space:  global
        .offset:         72
        .size:           8
        .value_kind:     global_buffer
      - .offset:         80
        .size:           16
        .value_kind:     by_value
      - .address_space:  global
        .offset:         96
        .size:           8
        .value_kind:     global_buffer
      - .offset:         104
        .size:           4
        .value_kind:     by_value
      - .offset:         108
        .size:           1
        .value_kind:     by_value
    .group_segment_fixed_size: 0
    .kernarg_segment_align: 8
    .kernarg_segment_size: 112
    .language:       OpenCL C
    .language_version:
      - 2
      - 0
    .max_flat_workgroup_size: 128
    .name:           _ZN9rocsparseL18bsrxmvn_4x4_kernelILj128ELj8E21rocsparse_complex_numIdEiiS1_IfES2_S2_EEvT3_20rocsparse_direction_NS_24const_host_device_scalarIT1_EES4_PKS4_PKT2_SD_SA_PKT4_PKT5_S8_PT6_21rocsparse_index_base_b
    .private_segment_fixed_size: 0
    .sgpr_count:     16
    .sgpr_spill_count: 0
    .symbol:         _ZN9rocsparseL18bsrxmvn_4x4_kernelILj128ELj8E21rocsparse_complex_numIdEiiS1_IfES2_S2_EEvT3_20rocsparse_direction_NS_24const_host_device_scalarIT1_EES4_PKS4_PKT2_SD_SA_PKT4_PKT5_S8_PT6_21rocsparse_index_base_b.kd
    .uniform_work_group_size: 1
    .uses_dynamic_stack: false
    .vgpr_count:     129
    .vgpr_spill_count: 0
    .wavefront_size: 32
    .workgroup_processor_mode: 1
  - .args:
      - .offset:         0
        .size:           4
        .value_kind:     by_value
      - .offset:         4
        .size:           4
        .value_kind:     by_value
      - .offset:         8
        .size:           16
        .value_kind:     by_value
      - .offset:         24
        .size:           4
        .value_kind:     by_value
      - .actual_access:  read_only
        .address_space:  global
        .offset:         32
        .size:           8
        .value_kind:     global_buffer
      - .actual_access:  read_only
        .address_space:  global
        .offset:         40
        .size:           8
        .value_kind:     global_buffer
      - .actual_access:  read_only
        .address_space:  global
        .offset:         48
        .size:           8
        .value_kind:     global_buffer
      - .actual_access:  read_only
        .address_space:  global
        .offset:         56
        .size:           8
        .value_kind:     global_buffer
      - .actual_access:  read_only
        .address_space:  global
        .offset:         64
        .size:           8
        .value_kind:     global_buffer
      - .actual_access:  read_only
        .address_space:  global
        .offset:         72
        .size:           8
        .value_kind:     global_buffer
      - .offset:         80
        .size:           16
        .value_kind:     by_value
      - .address_space:  global
        .offset:         96
        .size:           8
        .value_kind:     global_buffer
      - .offset:         104
        .size:           4
        .value_kind:     by_value
      - .offset:         108
        .size:           1
        .value_kind:     by_value
    .group_segment_fixed_size: 0
    .kernarg_segment_align: 8
    .kernarg_segment_size: 112
    .language:       OpenCL C
    .language_version:
      - 2
      - 0
    .max_flat_workgroup_size: 128
    .name:           _ZN9rocsparseL18bsrxmvn_4x4_kernelILj128ELj16E21rocsparse_complex_numIdEiiS1_IfES2_S2_EEvT3_20rocsparse_direction_NS_24const_host_device_scalarIT1_EES4_PKS4_PKT2_SD_SA_PKT4_PKT5_S8_PT6_21rocsparse_index_base_b
    .private_segment_fixed_size: 0
    .sgpr_count:     16
    .sgpr_spill_count: 0
    .symbol:         _ZN9rocsparseL18bsrxmvn_4x4_kernelILj128ELj16E21rocsparse_complex_numIdEiiS1_IfES2_S2_EEvT3_20rocsparse_direction_NS_24const_host_device_scalarIT1_EES4_PKS4_PKT2_SD_SA_PKT4_PKT5_S8_PT6_21rocsparse_index_base_b.kd
    .uniform_work_group_size: 1
    .uses_dynamic_stack: false
    .vgpr_count:     129
    .vgpr_spill_count: 0
    .wavefront_size: 32
    .workgroup_processor_mode: 1
  - .args:
      - .offset:         0
        .size:           4
        .value_kind:     by_value
      - .offset:         4
        .size:           4
        .value_kind:     by_value
      - .offset:         8
        .size:           16
        .value_kind:     by_value
      - .offset:         24
        .size:           4
        .value_kind:     by_value
      - .actual_access:  read_only
        .address_space:  global
        .offset:         32
        .size:           8
        .value_kind:     global_buffer
      - .actual_access:  read_only
        .address_space:  global
        .offset:         40
        .size:           8
        .value_kind:     global_buffer
      - .actual_access:  read_only
        .address_space:  global
        .offset:         48
        .size:           8
        .value_kind:     global_buffer
      - .actual_access:  read_only
        .address_space:  global
        .offset:         56
        .size:           8
        .value_kind:     global_buffer
      - .actual_access:  read_only
        .address_space:  global
        .offset:         64
        .size:           8
        .value_kind:     global_buffer
      - .actual_access:  read_only
        .address_space:  global
        .offset:         72
        .size:           8
        .value_kind:     global_buffer
      - .offset:         80
        .size:           16
        .value_kind:     by_value
      - .address_space:  global
        .offset:         96
        .size:           8
        .value_kind:     global_buffer
      - .offset:         104
        .size:           4
        .value_kind:     by_value
      - .offset:         108
        .size:           1
        .value_kind:     by_value
    .group_segment_fixed_size: 0
    .kernarg_segment_align: 8
    .kernarg_segment_size: 112
    .language:       OpenCL C
    .language_version:
      - 2
      - 0
    .max_flat_workgroup_size: 128
    .name:           _ZN9rocsparseL18bsrxmvn_4x4_kernelILj128ELj32E21rocsparse_complex_numIdEiiS1_IfES2_S2_EEvT3_20rocsparse_direction_NS_24const_host_device_scalarIT1_EES4_PKS4_PKT2_SD_SA_PKT4_PKT5_S8_PT6_21rocsparse_index_base_b
    .private_segment_fixed_size: 0
    .sgpr_count:     16
    .sgpr_spill_count: 0
    .symbol:         _ZN9rocsparseL18bsrxmvn_4x4_kernelILj128ELj32E21rocsparse_complex_numIdEiiS1_IfES2_S2_EEvT3_20rocsparse_direction_NS_24const_host_device_scalarIT1_EES4_PKS4_PKT2_SD_SA_PKT4_PKT5_S8_PT6_21rocsparse_index_base_b.kd
    .uniform_work_group_size: 1
    .uses_dynamic_stack: false
    .vgpr_count:     129
    .vgpr_spill_count: 0
    .wavefront_size: 32
    .workgroup_processor_mode: 1
  - .args:
      - .offset:         0
        .size:           4
        .value_kind:     by_value
      - .offset:         4
        .size:           4
        .value_kind:     by_value
      - .offset:         8
        .size:           16
        .value_kind:     by_value
      - .offset:         24
        .size:           4
        .value_kind:     by_value
      - .actual_access:  read_only
        .address_space:  global
        .offset:         32
        .size:           8
        .value_kind:     global_buffer
      - .actual_access:  read_only
        .address_space:  global
        .offset:         40
        .size:           8
        .value_kind:     global_buffer
      - .actual_access:  read_only
        .address_space:  global
        .offset:         48
        .size:           8
        .value_kind:     global_buffer
      - .actual_access:  read_only
        .address_space:  global
        .offset:         56
        .size:           8
        .value_kind:     global_buffer
      - .actual_access:  read_only
        .address_space:  global
        .offset:         64
        .size:           8
        .value_kind:     global_buffer
      - .actual_access:  read_only
        .address_space:  global
        .offset:         72
        .size:           8
        .value_kind:     global_buffer
      - .offset:         80
        .size:           16
        .value_kind:     by_value
      - .address_space:  global
        .offset:         96
        .size:           8
        .value_kind:     global_buffer
      - .offset:         104
        .size:           4
        .value_kind:     by_value
      - .offset:         108
        .size:           1
        .value_kind:     by_value
    .group_segment_fixed_size: 0
    .kernarg_segment_align: 8
    .kernarg_segment_size: 112
    .language:       OpenCL C
    .language_version:
      - 2
      - 0
    .max_flat_workgroup_size: 128
    .name:           _ZN9rocsparseL18bsrxmvn_4x4_kernelILj128ELj64E21rocsparse_complex_numIdEiiS1_IfES2_S2_EEvT3_20rocsparse_direction_NS_24const_host_device_scalarIT1_EES4_PKS4_PKT2_SD_SA_PKT4_PKT5_S8_PT6_21rocsparse_index_base_b
    .private_segment_fixed_size: 0
    .sgpr_count:     16
    .sgpr_spill_count: 0
    .symbol:         _ZN9rocsparseL18bsrxmvn_4x4_kernelILj128ELj64E21rocsparse_complex_numIdEiiS1_IfES2_S2_EEvT3_20rocsparse_direction_NS_24const_host_device_scalarIT1_EES4_PKS4_PKT2_SD_SA_PKT4_PKT5_S8_PT6_21rocsparse_index_base_b.kd
    .uniform_work_group_size: 1
    .uses_dynamic_stack: false
    .vgpr_count:     129
    .vgpr_spill_count: 0
    .wavefront_size: 32
    .workgroup_processor_mode: 1
  - .args:
      - .offset:         0
        .size:           4
        .value_kind:     by_value
      - .offset:         4
        .size:           4
        .value_kind:     by_value
      - .offset:         8
        .size:           16
        .value_kind:     by_value
      - .offset:         24
        .size:           4
        .value_kind:     by_value
      - .actual_access:  read_only
        .address_space:  global
        .offset:         32
        .size:           8
        .value_kind:     global_buffer
      - .actual_access:  read_only
        .address_space:  global
        .offset:         40
        .size:           8
        .value_kind:     global_buffer
      - .actual_access:  read_only
        .address_space:  global
        .offset:         48
        .size:           8
        .value_kind:     global_buffer
      - .actual_access:  read_only
        .address_space:  global
        .offset:         56
        .size:           8
        .value_kind:     global_buffer
      - .actual_access:  read_only
        .address_space:  global
        .offset:         64
        .size:           8
        .value_kind:     global_buffer
      - .actual_access:  read_only
        .address_space:  global
        .offset:         72
        .size:           8
        .value_kind:     global_buffer
      - .offset:         80
        .size:           16
        .value_kind:     by_value
      - .address_space:  global
        .offset:         96
        .size:           8
        .value_kind:     global_buffer
      - .offset:         104
        .size:           4
        .value_kind:     by_value
      - .offset:         108
        .size:           1
        .value_kind:     by_value
    .group_segment_fixed_size: 0
    .kernarg_segment_align: 8
    .kernarg_segment_size: 112
    .language:       OpenCL C
    .language_version:
      - 2
      - 0
    .max_flat_workgroup_size: 128
    .name:           _ZN9rocsparseL18bsrxmvn_4x4_kernelILj128ELj4E21rocsparse_complex_numIdEliS1_IfES2_S2_EEvT3_20rocsparse_direction_NS_24const_host_device_scalarIT1_EES4_PKS4_PKT2_SD_SA_PKT4_PKT5_S8_PT6_21rocsparse_index_base_b
    .private_segment_fixed_size: 0
    .sgpr_count:     16
    .sgpr_spill_count: 0
    .symbol:         _ZN9rocsparseL18bsrxmvn_4x4_kernelILj128ELj4E21rocsparse_complex_numIdEliS1_IfES2_S2_EEvT3_20rocsparse_direction_NS_24const_host_device_scalarIT1_EES4_PKS4_PKT2_SD_SA_PKT4_PKT5_S8_PT6_21rocsparse_index_base_b.kd
    .uniform_work_group_size: 1
    .uses_dynamic_stack: false
    .vgpr_count:     135
    .vgpr_spill_count: 0
    .wavefront_size: 32
    .workgroup_processor_mode: 1
  - .args:
      - .offset:         0
        .size:           4
        .value_kind:     by_value
      - .offset:         4
        .size:           4
        .value_kind:     by_value
      - .offset:         8
        .size:           16
        .value_kind:     by_value
      - .offset:         24
        .size:           4
        .value_kind:     by_value
      - .actual_access:  read_only
        .address_space:  global
        .offset:         32
        .size:           8
        .value_kind:     global_buffer
      - .actual_access:  read_only
        .address_space:  global
        .offset:         40
        .size:           8
        .value_kind:     global_buffer
      - .actual_access:  read_only
        .address_space:  global
        .offset:         48
        .size:           8
        .value_kind:     global_buffer
      - .actual_access:  read_only
        .address_space:  global
        .offset:         56
        .size:           8
        .value_kind:     global_buffer
      - .actual_access:  read_only
        .address_space:  global
        .offset:         64
        .size:           8
        .value_kind:     global_buffer
      - .actual_access:  read_only
        .address_space:  global
        .offset:         72
        .size:           8
        .value_kind:     global_buffer
      - .offset:         80
        .size:           16
        .value_kind:     by_value
      - .address_space:  global
        .offset:         96
        .size:           8
        .value_kind:     global_buffer
      - .offset:         104
        .size:           4
        .value_kind:     by_value
      - .offset:         108
        .size:           1
        .value_kind:     by_value
    .group_segment_fixed_size: 0
    .kernarg_segment_align: 8
    .kernarg_segment_size: 112
    .language:       OpenCL C
    .language_version:
      - 2
      - 0
    .max_flat_workgroup_size: 128
    .name:           _ZN9rocsparseL18bsrxmvn_4x4_kernelILj128ELj8E21rocsparse_complex_numIdEliS1_IfES2_S2_EEvT3_20rocsparse_direction_NS_24const_host_device_scalarIT1_EES4_PKS4_PKT2_SD_SA_PKT4_PKT5_S8_PT6_21rocsparse_index_base_b
    .private_segment_fixed_size: 0
    .sgpr_count:     16
    .sgpr_spill_count: 0
    .symbol:         _ZN9rocsparseL18bsrxmvn_4x4_kernelILj128ELj8E21rocsparse_complex_numIdEliS1_IfES2_S2_EEvT3_20rocsparse_direction_NS_24const_host_device_scalarIT1_EES4_PKS4_PKT2_SD_SA_PKT4_PKT5_S8_PT6_21rocsparse_index_base_b.kd
    .uniform_work_group_size: 1
    .uses_dynamic_stack: false
    .vgpr_count:     135
    .vgpr_spill_count: 0
    .wavefront_size: 32
    .workgroup_processor_mode: 1
  - .args:
      - .offset:         0
        .size:           4
        .value_kind:     by_value
      - .offset:         4
        .size:           4
        .value_kind:     by_value
      - .offset:         8
        .size:           16
        .value_kind:     by_value
      - .offset:         24
        .size:           4
        .value_kind:     by_value
      - .actual_access:  read_only
        .address_space:  global
        .offset:         32
        .size:           8
        .value_kind:     global_buffer
      - .actual_access:  read_only
        .address_space:  global
        .offset:         40
        .size:           8
        .value_kind:     global_buffer
      - .actual_access:  read_only
        .address_space:  global
        .offset:         48
        .size:           8
        .value_kind:     global_buffer
      - .actual_access:  read_only
        .address_space:  global
        .offset:         56
        .size:           8
        .value_kind:     global_buffer
      - .actual_access:  read_only
        .address_space:  global
        .offset:         64
        .size:           8
        .value_kind:     global_buffer
      - .actual_access:  read_only
        .address_space:  global
        .offset:         72
        .size:           8
        .value_kind:     global_buffer
      - .offset:         80
        .size:           16
        .value_kind:     by_value
      - .address_space:  global
        .offset:         96
        .size:           8
        .value_kind:     global_buffer
      - .offset:         104
        .size:           4
        .value_kind:     by_value
      - .offset:         108
        .size:           1
        .value_kind:     by_value
    .group_segment_fixed_size: 0
    .kernarg_segment_align: 8
    .kernarg_segment_size: 112
    .language:       OpenCL C
    .language_version:
      - 2
      - 0
    .max_flat_workgroup_size: 128
    .name:           _ZN9rocsparseL18bsrxmvn_4x4_kernelILj128ELj16E21rocsparse_complex_numIdEliS1_IfES2_S2_EEvT3_20rocsparse_direction_NS_24const_host_device_scalarIT1_EES4_PKS4_PKT2_SD_SA_PKT4_PKT5_S8_PT6_21rocsparse_index_base_b
    .private_segment_fixed_size: 0
    .sgpr_count:     16
    .sgpr_spill_count: 0
    .symbol:         _ZN9rocsparseL18bsrxmvn_4x4_kernelILj128ELj16E21rocsparse_complex_numIdEliS1_IfES2_S2_EEvT3_20rocsparse_direction_NS_24const_host_device_scalarIT1_EES4_PKS4_PKT2_SD_SA_PKT4_PKT5_S8_PT6_21rocsparse_index_base_b.kd
    .uniform_work_group_size: 1
    .uses_dynamic_stack: false
    .vgpr_count:     135
    .vgpr_spill_count: 0
    .wavefront_size: 32
    .workgroup_processor_mode: 1
  - .args:
      - .offset:         0
        .size:           4
        .value_kind:     by_value
      - .offset:         4
        .size:           4
        .value_kind:     by_value
      - .offset:         8
        .size:           16
        .value_kind:     by_value
      - .offset:         24
        .size:           4
        .value_kind:     by_value
      - .actual_access:  read_only
        .address_space:  global
        .offset:         32
        .size:           8
        .value_kind:     global_buffer
      - .actual_access:  read_only
        .address_space:  global
        .offset:         40
        .size:           8
        .value_kind:     global_buffer
      - .actual_access:  read_only
        .address_space:  global
        .offset:         48
        .size:           8
        .value_kind:     global_buffer
      - .actual_access:  read_only
        .address_space:  global
        .offset:         56
        .size:           8
        .value_kind:     global_buffer
      - .actual_access:  read_only
        .address_space:  global
        .offset:         64
        .size:           8
        .value_kind:     global_buffer
      - .actual_access:  read_only
        .address_space:  global
        .offset:         72
        .size:           8
        .value_kind:     global_buffer
      - .offset:         80
        .size:           16
        .value_kind:     by_value
      - .address_space:  global
        .offset:         96
        .size:           8
        .value_kind:     global_buffer
      - .offset:         104
        .size:           4
        .value_kind:     by_value
      - .offset:         108
        .size:           1
        .value_kind:     by_value
    .group_segment_fixed_size: 0
    .kernarg_segment_align: 8
    .kernarg_segment_size: 112
    .language:       OpenCL C
    .language_version:
      - 2
      - 0
    .max_flat_workgroup_size: 128
    .name:           _ZN9rocsparseL18bsrxmvn_4x4_kernelILj128ELj32E21rocsparse_complex_numIdEliS1_IfES2_S2_EEvT3_20rocsparse_direction_NS_24const_host_device_scalarIT1_EES4_PKS4_PKT2_SD_SA_PKT4_PKT5_S8_PT6_21rocsparse_index_base_b
    .private_segment_fixed_size: 0
    .sgpr_count:     16
    .sgpr_spill_count: 0
    .symbol:         _ZN9rocsparseL18bsrxmvn_4x4_kernelILj128ELj32E21rocsparse_complex_numIdEliS1_IfES2_S2_EEvT3_20rocsparse_direction_NS_24const_host_device_scalarIT1_EES4_PKS4_PKT2_SD_SA_PKT4_PKT5_S8_PT6_21rocsparse_index_base_b.kd
    .uniform_work_group_size: 1
    .uses_dynamic_stack: false
    .vgpr_count:     135
    .vgpr_spill_count: 0
    .wavefront_size: 32
    .workgroup_processor_mode: 1
  - .args:
      - .offset:         0
        .size:           4
        .value_kind:     by_value
      - .offset:         4
        .size:           4
        .value_kind:     by_value
      - .offset:         8
        .size:           16
        .value_kind:     by_value
      - .offset:         24
        .size:           4
        .value_kind:     by_value
      - .actual_access:  read_only
        .address_space:  global
        .offset:         32
        .size:           8
        .value_kind:     global_buffer
      - .actual_access:  read_only
        .address_space:  global
        .offset:         40
        .size:           8
        .value_kind:     global_buffer
      - .actual_access:  read_only
        .address_space:  global
        .offset:         48
        .size:           8
        .value_kind:     global_buffer
      - .actual_access:  read_only
        .address_space:  global
        .offset:         56
        .size:           8
        .value_kind:     global_buffer
      - .actual_access:  read_only
        .address_space:  global
        .offset:         64
        .size:           8
        .value_kind:     global_buffer
      - .actual_access:  read_only
        .address_space:  global
        .offset:         72
        .size:           8
        .value_kind:     global_buffer
      - .offset:         80
        .size:           16
        .value_kind:     by_value
      - .address_space:  global
        .offset:         96
        .size:           8
        .value_kind:     global_buffer
      - .offset:         104
        .size:           4
        .value_kind:     by_value
      - .offset:         108
        .size:           1
        .value_kind:     by_value
    .group_segment_fixed_size: 0
    .kernarg_segment_align: 8
    .kernarg_segment_size: 112
    .language:       OpenCL C
    .language_version:
      - 2
      - 0
    .max_flat_workgroup_size: 128
    .name:           _ZN9rocsparseL18bsrxmvn_4x4_kernelILj128ELj64E21rocsparse_complex_numIdEliS1_IfES2_S2_EEvT3_20rocsparse_direction_NS_24const_host_device_scalarIT1_EES4_PKS4_PKT2_SD_SA_PKT4_PKT5_S8_PT6_21rocsparse_index_base_b
    .private_segment_fixed_size: 0
    .sgpr_count:     16
    .sgpr_spill_count: 0
    .symbol:         _ZN9rocsparseL18bsrxmvn_4x4_kernelILj128ELj64E21rocsparse_complex_numIdEliS1_IfES2_S2_EEvT3_20rocsparse_direction_NS_24const_host_device_scalarIT1_EES4_PKS4_PKT2_SD_SA_PKT4_PKT5_S8_PT6_21rocsparse_index_base_b.kd
    .uniform_work_group_size: 1
    .uses_dynamic_stack: false
    .vgpr_count:     135
    .vgpr_spill_count: 0
    .wavefront_size: 32
    .workgroup_processor_mode: 1
  - .args:
      - .offset:         0
        .size:           8
        .value_kind:     by_value
      - .offset:         8
        .size:           4
        .value_kind:     by_value
      - .offset:         16
        .size:           16
        .value_kind:     by_value
      - .offset:         32
        .size:           8
        .value_kind:     by_value
      - .actual_access:  read_only
        .address_space:  global
        .offset:         40
        .size:           8
        .value_kind:     global_buffer
      - .actual_access:  read_only
        .address_space:  global
        .offset:         48
        .size:           8
        .value_kind:     global_buffer
      - .actual_access:  read_only
        .address_space:  global
        .offset:         56
        .size:           8
        .value_kind:     global_buffer
      - .actual_access:  read_only
        .address_space:  global
        .offset:         64
        .size:           8
        .value_kind:     global_buffer
      - .actual_access:  read_only
        .address_space:  global
        .offset:         72
        .size:           8
        .value_kind:     global_buffer
      - .actual_access:  read_only
        .address_space:  global
        .offset:         80
        .size:           8
        .value_kind:     global_buffer
      - .offset:         88
        .size:           16
        .value_kind:     by_value
      - .address_space:  global
        .offset:         104
        .size:           8
        .value_kind:     global_buffer
      - .offset:         112
        .size:           4
        .value_kind:     by_value
      - .offset:         116
        .size:           1
        .value_kind:     by_value
    .group_segment_fixed_size: 0
    .kernarg_segment_align: 8
    .kernarg_segment_size: 120
    .language:       OpenCL C
    .language_version:
      - 2
      - 0
    .max_flat_workgroup_size: 128
    .name:           _ZN9rocsparseL18bsrxmvn_4x4_kernelILj128ELj4E21rocsparse_complex_numIdEllS1_IfES2_S2_EEvT3_20rocsparse_direction_NS_24const_host_device_scalarIT1_EES4_PKS4_PKT2_SD_SA_PKT4_PKT5_S8_PT6_21rocsparse_index_base_b
    .private_segment_fixed_size: 0
    .sgpr_count:     14
    .sgpr_spill_count: 0
    .symbol:         _ZN9rocsparseL18bsrxmvn_4x4_kernelILj128ELj4E21rocsparse_complex_numIdEllS1_IfES2_S2_EEvT3_20rocsparse_direction_NS_24const_host_device_scalarIT1_EES4_PKS4_PKT2_SD_SA_PKT4_PKT5_S8_PT6_21rocsparse_index_base_b.kd
    .uniform_work_group_size: 1
    .uses_dynamic_stack: false
    .vgpr_count:     139
    .vgpr_spill_count: 0
    .wavefront_size: 32
    .workgroup_processor_mode: 1
  - .args:
      - .offset:         0
        .size:           8
        .value_kind:     by_value
      - .offset:         8
        .size:           4
        .value_kind:     by_value
      - .offset:         16
        .size:           16
        .value_kind:     by_value
      - .offset:         32
        .size:           8
        .value_kind:     by_value
      - .actual_access:  read_only
        .address_space:  global
        .offset:         40
        .size:           8
        .value_kind:     global_buffer
      - .actual_access:  read_only
        .address_space:  global
        .offset:         48
        .size:           8
        .value_kind:     global_buffer
      - .actual_access:  read_only
        .address_space:  global
        .offset:         56
        .size:           8
        .value_kind:     global_buffer
      - .actual_access:  read_only
        .address_space:  global
        .offset:         64
        .size:           8
        .value_kind:     global_buffer
      - .actual_access:  read_only
        .address_space:  global
        .offset:         72
        .size:           8
        .value_kind:     global_buffer
      - .actual_access:  read_only
        .address_space:  global
        .offset:         80
        .size:           8
        .value_kind:     global_buffer
      - .offset:         88
        .size:           16
        .value_kind:     by_value
      - .address_space:  global
        .offset:         104
        .size:           8
        .value_kind:     global_buffer
      - .offset:         112
        .size:           4
        .value_kind:     by_value
      - .offset:         116
        .size:           1
        .value_kind:     by_value
    .group_segment_fixed_size: 0
    .kernarg_segment_align: 8
    .kernarg_segment_size: 120
    .language:       OpenCL C
    .language_version:
      - 2
      - 0
    .max_flat_workgroup_size: 128
    .name:           _ZN9rocsparseL18bsrxmvn_4x4_kernelILj128ELj8E21rocsparse_complex_numIdEllS1_IfES2_S2_EEvT3_20rocsparse_direction_NS_24const_host_device_scalarIT1_EES4_PKS4_PKT2_SD_SA_PKT4_PKT5_S8_PT6_21rocsparse_index_base_b
    .private_segment_fixed_size: 0
    .sgpr_count:     14
    .sgpr_spill_count: 0
    .symbol:         _ZN9rocsparseL18bsrxmvn_4x4_kernelILj128ELj8E21rocsparse_complex_numIdEllS1_IfES2_S2_EEvT3_20rocsparse_direction_NS_24const_host_device_scalarIT1_EES4_PKS4_PKT2_SD_SA_PKT4_PKT5_S8_PT6_21rocsparse_index_base_b.kd
    .uniform_work_group_size: 1
    .uses_dynamic_stack: false
    .vgpr_count:     139
    .vgpr_spill_count: 0
    .wavefront_size: 32
    .workgroup_processor_mode: 1
  - .args:
      - .offset:         0
        .size:           8
        .value_kind:     by_value
      - .offset:         8
        .size:           4
        .value_kind:     by_value
      - .offset:         16
        .size:           16
        .value_kind:     by_value
      - .offset:         32
        .size:           8
        .value_kind:     by_value
      - .actual_access:  read_only
        .address_space:  global
        .offset:         40
        .size:           8
        .value_kind:     global_buffer
      - .actual_access:  read_only
        .address_space:  global
        .offset:         48
        .size:           8
        .value_kind:     global_buffer
      - .actual_access:  read_only
        .address_space:  global
        .offset:         56
        .size:           8
        .value_kind:     global_buffer
      - .actual_access:  read_only
        .address_space:  global
        .offset:         64
        .size:           8
        .value_kind:     global_buffer
      - .actual_access:  read_only
        .address_space:  global
        .offset:         72
        .size:           8
        .value_kind:     global_buffer
      - .actual_access:  read_only
        .address_space:  global
        .offset:         80
        .size:           8
        .value_kind:     global_buffer
      - .offset:         88
        .size:           16
        .value_kind:     by_value
      - .address_space:  global
        .offset:         104
        .size:           8
        .value_kind:     global_buffer
      - .offset:         112
        .size:           4
        .value_kind:     by_value
      - .offset:         116
        .size:           1
        .value_kind:     by_value
    .group_segment_fixed_size: 0
    .kernarg_segment_align: 8
    .kernarg_segment_size: 120
    .language:       OpenCL C
    .language_version:
      - 2
      - 0
    .max_flat_workgroup_size: 128
    .name:           _ZN9rocsparseL18bsrxmvn_4x4_kernelILj128ELj16E21rocsparse_complex_numIdEllS1_IfES2_S2_EEvT3_20rocsparse_direction_NS_24const_host_device_scalarIT1_EES4_PKS4_PKT2_SD_SA_PKT4_PKT5_S8_PT6_21rocsparse_index_base_b
    .private_segment_fixed_size: 0
    .sgpr_count:     14
    .sgpr_spill_count: 0
    .symbol:         _ZN9rocsparseL18bsrxmvn_4x4_kernelILj128ELj16E21rocsparse_complex_numIdEllS1_IfES2_S2_EEvT3_20rocsparse_direction_NS_24const_host_device_scalarIT1_EES4_PKS4_PKT2_SD_SA_PKT4_PKT5_S8_PT6_21rocsparse_index_base_b.kd
    .uniform_work_group_size: 1
    .uses_dynamic_stack: false
    .vgpr_count:     139
    .vgpr_spill_count: 0
    .wavefront_size: 32
    .workgroup_processor_mode: 1
  - .args:
      - .offset:         0
        .size:           8
        .value_kind:     by_value
      - .offset:         8
        .size:           4
        .value_kind:     by_value
      - .offset:         16
        .size:           16
        .value_kind:     by_value
      - .offset:         32
        .size:           8
        .value_kind:     by_value
      - .actual_access:  read_only
        .address_space:  global
        .offset:         40
        .size:           8
        .value_kind:     global_buffer
      - .actual_access:  read_only
        .address_space:  global
        .offset:         48
        .size:           8
        .value_kind:     global_buffer
      - .actual_access:  read_only
        .address_space:  global
        .offset:         56
        .size:           8
        .value_kind:     global_buffer
      - .actual_access:  read_only
        .address_space:  global
        .offset:         64
        .size:           8
        .value_kind:     global_buffer
      - .actual_access:  read_only
        .address_space:  global
        .offset:         72
        .size:           8
        .value_kind:     global_buffer
      - .actual_access:  read_only
        .address_space:  global
        .offset:         80
        .size:           8
        .value_kind:     global_buffer
      - .offset:         88
        .size:           16
        .value_kind:     by_value
      - .address_space:  global
        .offset:         104
        .size:           8
        .value_kind:     global_buffer
      - .offset:         112
        .size:           4
        .value_kind:     by_value
      - .offset:         116
        .size:           1
        .value_kind:     by_value
    .group_segment_fixed_size: 0
    .kernarg_segment_align: 8
    .kernarg_segment_size: 120
    .language:       OpenCL C
    .language_version:
      - 2
      - 0
    .max_flat_workgroup_size: 128
    .name:           _ZN9rocsparseL18bsrxmvn_4x4_kernelILj128ELj32E21rocsparse_complex_numIdEllS1_IfES2_S2_EEvT3_20rocsparse_direction_NS_24const_host_device_scalarIT1_EES4_PKS4_PKT2_SD_SA_PKT4_PKT5_S8_PT6_21rocsparse_index_base_b
    .private_segment_fixed_size: 0
    .sgpr_count:     14
    .sgpr_spill_count: 0
    .symbol:         _ZN9rocsparseL18bsrxmvn_4x4_kernelILj128ELj32E21rocsparse_complex_numIdEllS1_IfES2_S2_EEvT3_20rocsparse_direction_NS_24const_host_device_scalarIT1_EES4_PKS4_PKT2_SD_SA_PKT4_PKT5_S8_PT6_21rocsparse_index_base_b.kd
    .uniform_work_group_size: 1
    .uses_dynamic_stack: false
    .vgpr_count:     139
    .vgpr_spill_count: 0
    .wavefront_size: 32
    .workgroup_processor_mode: 1
  - .args:
      - .offset:         0
        .size:           8
        .value_kind:     by_value
      - .offset:         8
        .size:           4
        .value_kind:     by_value
      - .offset:         16
        .size:           16
        .value_kind:     by_value
      - .offset:         32
        .size:           8
        .value_kind:     by_value
      - .actual_access:  read_only
        .address_space:  global
        .offset:         40
        .size:           8
        .value_kind:     global_buffer
      - .actual_access:  read_only
        .address_space:  global
        .offset:         48
        .size:           8
        .value_kind:     global_buffer
      - .actual_access:  read_only
        .address_space:  global
        .offset:         56
        .size:           8
        .value_kind:     global_buffer
      - .actual_access:  read_only
        .address_space:  global
        .offset:         64
        .size:           8
        .value_kind:     global_buffer
      - .actual_access:  read_only
        .address_space:  global
        .offset:         72
        .size:           8
        .value_kind:     global_buffer
      - .actual_access:  read_only
        .address_space:  global
        .offset:         80
        .size:           8
        .value_kind:     global_buffer
      - .offset:         88
        .size:           16
        .value_kind:     by_value
      - .address_space:  global
        .offset:         104
        .size:           8
        .value_kind:     global_buffer
      - .offset:         112
        .size:           4
        .value_kind:     by_value
      - .offset:         116
        .size:           1
        .value_kind:     by_value
    .group_segment_fixed_size: 0
    .kernarg_segment_align: 8
    .kernarg_segment_size: 120
    .language:       OpenCL C
    .language_version:
      - 2
      - 0
    .max_flat_workgroup_size: 128
    .name:           _ZN9rocsparseL18bsrxmvn_4x4_kernelILj128ELj64E21rocsparse_complex_numIdEllS1_IfES2_S2_EEvT3_20rocsparse_direction_NS_24const_host_device_scalarIT1_EES4_PKS4_PKT2_SD_SA_PKT4_PKT5_S8_PT6_21rocsparse_index_base_b
    .private_segment_fixed_size: 0
    .sgpr_count:     14
    .sgpr_spill_count: 0
    .symbol:         _ZN9rocsparseL18bsrxmvn_4x4_kernelILj128ELj64E21rocsparse_complex_numIdEllS1_IfES2_S2_EEvT3_20rocsparse_direction_NS_24const_host_device_scalarIT1_EES4_PKS4_PKT2_SD_SA_PKT4_PKT5_S8_PT6_21rocsparse_index_base_b.kd
    .uniform_work_group_size: 1
    .uses_dynamic_stack: false
    .vgpr_count:     139
    .vgpr_spill_count: 0
    .wavefront_size: 32
    .workgroup_processor_mode: 1
amdhsa.target:   amdgcn-amd-amdhsa--gfx1201
amdhsa.version:
  - 1
  - 2
...

	.end_amdgpu_metadata
